;; amdgpu-corpus repo=ggml-org/llama.cpp kind=compiled arch=gfx950 opt=O3
	.amdgcn_target "amdgcn-amd-amdhsa--gfx950"
	.amdhsa_code_object_version 6
	.section	.text._ZL18flash_attn_ext_f16ILi64ELi64ELi64ELi1ELb0ELb0EEvPKcS1_S1_S1_S1_PKiPfP15HIP_vector_typeIfLj2EEffffjfiS5_IjLj3EEiiiiiiiiiiiliiliiiiil,"axG",@progbits,_ZL18flash_attn_ext_f16ILi64ELi64ELi64ELi1ELb0ELb0EEvPKcS1_S1_S1_S1_PKiPfP15HIP_vector_typeIfLj2EEffffjfiS5_IjLj3EEiiiiiiiiiiiliiliiiiil,comdat
	.globl	_ZL18flash_attn_ext_f16ILi64ELi64ELi64ELi1ELb0ELb0EEvPKcS1_S1_S1_S1_PKiPfP15HIP_vector_typeIfLj2EEffffjfiS5_IjLj3EEiiiiiiiiiiiliiliiiiil ; -- Begin function _ZL18flash_attn_ext_f16ILi64ELi64ELi64ELi1ELb0ELb0EEvPKcS1_S1_S1_S1_PKiPfP15HIP_vector_typeIfLj2EEffffjfiS5_IjLj3EEiiiiiiiiiiiliiliiiiil
	.p2align	8
	.type	_ZL18flash_attn_ext_f16ILi64ELi64ELi64ELi1ELb0ELb0EEvPKcS1_S1_S1_S1_PKiPfP15HIP_vector_typeIfLj2EEffffjfiS5_IjLj3EEiiiiiiiiiiiliiliiiiil,@function
_ZL18flash_attn_ext_f16ILi64ELi64ELi64ELi1ELb0ELb0EEvPKcS1_S1_S1_S1_PKiPfP15HIP_vector_typeIfLj2EEffffjfiS5_IjLj3EEiiiiiiiiiiiliiliiiiil: ; @_ZL18flash_attn_ext_f16ILi64ELi64ELi64ELi1ELb0ELb0EEvPKcS1_S1_S1_S1_PKiPfP15HIP_vector_typeIfLj2EEffffjfiS5_IjLj3EEiiiiiiiiiiiliiliiiiil
; %bb.0:
	s_load_dwordx2 s[10:11], s[0:1], 0x80
	s_load_dwordx4 s[92:95], s[0:1], 0x64
	s_mov_b32 s23, s2
	v_mov_b32_e32 v70, v0
                                        ; implicit-def: $vgpr126 : SGPR spill to VGPR lane
	s_load_dword s24, s[0:1], 0xd0
	s_waitcnt lgkmcnt(0)
	s_abs_i32 s2, s11
	v_cvt_f32_u32_e32 v0, s2
	s_sub_i32 s6, 0, s2
	s_abs_i32 s5, s93
	s_xor_b32 s3, s93, s11
	v_rcp_iflag_f32_e32 v0, v0
	s_ashr_i32 s3, s3, 31
	s_mov_b32 s4, 0
	v_mul_f32_e32 v0, 0x4f7ffffe, v0
	v_cvt_u32_f32_e32 v0, v0
	s_nop 0
	v_readfirstlane_b32 s7, v0
	s_mul_i32 s6, s6, s7
	s_mul_hi_u32 s6, s7, s6
	s_add_i32 s7, s7, s6
	s_mul_hi_u32 s6, s5, s7
	s_mul_i32 s7, s6, s2
	s_sub_i32 s5, s5, s7
	s_add_i32 s8, s6, 1
	s_sub_i32 s7, s5, s2
	s_cmp_ge_u32 s5, s2
	s_cselect_b32 s6, s8, s6
	s_cselect_b32 s5, s7, s5
	s_add_i32 s7, s6, 1
	s_cmp_ge_u32 s5, s2
	s_cselect_b32 s2, s7, s6
	s_add_i32 s5, s10, 63
	s_xor_b32 s2, s2, s3
	s_ashr_i32 s6, s5, 31
	s_sub_i32 s3, s2, s3
	s_lshr_b32 s2, s6, 26
	s_add_i32 s5, s5, s2
	s_add_i32 s2, s92, 63
	s_lshr_b32 s2, s2, 6
	s_ashr_i32 s5, s5, 6
	v_writelane_b32 v126, s2, 0
	v_writelane_b32 v126, s5, 1
	s_mul_i32 s2, s2, s5
	v_writelane_b32 v126, s3, 2
	v_writelane_b32 v126, s2, 3
	s_mul_i32 s3, s2, s3
	s_mov_b32 s2, s10
	v_writelane_b32 v126, s2, 4
	s_nop 1
	v_writelane_b32 v126, s3, 5
	s_mul_i32 s2, s3, s11
	s_mul_i32 s8, s2, s94
	v_writelane_b32 v126, s3, 6
	s_ashr_i32 s9, s8, 31
	v_writelane_b32 v126, s2, 7
	s_mul_i32 s2, s9, s23
	s_mul_hi_u32 s3, s8, s23
	s_add_i32 s5, s3, s2
	s_add_u32 s62, s0, 0xd0
	s_addc_u32 s63, s1, 0
	s_cmp_lg_u64 s[4:5], 0
	s_mul_i32 s4, s8, s23
	s_cbranch_scc0 .LBB0_2
; %bb.1:
	s_add_u32 s2, s24, 0
	s_addc_u32 s3, 0, 0
	s_xor_b64 s[6:7], s[2:3], 0
	v_cvt_f32_u32_e32 v0, s6
	v_cvt_f32_u32_e32 v1, s7
	s_sub_u32 s12, 0, s6
	s_subb_u32 s13, 0, s7
	s_mov_b64 s[2:3], 0
	v_fmamk_f32 v0, v1, 0x4f800000, v0
	v_rcp_f32_e32 v0, v0
	s_nop 0
	v_mul_f32_e32 v0, 0x5f7ffffc, v0
	v_mul_f32_e32 v1, 0x2f800000, v0
	v_trunc_f32_e32 v1, v1
	v_fmamk_f32 v0, v1, 0xcf800000, v0
	v_cvt_u32_f32_e32 v1, v1
	v_cvt_u32_f32_e32 v0, v0
	v_readfirstlane_b32 s14, v1
	v_readfirstlane_b32 s10, v0
	s_mul_i32 s11, s12, s14
	s_mul_hi_u32 s16, s12, s10
	s_mul_i32 s15, s13, s10
	s_add_i32 s11, s16, s11
	s_add_i32 s11, s11, s15
	s_mul_i32 s17, s12, s10
	s_mul_i32 s16, s10, s11
	s_mul_hi_u32 s18, s10, s17
	s_mul_hi_u32 s15, s10, s11
	s_add_u32 s16, s18, s16
	s_addc_u32 s15, 0, s15
	s_mul_hi_u32 s19, s14, s17
	s_mul_i32 s17, s14, s17
	s_add_u32 s16, s16, s17
	s_mul_hi_u32 s18, s14, s11
	s_addc_u32 s15, s15, s19
	s_addc_u32 s16, s18, 0
	s_mul_i32 s11, s14, s11
	s_add_u32 s11, s15, s11
	s_addc_u32 s15, 0, s16
	s_add_u32 s16, s10, s11
	s_cselect_b64 s[10:11], -1, 0
	s_cmp_lg_u64 s[10:11], 0
	s_addc_u32 s14, s14, s15
	s_mul_i32 s10, s12, s14
	s_mul_hi_u32 s11, s12, s16
	s_add_i32 s10, s11, s10
	s_mul_i32 s13, s13, s16
	s_add_i32 s10, s10, s13
	s_mul_i32 s12, s12, s16
	s_mul_hi_u32 s13, s14, s12
	s_mul_i32 s15, s14, s12
	s_mul_i32 s18, s16, s10
	s_mul_hi_u32 s12, s16, s12
	s_mul_hi_u32 s17, s16, s10
	s_add_u32 s12, s12, s18
	s_addc_u32 s17, 0, s17
	s_add_u32 s12, s12, s15
	s_mul_hi_u32 s11, s14, s10
	s_addc_u32 s12, s17, s13
	s_addc_u32 s11, s11, 0
	s_mul_i32 s10, s14, s10
	s_add_u32 s10, s12, s10
	s_addc_u32 s12, 0, s11
	s_add_u32 s15, s16, s10
	s_cselect_b64 s[10:11], -1, 0
	s_cmp_lg_u64 s[10:11], 0
	s_addc_u32 s14, s14, s12
	s_ashr_i32 s10, s5, 31
	s_add_u32 s12, s4, s10
	s_mov_b32 s11, s10
	s_addc_u32 s13, s5, s10
	s_xor_b64 s[12:13], s[12:13], s[10:11]
	s_mul_i32 s16, s12, s14
	s_mul_hi_u32 s17, s12, s15
	s_mul_hi_u32 s5, s12, s14
	s_add_u32 s16, s17, s16
	s_addc_u32 s5, 0, s5
	s_mul_hi_u32 s18, s13, s15
	s_mul_i32 s15, s13, s15
	s_add_u32 s15, s16, s15
	s_mul_hi_u32 s17, s13, s14
	s_addc_u32 s5, s5, s18
	s_addc_u32 s15, s17, 0
	s_mul_i32 s14, s13, s14
	s_add_u32 s5, s5, s14
	s_addc_u32 s18, 0, s15
	s_mul_i32 s14, s6, s18
	s_mul_hi_u32 s15, s6, s5
	s_add_i32 s14, s15, s14
	s_mul_i32 s15, s7, s5
	s_add_i32 s19, s14, s15
	s_sub_i32 s16, s13, s19
	s_mul_i32 s14, s6, s5
	s_sub_u32 s12, s12, s14
	s_cselect_b64 s[14:15], -1, 0
	s_cmp_lg_u64 s[14:15], 0
	s_subb_u32 s20, s16, s7
	s_sub_u32 s21, s12, s6
	s_cselect_b64 s[16:17], -1, 0
	s_cmp_lg_u64 s[16:17], 0
	s_subb_u32 s16, s20, 0
	s_cmp_ge_u32 s16, s7
	s_cselect_b32 s17, -1, 0
	s_cmp_ge_u32 s21, s6
	s_cselect_b32 s20, -1, 0
	s_cmp_eq_u32 s16, s7
	s_cselect_b32 s16, s20, s17
	s_add_u32 s17, s5, 1
	s_addc_u32 s20, s18, 0
	s_add_u32 s21, s5, 2
	s_addc_u32 s22, s18, 0
	s_cmp_lg_u32 s16, 0
	s_cselect_b32 s16, s21, s17
	s_cselect_b32 s17, s22, s20
	s_cmp_lg_u64 s[14:15], 0
	s_subb_u32 s13, s13, s19
	s_cmp_ge_u32 s13, s7
	s_cselect_b32 s14, -1, 0
	s_cmp_ge_u32 s12, s6
	s_cselect_b32 s6, -1, 0
	s_cmp_eq_u32 s13, s7
	s_cselect_b32 s6, s6, s14
	s_cmp_lg_u32 s6, 0
	s_cselect_b32 s7, s17, s18
	s_cselect_b32 s6, s16, s5
	s_xor_b64 s[10:11], s[10:11], 0
	s_xor_b64 s[6:7], s[6:7], s[10:11]
	s_sub_u32 s84, s6, s10
	s_branch .LBB0_3
.LBB0_2:
	s_mov_b64 s[2:3], -1
                                        ; implicit-def: $sgpr84_sgpr85
.LBB0_3:
	s_load_dwordx2 s[6:7], s[0:1], 0x74
	v_cvt_f32_u32_e32 v0, s24
	s_andn2_b64 vcc, exec, s[2:3]
	s_waitcnt lgkmcnt(0)
	v_writelane_b32 v126, s6, 8
	s_nop 1
	v_writelane_b32 v126, s7, 9
	s_cbranch_vccnz .LBB0_5
; %bb.4:
	v_rcp_iflag_f32_e32 v1, v0
	s_sub_i32 s2, 0, s24
	v_mul_f32_e32 v1, 0x4f7ffffe, v1
	v_cvt_u32_f32_e32 v1, v1
	s_nop 0
	v_readfirstlane_b32 s3, v1
	s_mul_i32 s2, s2, s3
	s_mul_hi_u32 s2, s3, s2
	s_add_i32 s3, s3, s2
	s_mul_hi_u32 s2, s4, s3
	s_mul_i32 s5, s2, s24
	s_sub_i32 s4, s4, s5
	s_add_i32 s3, s2, 1
	s_sub_i32 s5, s4, s24
	s_cmp_ge_u32 s4, s24
	s_cselect_b32 s2, s3, s2
	s_cselect_b32 s4, s5, s4
	s_add_i32 s3, s2, 1
	s_cmp_ge_u32 s4, s24
	s_cselect_b32 s84, s3, s2
.LBB0_5:
	s_add_i32 s2, s23, 1
	s_mul_i32 s3, s9, s2
	s_mul_hi_u32 s4, s8, s2
	s_add_i32 s7, s4, s3
	s_mov_b32 s6, 0
	s_cmp_lg_u64 s[6:7], 0
	s_mul_i32 s6, s8, s2
	s_cbranch_scc0 .LBB0_7
; %bb.6:
	s_add_u32 s2, s24, 0
	s_addc_u32 s3, 0, 0
	s_xor_b64 s[2:3], s[2:3], 0
	v_cvt_f32_u32_e32 v1, s2
	v_cvt_f32_u32_e32 v2, s3
	s_sub_u32 s10, 0, s2
	s_subb_u32 s11, 0, s3
	s_mov_b64 s[4:5], 0
	v_fmamk_f32 v1, v2, 0x4f800000, v1
	v_rcp_f32_e32 v1, v1
	s_nop 0
	v_mul_f32_e32 v1, 0x5f7ffffc, v1
	v_mul_f32_e32 v2, 0x2f800000, v1
	v_trunc_f32_e32 v2, v2
	v_fmamk_f32 v1, v2, 0xcf800000, v1
	v_cvt_u32_f32_e32 v2, v2
	v_cvt_u32_f32_e32 v1, v1
	v_readfirstlane_b32 s12, v2
	v_readfirstlane_b32 s8, v1
	s_mul_i32 s9, s10, s12
	s_mul_hi_u32 s14, s10, s8
	s_mul_i32 s13, s11, s8
	s_add_i32 s9, s14, s9
	s_add_i32 s9, s9, s13
	s_mul_i32 s15, s10, s8
	s_mul_i32 s14, s8, s9
	s_mul_hi_u32 s16, s8, s15
	s_mul_hi_u32 s13, s8, s9
	s_add_u32 s14, s16, s14
	s_addc_u32 s13, 0, s13
	s_mul_hi_u32 s17, s12, s15
	s_mul_i32 s15, s12, s15
	s_add_u32 s14, s14, s15
	s_mul_hi_u32 s16, s12, s9
	s_addc_u32 s13, s13, s17
	s_addc_u32 s14, s16, 0
	s_mul_i32 s9, s12, s9
	s_add_u32 s9, s13, s9
	s_addc_u32 s13, 0, s14
	s_add_u32 s14, s8, s9
	s_cselect_b64 s[8:9], -1, 0
	s_cmp_lg_u64 s[8:9], 0
	s_addc_u32 s12, s12, s13
	s_mul_i32 s8, s10, s12
	s_mul_hi_u32 s9, s10, s14
	s_add_i32 s8, s9, s8
	s_mul_i32 s11, s11, s14
	s_add_i32 s8, s8, s11
	s_mul_i32 s10, s10, s14
	s_mul_hi_u32 s11, s12, s10
	s_mul_i32 s13, s12, s10
	s_mul_i32 s16, s14, s8
	s_mul_hi_u32 s10, s14, s10
	s_mul_hi_u32 s15, s14, s8
	s_add_u32 s10, s10, s16
	s_addc_u32 s15, 0, s15
	s_add_u32 s10, s10, s13
	s_mul_hi_u32 s9, s12, s8
	s_addc_u32 s10, s15, s11
	s_addc_u32 s9, s9, 0
	s_mul_i32 s8, s12, s8
	s_add_u32 s8, s10, s8
	s_addc_u32 s10, 0, s9
	s_add_u32 s13, s14, s8
	s_cselect_b64 s[8:9], -1, 0
	s_cmp_lg_u64 s[8:9], 0
	s_addc_u32 s12, s12, s10
	s_ashr_i32 s8, s7, 31
	s_add_u32 s10, s6, s8
	s_mov_b32 s9, s8
	s_addc_u32 s11, s7, s8
	s_xor_b64 s[10:11], s[10:11], s[8:9]
	s_mul_i32 s14, s10, s12
	s_mul_hi_u32 s15, s10, s13
	s_mul_hi_u32 s7, s10, s12
	s_add_u32 s14, s15, s14
	s_addc_u32 s7, 0, s7
	s_mul_hi_u32 s16, s11, s13
	s_mul_i32 s13, s11, s13
	s_add_u32 s13, s14, s13
	s_mul_hi_u32 s15, s11, s12
	s_addc_u32 s7, s7, s16
	s_addc_u32 s13, s15, 0
	s_mul_i32 s12, s11, s12
	s_add_u32 s7, s7, s12
	s_addc_u32 s16, 0, s13
	s_mul_i32 s12, s2, s16
	s_mul_hi_u32 s13, s2, s7
	s_add_i32 s12, s13, s12
	s_mul_i32 s13, s3, s7
	s_add_i32 s17, s12, s13
	s_sub_i32 s14, s11, s17
	s_mul_i32 s12, s2, s7
	s_sub_u32 s10, s10, s12
	s_cselect_b64 s[12:13], -1, 0
	s_cmp_lg_u64 s[12:13], 0
	s_subb_u32 s18, s14, s3
	s_sub_u32 s19, s10, s2
	s_cselect_b64 s[14:15], -1, 0
	s_cmp_lg_u64 s[14:15], 0
	s_subb_u32 s14, s18, 0
	s_cmp_ge_u32 s14, s3
	s_cselect_b32 s15, -1, 0
	s_cmp_ge_u32 s19, s2
	s_cselect_b32 s18, -1, 0
	s_cmp_eq_u32 s14, s3
	s_cselect_b32 s14, s18, s15
	s_add_u32 s15, s7, 1
	s_addc_u32 s18, s16, 0
	s_add_u32 s19, s7, 2
	s_addc_u32 s20, s16, 0
	s_cmp_lg_u32 s14, 0
	s_cselect_b32 s14, s19, s15
	s_cselect_b32 s15, s20, s18
	s_cmp_lg_u64 s[12:13], 0
	s_subb_u32 s11, s11, s17
	s_cmp_ge_u32 s11, s3
	s_cselect_b32 s12, -1, 0
	s_cmp_ge_u32 s10, s2
	s_cselect_b32 s2, -1, 0
	s_cmp_eq_u32 s11, s3
	s_cselect_b32 s2, s2, s12
	s_cmp_lg_u32 s2, 0
	s_cselect_b32 s3, s15, s16
	s_cselect_b32 s2, s14, s7
	s_xor_b64 s[8:9], s[8:9], 0
	s_xor_b64 s[2:3], s[2:3], s[8:9]
	s_sub_u32 s2, s2, s8
	v_writelane_b32 v126, s2, 11
	s_nop 1
	v_writelane_b32 v126, s3, 12
	s_branch .LBB0_8
.LBB0_7:
	s_mov_b64 s[4:5], -1
                                        ; implicit-def: $sgpr2_sgpr3
                                        ; kill: killed $sgpr2_sgpr3
.LBB0_8:
	s_load_dwordx2 s[2:3], s[0:1], 0x5c
	v_writelane_b32 v126, s23, 10
	s_andn2_b64 vcc, exec, s[4:5]
	s_cbranch_vccnz .LBB0_10
; %bb.9:
	v_rcp_iflag_f32_e32 v0, v0
	s_sub_i32 s4, 0, s24
	v_mul_f32_e32 v0, 0x4f7ffffe, v0
	v_cvt_u32_f32_e32 v0, v0
	s_nop 0
	v_readfirstlane_b32 s5, v0
	s_mul_i32 s4, s4, s5
	s_mul_hi_u32 s4, s5, s4
	s_add_i32 s5, s5, s4
	s_mul_hi_u32 s4, s6, s5
	s_mul_i32 s7, s4, s24
	s_sub_i32 s6, s6, s7
	s_add_i32 s5, s4, 1
	s_sub_i32 s7, s6, s24
	s_cmp_ge_u32 s6, s24
	s_cselect_b32 s4, s5, s4
	s_cselect_b32 s6, s7, s6
	s_add_i32 s5, s4, 1
	s_cmp_ge_u32 s6, s24
	s_cselect_b32 s4, s5, s4
	v_writelane_b32 v126, s4, 11
	s_nop 1
	v_writelane_b32 v126, s5, 12
.LBB0_10:
	s_load_dwordx16 s[64:79], s[0:1], 0x0
	s_load_dwordx4 s[52:55], s[0:1], 0x40
	s_load_dword s4, s[0:1], 0x50
	v_writelane_b32 v126, s24, 13
	s_ashr_i32 s82, s95, 3
	v_bfe_u32 v69, v70, 10, 10
	s_waitcnt lgkmcnt(0)
	v_cvt_f16_f32_e32 v71, s52
	v_writelane_b32 v126, s4, 14
	s_load_dwordx2 s[4:5], s[0:1], 0x8c
	s_load_dwordx4 s[8:11], s[0:1], 0x98
	s_load_dwordx2 s[6:7], s[0:1], 0xa8
	s_load_dwordx2 s[88:89], s[0:1], 0xb8
	s_nop 0
	s_load_dwordx2 s[0:1], s[0:1], 0xc8
	v_and_b32_e32 v68, 31, v70
	s_waitcnt lgkmcnt(0)
	s_ashr_i32 s90, s4, 2
	s_ashr_i32 s94, s10, 2
	v_writelane_b32 v126, s6, 15
	s_ashr_i32 s80, s89, 1
	s_mov_b32 s49, 0
	v_writelane_b32 v126, s7, 16
	v_writelane_b32 v126, s0, 17
	s_mov_b32 s7, s11
	v_mbcnt_lo_u32_b32 v12, -1, 0
	v_writelane_b32 v126, s1, 18
	s_mov_b32 s1, s5
	v_readlane_b32 s6, v126, 1
	s_abs_i32 s33, s6
	v_cvt_f32_u32_e32 v0, s33
	v_writelane_b32 v126, s0, 19
	s_mov_b64 s[4:5], s[8:9]
	v_rcp_iflag_f32_e32 v0, v0
	v_writelane_b32 v126, s1, 20
	v_writelane_b32 v126, s4, 21
	s_ashr_i32 s1, s6, 31
	v_mul_f32_e32 v0, 0x4f7ffffe, v0
	v_cvt_u32_f32_e32 v0, v0
	v_writelane_b32 v126, s5, 22
	v_writelane_b32 v126, s6, 23
	;; [unrolled: 1-line block ×3, first 2 shown]
	s_sub_i32 s4, 0, s33
	v_readfirstlane_b32 s5, v0
	s_mul_i32 s4, s4, s5
	s_mul_hi_u32 s4, s5, s4
	v_writelane_b32 v126, s1, 25
	s_abs_i32 s1, s84
	s_add_i32 s83, s5, s4
	s_mul_hi_u32 s4, s1, s83
	s_mul_i32 s4, s4, s33
	s_sub_i32 s1, s1, s4
	s_ashr_i32 s0, s84, 31
	s_sub_i32 s4, s1, s33
	s_cmp_ge_u32 s1, s33
	s_cselect_b32 s1, s4, s1
	s_sub_i32 s4, s1, s33
	s_cmp_ge_u32 s1, s33
	s_cselect_b32 s1, s4, s1
	s_xor_b32 s1, s1, s0
	s_sub_i32 s58, s1, s0
	v_readlane_b32 s0, v126, 11
	v_readlane_b32 s1, v126, 12
	v_writelane_b32 v126, s64, 26
	s_mov_b32 s8, s0
	s_sub_i32 s0, s0, s84
	v_writelane_b32 v126, s65, 27
	v_writelane_b32 v126, s66, 28
	;; [unrolled: 1-line block ×7, first 2 shown]
	s_add_i32 s4, s0, s58
	v_writelane_b32 v126, s72, 34
	s_min_i32 s44, s6, s4
	v_writelane_b32 v126, s73, 35
	s_cmp_gt_i32 s8, s84
	v_writelane_b32 v126, s74, 36
	s_cselect_b64 s[36:37], -1, 0
	s_cmp_le_i32 s8, s84
	v_writelane_b32 v126, s75, 37
	s_cselect_b64 s[0:1], -1, 0
	s_cmp_gt_i32 s6, s4
	v_writelane_b32 v126, s76, 38
	s_cselect_b64 s[4:5], -1, 0
	v_writelane_b32 v126, s77, 39
	s_or_b64 s[0:1], s[4:5], s[0:1]
	v_bfe_u32 v0, v70, 5, 5
	v_writelane_b32 v126, s78, 40
	s_and_b64 vcc, exec, s[0:1]
	v_lshl_add_u32 v67, v69, 1, v0
	v_writelane_b32 v126, s79, 41
	v_mov_b32_e32 v0, v68
	scratch_store_dword off, v67, off offset:120 ; 4-byte Folded Spill
	scratch_store_dwordx2 off, v[0:1], off offset:356 ; 8-byte Folded Spill
	scratch_store_dword off, v69, off offset:348 ; 4-byte Folded Spill
	s_cbranch_vccnz .LBB0_264
; %bb.11:
	v_writelane_b32 v126, s62, 42
	s_cmp_lg_u64 s[70:71], 0
	s_cselect_b64 s[0:1], -1, 0
	v_writelane_b32 v126, s63, 43
	v_writelane_b32 v126, s0, 44
	s_cmp_eq_u64 s[72:73], 0
	v_bfe_u32 v6, v70, 3, 7
	v_writelane_b32 v126, s1, 45
	s_mul_i32 s0, s92, s93
	v_writelane_b32 v126, s0, 46
	s_cselect_b64 s[0:1], -1, 0
	v_writelane_b32 v126, s0, 47
	s_cmp_lg_u64 s[74:75], 0
	v_and_b32_e32 v4, 15, v70
	v_writelane_b32 v126, s1, 48
	v_cmp_nle_f32_e64 s[0:1], s53, 0
	v_lshlrev_b32_e32 v7, 2, v6
	v_mul_u32_u24_e32 v1, 0x90, v4
	v_writelane_b32 v126, s0, 49
	v_and_b32_e32 v5, 0x78, v7
	v_and_b32_e32 v74, 0x3ff, v70
	v_writelane_b32 v126, s1, 50
	s_cselect_b64 s[0:1], -1, 0
	v_writelane_b32 v126, s0, 51
	v_lshlrev_b32_e32 v34, 1, v74
	v_lshl_add_u32 v75, v69, 3, v6
	v_writelane_b32 v126, s1, 52
	s_mov_b32 s0, 0x10001
	v_mul_lo_u32 v72, v71, s0
	s_movk_i32 s0, 0x900
	v_mad_u32_u24 v0, v69, s0, 0
	v_add3_u32 v73, v0, v1, v5
	v_mul_i32_i24_e32 v1, 0xfffff790, v69
	v_add3_u32 v114, v0, v1, v34
	v_add_u32_e32 v0, 4, v69
	scratch_store_dword off, v0, off offset:60 ; 4-byte Folded Spill
	v_add_u32_e32 v0, 8, v69
	scratch_store_dword off, v0, off offset:64 ; 4-byte Folded Spill
	;; [unrolled: 2-line block ×13, first 2 shown]
	v_add_u32_e32 v0, 56, v69
	v_lshlrev_b32_e32 v1, 2, v74
	scratch_store_dword off, v0, off offset:112 ; 4-byte Folded Spill
	v_add_u32_e32 v0, 60, v69
	v_and_b32_e32 v38, 28, v1
	v_cmp_gt_u32_e64 s[36:37], 16, v74
	scratch_store_dword off, v0, off offset:116 ; 4-byte Folded Spill
	v_lshlrev_b32_e32 v8, 4, v69
	v_mul_u32_u24_e32 v0, 0x90, v75
	v_lshlrev_b32_e32 v1, 2, v38
	v_writelane_b32 v126, s36, 53
	s_movk_i32 s34, 0x90
	v_add3_u32 v53, 0, v0, v1
	v_or_b32_e32 v0, v4, v8
	v_writelane_b32 v126, s37, 54
	v_mad_u32_u24 v10, v0, s34, 0
	v_or_b32_e32 v7, 4, v7
	v_lshlrev_b32_e32 v6, 1, v6
	v_readlane_b32 s35, v126, 10
	v_add_u32_e32 v1, 0, v5
	v_add_u32_e32 v119, v10, v7
	v_and_b32_e32 v7, 60, v6
	v_or_b32_e32 v11, 2, v6
	v_or_b32_e32 v6, 3, v6
	s_lshl_b32 s48, s35, 6
	s_ashr_i32 s81, s80, 31
	s_ashr_i32 s91, s90, 31
	s_ashr_i32 s95, s94, 31
	v_mad_u32_u24 v59, v4, s34, v1
	v_mul_u32_u24_e32 v7, 0x90, v7
	v_mul_u32_u24_e32 v11, 0x90, v11
	;; [unrolled: 1-line block ×3, first 2 shown]
	v_lshlrev_b32_e32 v4, 1, v4
	s_lshl_b64 s[36:37], s[48:49], 3
	v_add3_u32 v31, 0, v7, v4
	v_add3_u32 v37, 0, v11, v4
	v_add3_u32 v110, 0, v6, v4
	s_add_u32 s36, s78, s36
	v_or_b32_e32 v4, v8, v74
	v_mov_b32_e32 v33, 0
	s_addc_u32 s37, s79, s37
	v_lshlrev_b32_e32 v32, 3, v4
	v_lshl_add_u64 v[6:7], s[36:37], 0, v[32:33]
	s_lshl_b32 s35, s93, 5
	scratch_store_dwordx2 off, v[6:7], off offset:288 ; 8-byte Folded Spill
	v_writelane_b32 v126, s35, 55
	v_add_u32_e32 v5, v10, v5
	v_add_u32_e32 v95, 16, v67
	v_and_b32_e32 v7, 15, v67
	s_movk_i32 s35, 0x7f0
	v_add_u32_e32 v4, v8, v74
	scratch_store_dword off, v5, off offset:264 ; 4-byte Folded Spill
	v_add_u32_e32 v5, 56, v67
	v_and_or_b32 v8, v95, s35, v7
	v_lshlrev_b32_e32 v3, 2, v68
	scratch_store_dword off, v5, off offset:52 ; 4-byte Folded Spill
	v_mul_u32_u24_e32 v5, 0x90, v8
	v_mad_u32_u24 v8, v8, s34, 0
	v_mad_u32_u24 v11, v67, s34, 0
	scratch_store_dword off, v8, off offset:364 ; 4-byte Folded Spill
	v_add_u32_e32 v8, v8, v3
	v_bfe_u32 v9, v70, 2, 8
	v_add_u32_e32 v97, 32, v67
	scratch_store_dword off, v8, off offset:368 ; 4-byte Folded Spill
	v_add_u32_e32 v8, 0xd80, v11
	v_and_b32_e32 v77, 60, v9
	v_or_b32_e32 v86, 3, v9
	v_and_or_b32 v9, v97, s35, v7
	scratch_store_dword off, v8, off offset:372 ; 4-byte Folded Spill
	v_add_u32_e32 v8, v8, v3
	scratch_store_dword off, v8, off offset:376 ; 4-byte Folded Spill
	v_mad_u32_u24 v8, v9, s34, 0
	scratch_store_dword off, v8, off offset:384 ; 4-byte Folded Spill
	v_add_u32_e32 v8, v8, v3
	v_add_u32_e32 v78, 16, v77
	;; [unrolled: 1-line block ×5, first 2 shown]
	scratch_store_dword off, v8, off offset:388 ; 4-byte Folded Spill
	v_add_u32_e32 v8, 0x1680, v11
	v_mul_u32_u24_e32 v2, 0x90, v0
	v_lshl_add_u32 v0, v77, 1, v10
	v_lshl_add_u32 v55, v78, 1, v10
	;; [unrolled: 1-line block ×4, first 2 shown]
	v_and_or_b32 v10, v99, s35, v7
	v_add_u32_e32 v13, v11, v3
	scratch_store_dword off, v8, off offset:392 ; 4-byte Folded Spill
	v_add_u32_e32 v8, v8, v3
	scratch_store_dword off, v13, off offset:300 ; 4-byte Folded Spill
	;; [unrolled: 2-line block ×3, first 2 shown]
	v_mad_u32_u24 v8, v10, s34, 0
	scratch_store_dword off, v13, off offset:340 ; 4-byte Folded Spill
	v_add_u32_e32 v13, v13, v3
	scratch_store_dword off, v8, off offset:404 ; 4-byte Folded Spill
	v_add_u32_e32 v8, v8, v3
	scratch_store_dword off, v13, off offset:344 ; 4-byte Folded Spill
	scratch_store_dword off, v8, off offset:408 ; 4-byte Folded Spill
	;; [unrolled: 1-line block ×3, first 2 shown]
	v_add_u32_e32 v8, 0x1f80, v11
	v_readlane_b32 s34, v126, 7
	v_add_u32_e32 v112, 0, v3
	v_add_u32_e32 v3, v8, v3
	s_ashr_i32 s35, s34, 31
	s_abs_i32 s34, s34
	scratch_store_dword off, v3, off offset:416 ; 4-byte Folded Spill
	v_cvt_f32_u32_e32 v3, s34
	v_writelane_b32 v126, s35, 56
	v_writelane_b32 v126, s34, 57
	s_sub_i32 s34, 0, s34
	v_rcp_iflag_f32_e32 v3, v3
                                        ; implicit-def: $vgpr127 : SGPR spill to VGPR lane
	scratch_store_dword off, v8, off offset:412 ; 4-byte Folded Spill
	s_mov_b32 s36, s80
	v_mul_lo_u32 v18, s94, v75
	v_mul_f32_e32 v3, 0x4f7ffffe, v3
	v_cvt_u32_f32_e32 v3, v3
	v_ashrrev_i32_e32 v19, 31, v18
	v_lshl_add_u32 v20, s94, 5, v18
	s_mov_b64 s[38:39], s[54:55]
	v_readfirstlane_b32 s35, v3
	s_mul_i32 s34, s34, s35
	s_mul_hi_u32 s34, s35, s34
	s_add_i32 s34, s35, s34
	v_writelane_b32 v126, s34, 58
	v_ashrrev_i32_e32 v21, 31, v20
	v_readlane_b32 s34, v126, 6
	s_ashr_i32 s35, s34, 31
	s_abs_i32 s34, s34
	v_cvt_f32_u32_e32 v3, s34
	v_writelane_b32 v126, s35, 59
	v_writelane_b32 v126, s34, 60
	s_sub_i32 s34, 0, s34
	v_rcp_iflag_f32_e32 v3, v3
	v_mul_u32_u24_e32 v6, 0x90, v9
	v_mul_lo_u32 v14, s90, v75
	v_add_u32_e32 v1, v1, v2
	v_mul_f32_e32 v3, 0x4f7ffffe, v3
	v_cvt_u32_f32_e32 v3, v3
	v_ashrrev_i32_e32 v15, 31, v14
	scratch_store_dwordx2 off, v[18:19], off offset:32 ; 8-byte Folded Spill
	scratch_store_dwordx2 off, v[20:21], off offset:40 ; 8-byte Folded Spill
	v_readfirstlane_b32 s35, v3
	s_mul_i32 s34, s34, s35
	s_mul_hi_u32 s34, s35, s34
	s_add_i32 s34, s35, s34
	v_writelane_b32 v126, s34, 61
	v_mul_u32_u24_e32 v7, 0x90, v10
	v_readlane_b32 s34, v126, 3
	s_ashr_i32 s35, s34, 31
	s_abs_i32 s34, s34
	v_cvt_f32_u32_e32 v3, s34
	v_writelane_b32 v126, s35, 62
	v_writelane_b32 v126, s34, 63
	s_sub_i32 s34, 0, s34
	v_rcp_iflag_f32_e32 v3, v3
	v_lshl_add_u32 v16, s90, 5, v14
	v_mul_u32_u24_e32 v4, 0x90, v4
	s_mov_b64 s[42:43], src_private_base
	v_mul_f32_e32 v3, 0x4f7ffffe, v3
	v_cvt_u32_f32_e32 v3, v3
	v_ashrrev_i32_e32 v17, 31, v16
	s_movk_i32 s8, 0x100
	s_movk_i32 s10, 0xc0
	v_readfirstlane_b32 s35, v3
	s_mul_i32 s34, s34, s35
	s_mul_hi_u32 s34, s35, s34
	s_add_i32 s34, s35, s34
	v_writelane_b32 v127, s34, 0
	s_abs_i32 s34, s88
	v_cvt_f32_u32_e32 v3, s34
	v_writelane_b32 v127, s34, 1
	s_sub_i32 s34, 0, s34
	s_movk_i32 s18, 0x80
	v_rcp_iflag_f32_e32 v3, v3
	v_cmp_gt_u32_e64 s[0:1], 64, v74
	v_cmp_lt_u32_e64 s[86:87], 63, v74
	v_add_u32_e32 v56, 0x1440, v114
	v_mul_f32_e32 v3, 0x4f7ffffe, v3
	v_cvt_u32_f32_e32 v3, v3
	v_add_u32_e32 v58, 0x1680, v114
	v_add_u32_e32 v48, 0x18c0, v114
	;; [unrolled: 1-line block ×3, first 2 shown]
	v_mul_lo_u32 v8, s34, v3
	s_lshl_b64 s[34:35], s[80:81], 1
	v_writelane_b32 v127, s34, 2
	v_mul_hi_u32 v8, v3, v8
	v_add_u32_e32 v3, v3, v8
	v_writelane_b32 v127, s35, 3
	v_writelane_b32 v127, s36, 4
	v_lshl_add_u64 v[8:9], v[18:19], 2, s[68:69]
	scratch_store_dwordx2 off, v[8:9], off offset:304 ; 8-byte Folded Spill
	v_writelane_b32 v127, s37, 5
	v_writelane_b32 v127, s82, 6
	s_mov_b32 s37, s53
	v_writelane_b32 v127, s36, 7
	v_lshl_add_u64 v[8:9], v[20:21], 2, s[68:69]
	scratch_store_dword off, v3, off offset:124 ; 4-byte Folded Spill
	v_writelane_b32 v127, s37, 8
	scratch_store_dwordx2 off, v[8:9], off offset:312 ; 8-byte Folded Spill
	scratch_store_dwordx2 off, v[14:15], off offset:16 ; 8-byte Folded Spill
	scratch_store_dword off, v1, off offset:128 ; 4-byte Folded Spill
	v_add_u32_e32 v1, v112, v5
	v_writelane_b32 v127, s38, 9
	scratch_store_dword off, v1, off offset:352 ; 4-byte Folded Spill
	v_add_u32_e32 v1, v112, v6
	v_writelane_b32 v127, s39, 10
	;; [unrolled: 3-line block ×3, first 2 shown]
	v_and_b32_e32 v3, 7, v70
	v_lshl_add_u64 v[8:9], v[14:15], 2, s[66:67]
	scratch_store_dword off, v1, off offset:400 ; 4-byte Folded Spill
	v_add_u32_e32 v1, 0, v4
	v_writelane_b32 v127, s89, 12
	v_add_u32_e32 v117, 0x1d40, v114
	v_add_u32_e32 v121, 0x1f80, v114
	;; [unrolled: 1-line block ×3, first 2 shown]
	v_cmp_gt_u32_e64 s[4:5], 64, v75
	v_add_u32_e32 v76, 32, v75
	v_add_u32_e32 v57, 0x1200, v53
	v_cmp_gt_u32_e64 s[6:7], 32, v75
	v_add_u32_e32 v79, 18, v77
	v_add_u32_e32 v81, 34, v77
	;; [unrolled: 1-line block ×3, first 2 shown]
	v_cmp_gt_u32_e64 s[8:9], s8, v74
	v_cmp_gt_u32_e64 s[10:11], s10, v74
	;; [unrolled: 1-line block ×12, first 2 shown]
	v_or_b32_e32 v84, 1, v77
	v_or_b32_e32 v85, 2, v77
	v_add_u32_e32 v87, 17, v77
	v_add_u32_e32 v88, 19, v77
	;; [unrolled: 1-line block ×6, first 2 shown]
	v_mul_u32_u24_e32 v93, 0x90, v67
	v_add_u32_e32 v94, 8, v67
	v_add_u32_e32 v96, 24, v67
	v_add_u32_e32 v98, 40, v67
	v_mov_b32_e32 v35, v33
	v_lshlrev_b32_e32 v50, 4, v3
	v_mov_b32_e32 v51, v33
	s_lshl_b64 s[50:51], s[94:95], 8
	scratch_store_dwordx2 off, v[8:9], off offset:320 ; 8-byte Folded Spill
	s_lshl_b64 s[34:35], s[90:91], 8
	v_lshl_add_u64 v[8:9], v[16:17], 2, s[66:67]
	s_mov_b32 s41, 0x42b17218
	s_mov_b32 s98, 0x3fb8aa3b
	;; [unrolled: 1-line block ×5, first 2 shown]
	s_mov_b64 s[46:47], 0x80
	scratch_store_dword off, v1, off offset:336 ; 4-byte Folded Spill
	v_mov_b32_e32 v113, 0x7f800000
	v_mbcnt_hi_u32_b32 v1, -1, v12
	v_mov_b32_e32 v39, 0
	v_mov_b32_e32 v40, v33
	;; [unrolled: 1-line block ×5, first 2 shown]
	s_mov_b64 s[78:79], s[54:55]
	s_mov_b32 s77, s53
	v_writelane_b32 v127, s83, 13
	v_mov_b32_e32 v2, v74
	scratch_store_dwordx2 off, v[16:17], off offset:24 ; 8-byte Folded Spill
	scratch_store_dwordx2 off, v[8:9], off offset:328 ; 8-byte Folded Spill
                                        ; implicit-def: $vgpr3
	scratch_store_dword off, v1, off offset:48 ; 4-byte Folded Spill
	scratch_store_dword off, v70, off offset:140 ; 4-byte Folded Spill
	;; [unrolled: 1-line block ×5, first 2 shown]
	scratch_store_dwordx2 off, v[2:3], off offset:156 ; 8-byte Folded Spill
	scratch_store_dword off, v75, off offset:164 ; 4-byte Folded Spill
	scratch_store_dword off, v76, off offset:168 ; 4-byte Folded Spill
	;; [unrolled: 1-line block ×25, first 2 shown]
	s_branch .LBB0_13
.LBB0_12:                               ;   in Loop: Header=BB0_13 Depth=1
	s_or_b64 exec, exec, s[38:39]
	v_readlane_b32 s40, v126, 1
	s_add_i32 s36, s84, s40
	s_abs_i32 s38, s36
	s_mul_hi_u32 s39, s38, s83
	s_mul_i32 s39, s39, s33
	s_sub_i32 s38, s38, s39
	s_ashr_i32 s37, s36, 31
	s_sub_i32 s39, s38, s33
	s_cmp_ge_u32 s38, s33
	s_cselect_b32 s38, s39, s38
	s_sub_i32 s39, s38, s33
	s_cmp_ge_u32 s38, s33
	s_cselect_b32 s38, s39, s38
	s_xor_b32 s38, s38, s37
	s_sub_i32 s37, s37, s38
	s_add_i32 s84, s36, s37
	v_readlane_b32 s36, v126, 11
	s_sub_i32 s38, s36, s84
	s_min_i32 s44, s40, s38
	v_readlane_b32 s37, v126, 12
	s_cmp_gt_i32 s36, s84
	s_cselect_b64 s[36:37], -1, 0
	s_cmp_le_i32 s40, s38
	s_cselect_b64 s[38:39], -1, 0
	s_and_b64 s[38:39], s[38:39], s[36:37]
	s_mov_b32 s58, 0
	s_and_b64 vcc, exec, s[38:39]
	s_cbranch_vccz .LBB0_266
.LBB0_13:                               ; =>This Loop Header: Depth=1
                                        ;     Child Loop BB0_56 Depth 2
                                        ;     Child Loop BB0_187 Depth 2
	s_ashr_i32 s36, s84, 31
	v_readlane_b32 s37, v126, 56
	s_xor_b32 s36, s36, s37
	s_abs_i32 s37, s84
	v_readlane_b32 s38, v126, 58
	s_mul_hi_u32 s38, s37, s38
	v_readlane_b32 s45, v126, 57
	s_mul_i32 s39, s38, s45
	s_sub_i32 s37, s37, s39
	s_add_i32 s39, s38, 1
	s_sub_i32 s40, s37, s45
	s_cmp_ge_u32 s37, s45
	s_cselect_b32 s38, s39, s38
	s_cselect_b32 s37, s40, s37
	s_add_i32 s39, s38, 1
	s_cmp_ge_u32 s37, s45
	s_cselect_b32 s37, s39, s38
	s_xor_b32 s37, s37, s36
	s_sub_i32 s40, s37, s36
	v_readlane_b32 s36, v126, 44
	v_readlane_b32 s37, v126, 45
	s_andn2_b64 vcc, exec, s[36:37]
	s_ashr_i32 s54, s40, 31
	s_cbranch_vccnz .LBB0_15
; %bb.14:                               ;   in Loop: Header=BB0_13 Depth=1
	scratch_load_dword v1, off, off offset:124 ; 4-byte Folded Reload
	s_abs_i32 s36, s40
	v_readlane_b32 s37, v127, 1
	v_readlane_b32 s60, v126, 26
	;; [unrolled: 1-line block ×17, first 2 shown]
	s_waitcnt vmcnt(0)
	v_mul_hi_u32 v1, s36, v1
	v_mul_lo_u32 v1, v1, s37
	v_sub_u32_e32 v1, s36, v1
	v_subrev_u32_e32 v2, s37, v1
	v_cmp_le_u32_e32 vcc, s37, v1
	s_nop 1
	v_cndmask_b32_e32 v1, v1, v2, vcc
	v_subrev_u32_e32 v2, s37, v1
	v_cmp_le_u32_e32 vcc, s37, v1
	v_readlane_b32 s36, v126, 17
	v_readlane_b32 s37, v126, 18
	v_cndmask_b32_e32 v1, v1, v2, vcc
	v_xor_b32_e32 v1, s54, v1
	v_subrev_u32_e32 v1, s54, v1
	v_ashrrev_i32_e32 v2, 31, v1
	v_mul_lo_u32 v2, s36, v2
	v_mul_hi_u32 v3, s36, v1
	v_add_u32_e32 v2, v3, v2
	v_mul_lo_u32 v3, s37, v1
	v_add_u32_e32 v3, v2, v3
	v_mul_lo_u32 v2, s36, v1
	v_lshl_add_u64 v[62:63], s[66:67], 0, v[2:3]
	s_branch .LBB0_16
.LBB0_15:                               ;   in Loop: Header=BB0_13 Depth=1
	v_mov_b64_e32 v[62:63], 0
.LBB0_16:                               ;   in Loop: Header=BB0_13 Depth=1
	v_readlane_b32 s36, v126, 7
	s_mul_i32 s36, s40, s36
	s_sub_i32 s36, s84, s36
	s_ashr_i32 s37, s36, 31
	v_readlane_b32 s38, v126, 59
	s_xor_b32 s37, s37, s38
	s_abs_i32 s38, s36
	v_readlane_b32 s39, v126, 61
	s_mul_hi_u32 s39, s38, s39
	v_readlane_b32 s52, v126, 60
	s_mul_i32 s45, s39, s52
	s_sub_i32 s38, s38, s45
	s_add_i32 s45, s39, 1
	s_sub_i32 s48, s38, s52
	s_cmp_ge_u32 s38, s52
	s_cselect_b32 s39, s45, s39
	s_cselect_b32 s38, s48, s38
	s_add_i32 s45, s39, 1
	s_cmp_ge_u32 s38, s52
	s_cselect_b32 s38, s45, s39
	s_xor_b32 s38, s38, s37
	s_sub_i32 s55, s38, s37
	v_readlane_b32 s37, v126, 6
	s_mul_i32 s37, s55, s37
	s_sub_i32 s45, s36, s37
	s_ashr_i32 s36, s45, 31
	v_readlane_b32 s37, v126, 62
	s_xor_b32 s36, s36, s37
	s_abs_i32 s37, s45
	v_readlane_b32 s38, v127, 0
	s_mul_hi_u32 s38, s37, s38
	v_readlane_b32 s52, v126, 63
	s_mul_i32 s39, s38, s52
	s_sub_i32 s37, s37, s39
	s_add_i32 s39, s38, 1
	s_sub_i32 s48, s37, s52
	s_cmp_ge_u32 s37, s52
	s_cselect_b32 s38, s39, s38
	s_cselect_b32 s37, s48, s37
	s_add_i32 s39, s38, 1
	s_cmp_ge_u32 s37, s52
	s_cselect_b32 s37, s39, s38
	s_xor_b32 s37, s37, s36
	s_sub_i32 s48, s37, s36
	v_readlane_b32 s36, v126, 2
	s_mul_i32 s36, s55, s36
	s_add_i32 s52, s36, s48
	v_readlane_b32 s36, v126, 49
	v_readlane_b32 s37, v126, 50
	s_andn2_b64 vcc, exec, s[36:37]
	v_mov_b32_e32 v60, 1.0
	s_cbranch_vccnz .LBB0_18
; %bb.17:                               ;   in Loop: Header=BB0_13 Depth=1
	v_readlane_b32 s36, v126, 14
	v_mov_b32_e32 v2, s79
	v_mov_b32_e32 v3, s78
	;; [unrolled: 1-line block ×3, first 2 shown]
	v_sub_co_u32_e32 v1, vcc, s52, v1
	s_add_i32 s36, s52, 1
	v_lshlrev_b32_e32 v1, 1, v1
	v_cndmask_b32_e32 v2, v2, v3, vcc
	v_or_b32_e32 v1, 1, v1
	v_mov_b32_e32 v3, s36
	v_cndmask_b32_e32 v1, v1, v3, vcc
	v_cvt_f32_i32_e32 v1, v1
	v_cmp_neq_f32_e32 vcc, 1.0, v2
	s_mov_b32 s36, 0x3f2aaaab
	s_movk_i32 s38, 0x204
	v_cndmask_b32_e32 v1, 1.0, v1, vcc
	v_cmp_neq_f32_e32 vcc, 0, v1
	s_brev_b32 s53, -2
	s_nop 0
	v_cndmask_b32_e32 v18, 1.0, v2, vcc
	v_frexp_mant_f32_e64 v2, |v18|
	v_cmp_gt_f32_e32 vcc, s36, v2
	s_mov_b32 s36, 0x3f317218
	v_cmp_class_f32_e64 s[56:57], v18, s38
	v_cndmask_b32_e64 v3, 1.0, 2.0, vcc
	v_mul_f32_e32 v2, v2, v3
	v_add_f32_e32 v5, 1.0, v2
	v_rcp_f32_e32 v10, v5
	v_add_f32_e32 v3, -1.0, v5
	v_sub_f32_e32 v7, v2, v3
	v_add_f32_e32 v3, -1.0, v2
	v_mul_f32_e32 v11, v3, v10
	v_mul_f32_e32 v4, v5, v11
	v_fma_f32 v6, v11, v5, -v4
	v_fmac_f32_e32 v6, v11, v7
	v_add_f32_e32 v2, v4, v6
	v_sub_f32_e32 v5, v3, v2
	v_pk_add_f32 v[8:9], v[2:3], v[4:5] neg_lo:[0,1] neg_hi:[0,1]
	v_mov_b32_e32 v7, v2
	v_pk_add_f32 v[2:3], v[8:9], v[6:7] neg_lo:[0,1] neg_hi:[0,1]
	v_mov_b32_e32 v6, 0x3e91f4c4
	v_add_f32_e32 v2, v2, v3
	v_add_f32_e32 v2, v5, v2
	v_mul_f32_e32 v3, v10, v2
	v_add_f32_e32 v2, v11, v3
	v_sub_f32_e32 v4, v2, v11
	v_sub_f32_e32 v12, v3, v4
	v_mul_f32_e32 v3, v2, v2
	v_fma_f32 v5, v2, v2, -v3
	v_add_f32_e32 v4, v12, v12
	v_fmac_f32_e32 v5, v2, v4
	v_add_f32_e32 v4, v3, v5
	v_fmamk_f32 v6, v4, 0x3e76c4e1, v6
	v_fmaak_f32 v6, v4, v6, 0x3ecccdef
	v_sub_f32_e32 v3, v4, v3
	v_sub_f32_e32 v13, v5, v3
	v_mul_f32_e32 v3, v4, v6
	v_fma_f32 v5, v4, v6, -v3
	v_fmac_f32_e32 v5, v13, v6
	v_add_f32_e32 v6, v3, v5
	v_add_f32_e32 v7, 0x3f2aaaaa, v6
	v_sub_f32_e32 v3, v6, v3
	v_sub_f32_e32 v3, v5, v3
	v_add_f32_e32 v5, 0xbf2aaaaa, v7
	v_add_f32_e32 v3, 0x31739010, v3
	v_sub_f32_e32 v5, v6, v5
	v_pk_mul_f32 v[8:9], v[2:3], v[4:5]
	v_pk_add_f32 v[10:11], v[2:3], v[4:5]
	v_fma_f32 v6, v4, v2, -v8
	v_fmac_f32_e32 v6, v4, v12
	v_mov_b32_e32 v9, v11
	v_fmac_f32_e32 v6, v13, v2
	v_pk_add_f32 v[4:5], v[8:9], v[6:7]
	v_ldexp_f32 v14, v12, 1
	v_sub_f32_e32 v3, v4, v8
	v_sub_f32_e32 v3, v6, v3
	;; [unrolled: 1-line block ×3, first 2 shown]
	v_add_f32_e32 v10, v11, v6
	v_pk_mul_f32 v[6:7], v[4:5], v[4:5] op_sel:[0,1] op_sel_hi:[1,0]
	v_cvt_f64_f32_e64 v[8:9], |v18|
	v_frexp_exp_i32_f64_e32 v7, v[8:9]
	v_subbrev_co_u32_e32 v7, vcc, 0, v7, vcc
	v_cvt_f32_i32_e32 v7, v7
	v_fma_f32 v8, v4, v5, -v6
	v_fmac_f32_e32 v8, v4, v10
	v_fmac_f32_e32 v8, v3, v5
	v_mul_f32_e32 v4, 0x3f317218, v7
	v_fma_f32 v10, v7, s36, -v4
	v_fmac_f32_e32 v10, 0xb102e308, v7
	v_ldexp_f32 v11, v2, 1
	v_add_f32_e32 v5, v6, v8
	v_pk_add_f32 v[2:3], v[4:5], v[10:11]
	v_mov_b32_e32 v12, v5
	v_mov_b32_e32 v13, v3
	;; [unrolled: 1-line block ×3, first 2 shown]
	v_pk_add_f32 v[6:7], v[12:13], v[6:7] neg_lo:[0,1] neg_hi:[0,1]
	v_mov_b32_e32 v9, v5
	v_pk_add_f32 v[6:7], v[8:9], v[6:7] neg_lo:[0,1] neg_hi:[0,1]
	v_mov_b32_e32 v11, v2
	v_add_f32_e32 v5, v14, v6
	v_add_f32_e32 v5, v5, v7
	v_pk_add_f32 v[6:7], v[2:3], v[4:5] neg_lo:[0,1] neg_hi:[0,1]
	v_pk_add_f32 v[8:9], v[2:3], v[4:5]
	v_mov_b32_e32 v16, v3
	v_mov_b32_e32 v7, v9
	v_pk_add_f32 v[12:13], v[10:11], v[6:7] neg_lo:[0,1] neg_hi:[0,1]
	v_pk_add_f32 v[6:7], v[10:11], v[6:7]
	v_mov_b32_e32 v4, v5
	v_pk_add_f32 v[10:11], v[6:7], v[2:3] op_sel:[1,0] op_sel_hi:[0,1] neg_lo:[0,1] neg_hi:[0,1]
	v_pk_add_f32 v[14:15], v[8:9], v[10:11] op_sel_hi:[1,0] neg_lo:[0,1] neg_hi:[0,1]
	v_mov_b32_e32 v8, v9
	v_mov_b32_e32 v9, v7
	;; [unrolled: 1-line block ×3, first 2 shown]
	v_pk_add_f32 v[8:9], v[8:9], v[16:17] neg_lo:[0,1] neg_hi:[0,1]
	v_mov_b32_e32 v5, v2
	v_pk_add_f32 v[2:3], v[4:5], v[8:9] neg_lo:[0,1] neg_hi:[0,1]
	v_mov_b32_e32 v14, v12
	v_pk_add_f32 v[4:5], v[14:15], v[2:3]
	v_mov_b32_e32 v13, v7
	v_pk_add_f32 v[8:9], v[4:5], v[4:5] op_sel:[0,1] op_sel_hi:[1,0]
	s_mov_b32 s36, 0x7f800000
	v_pk_add_f32 v[6:7], v[6:7], v[8:9] op_sel:[1,0] op_sel_hi:[0,1]
	v_mov_b32_e32 v5, v6
	v_pk_add_f32 v[10:11], v[4:5], v[12:13] neg_lo:[0,1] neg_hi:[0,1]
	v_mov_b32_e32 v3, v8
	v_sub_f32_e32 v4, v4, v10
	v_pk_add_f32 v[2:3], v[2:3], v[10:11] neg_lo:[0,1] neg_hi:[0,1]
	v_sub_f32_e32 v4, v12, v4
	v_add_f32_e32 v2, v2, v4
	v_add_f32_e32 v2, v2, v3
	;; [unrolled: 1-line block ×3, first 2 shown]
	v_sub_f32_e32 v4, v3, v6
	v_sub_f32_e32 v2, v2, v4
	v_mul_f32_e32 v4, v1, v3
	v_fma_f32 v3, v1, v3, -v4
	v_fmac_f32_e32 v3, v1, v2
	v_add_f32_e32 v2, v4, v3
	v_cmp_class_f32_e64 vcc, v4, s38
	v_sub_f32_e32 v5, v2, v4
	v_sub_f32_e32 v3, v3, v5
	v_cndmask_b32_e32 v2, v2, v4, vcc
	v_cmp_eq_f32_e32 vcc, s41, v2
	v_mov_b32_e32 v4, 0x37000000
	s_nop 0
	v_cndmask_b32_e32 v4, 0, v4, vcc
	v_sub_f32_e32 v5, v2, v4
	v_mul_f32_e32 v6, 0x3fb8aa3b, v5
	v_fma_f32 v7, v5, s98, -v6
	v_rndne_f32_e32 v8, v6
	v_fmac_f32_e32 v7, 0x32a5705f, v5
	v_sub_f32_e32 v6, v6, v8
	v_add_f32_e32 v6, v6, v7
	v_exp_f32_e32 v6, v6
	v_cvt_i32_f32_e32 v7, v8
	v_cmp_neq_f32_e64 vcc, |v2|, s36
	s_nop 1
	v_cndmask_b32_e32 v2, 0, v3, vcc
	v_ldexp_f32 v3, v6, v7
	v_cmp_ngt_f32_e32 vcc, s93, v5
	v_add_f32_e32 v2, v4, v2
	s_nop 0
	v_cndmask_b32_e32 v3, 0, v3, vcc
	v_cmp_nlt_f32_e32 vcc, s41, v5
	s_nop 1
	v_cndmask_b32_e32 v3, v113, v3, vcc
	v_fma_f32 v2, v3, v2, v3
	v_cmp_class_f32_e64 vcc, v3, s38
	v_cmp_gt_f32_e64 s[38:39], 0, v1
	s_nop 0
	v_cndmask_b32_e32 v2, v2, v3, vcc
	v_trunc_f32_e32 v3, v1
	v_cmp_eq_f32_e32 vcc, v3, v1
	v_mul_f32_e32 v3, 0.5, v1
	v_trunc_f32_e32 v4, v3
	v_cmp_neq_f32_e64 s[36:37], v4, v3
	s_and_b64 s[36:37], vcc, s[36:37]
	v_mov_b32_e32 v4, 0x7fc00000
	v_cndmask_b32_e64 v3, 1.0, v18, s[36:37]
	v_bfi_b32 v2, s53, v2, v3
	v_cndmask_b32_e32 v3, v4, v2, vcc
	v_cmp_gt_f32_e32 vcc, 0, v18
	s_nop 1
	v_cndmask_b32_e32 v2, v2, v3, vcc
	v_cmp_eq_f32_e32 vcc, 0, v18
	s_xor_b64 s[38:39], s[38:39], vcc
	v_cndmask_b32_e64 v1, v113, 0, s[38:39]
	v_cndmask_b32_e64 v3, 0, v18, s[36:37]
	v_bfi_b32 v1, s53, v1, v3
	s_or_b64 vcc, vcc, s[56:57]
	v_cndmask_b32_e32 v1, v2, v1, vcc
	v_cmp_o_f32_e32 vcc, v18, v18
	s_nop 1
	v_cndmask_b32_e32 v60, v4, v1, vcc
.LBB0_18:                               ;   in Loop: Header=BB0_13 Depth=1
	v_readlane_b32 s36, v126, 3
	s_mul_i32 s48, s48, s36
	s_sub_i32 s36, s45, s48
	s_ashr_i32 s37, s36, 31
	v_readlane_b32 s38, v126, 25
	s_abs_i32 s36, s36
	s_xor_b32 s37, s37, s38
	s_mul_hi_u32 s38, s36, s83
	s_mul_i32 s39, s38, s33
	s_sub_i32 s36, s36, s39
	s_add_i32 s39, s38, 1
	s_sub_i32 s45, s36, s33
	s_cmp_ge_u32 s36, s33
	s_cselect_b32 s38, s39, s38
	s_cselect_b32 s36, s45, s36
	s_add_i32 s39, s38, 1
	s_cmp_ge_u32 s36, s33
	s_cselect_b32 s36, s39, s38
	v_readlane_b32 s38, v126, 51
	s_xor_b32 s36, s36, s37
	v_readlane_b32 s39, v126, 52
	s_andn2_b64 vcc, exec, s[38:39]
	s_sub_i32 s76, s36, s37
	s_cbranch_vccnz .LBB0_20
; %bb.19:                               ;   in Loop: Header=BB0_13 Depth=1
	v_readlane_b32 s36, v126, 0
	s_mul_i32 s36, s40, s36
	s_add_i32 s36, s76, s36
	s_ashr_i32 s37, s36, 31
	v_readlane_b32 s60, v126, 26
	s_lshl_b64 s[36:37], s[36:37], 2
	v_readlane_b32 s70, v126, 36
	v_readlane_b32 s71, v126, 37
	s_add_u32 s36, s70, s36
	s_addc_u32 s37, s71, s37
	global_load_dword v1, v33, s[36:37]
	v_readlane_b32 s61, v126, 27
	v_readlane_b32 s62, v126, 28
	;; [unrolled: 1-line block ×13, first 2 shown]
	s_waitcnt vmcnt(0)
	v_readfirstlane_b32 s36, v1
	s_ashr_i32 s37, s36, 31
	s_lshr_b32 s37, s37, 26
	s_add_i32 s36, s36, s37
	s_ashr_i32 s36, s36, 6
	s_min_i32 s44, s44, s36
	s_branch .LBB0_21
.LBB0_20:                               ;   in Loop: Header=BB0_13 Depth=1
	v_readlane_b32 s60, v126, 26
	v_readlane_b32 s61, v126, 27
	v_readlane_b32 s62, v126, 28
	v_readlane_b32 s63, v126, 29
	v_readlane_b32 s64, v126, 30
	v_readlane_b32 s65, v126, 31
	v_readlane_b32 s66, v126, 32
	v_readlane_b32 s67, v126, 33
	v_readlane_b32 s68, v126, 34
	v_readlane_b32 s69, v126, 35
	v_readlane_b32 s70, v126, 36
	v_readlane_b32 s71, v126, 37
	v_readlane_b32 s72, v126, 38
	v_readlane_b32 s73, v126, 39
	v_readlane_b32 s74, v126, 40
	v_readlane_b32 s75, v126, 41
.LBB0_21:                               ;   in Loop: Header=BB0_13 Depth=1
	v_readlane_b32 s36, v126, 46
	s_mul_i32 s36, s36, s40
	s_add_i32 s36, s52, s36
	s_lshl_b32 s48, s36, 5
	s_lshl_b64 s[36:37], s[48:49], 3
	s_add_u32 s72, s72, s36
	v_readlane_b32 s38, v126, 15
	s_addc_u32 s73, s73, s37
	v_readlane_b32 s39, v126, 16
	s_mul_i32 s36, s38, s54
	s_mul_hi_u32 s37, s38, s40
	s_add_i32 s36, s37, s36
	s_mul_i32 s37, s39, s40
	s_add_i32 s37, s36, s37
	s_mul_i32 s36, s38, s40
	v_writelane_b32 v127, s36, 14
	s_add_u32 s36, s64, s36
	v_writelane_b32 v127, s37, 15
	s_addc_u32 s37, s65, s37
	v_readlane_b32 s64, v126, 21
	v_readlane_b32 s67, v126, 24
	s_mul_i32 s38, s55, s67
	s_ashr_i32 s39, s38, 31
	s_add_u32 s45, s36, s38
	v_writelane_b32 v127, s38, 16
	s_addc_u32 s38, s37, s39
	s_ashr_i32 s53, s52, 31
	s_lshl_b64 s[36:37], s[52:53], 2
	v_writelane_b32 v127, s39, 17
	s_add_u32 s39, s68, s36
	v_readlane_b32 s65, v126, 22
	s_addc_u32 s48, s69, s37
	v_readlane_b32 s36, v126, 47
	s_mov_b64 s[56:57], s[64:65]
	v_readlane_b32 s37, v126, 48
	v_readlane_b32 s64, v126, 8
	s_and_b64 s[36:37], s[36:37], exec
	v_readlane_b32 s65, v126, 9
	s_mul_i32 s36, s40, s65
	s_cselect_b32 s75, 0, s48
	s_cselect_b32 s74, 0, s39
	s_ashr_i32 s37, s36, 31
	s_add_u32 s36, s60, s36
	s_mul_i32 s39, s52, s64
	s_addc_u32 s37, s61, s37
	s_ashr_i32 s48, s39, 31
	s_add_u32 s96, s36, s39
	s_addc_u32 s97, s37, s48
	s_mul_i32 s36, s56, s54
	s_mul_hi_u32 s37, s56, s40
	s_add_i32 s36, s37, s36
	s_mul_i32 s37, s57, s40
	v_readlane_b32 s52, v126, 19
	s_add_i32 s37, s36, s37
	s_mul_i32 s36, s56, s40
	v_readlane_b32 s53, v126, 20
	v_writelane_b32 v127, s36, 18
	s_add_u32 s36, s62, s36
	s_mul_i32 s48, s55, s53
	v_writelane_b32 v127, s37, 19
	s_addc_u32 s37, s63, s37
	s_ashr_i32 s40, s48, 31
	v_writelane_b32 v127, s40, 20
	v_writelane_b32 v127, s84, 21
	s_add_u32 s39, s36, s48
	s_addc_u32 s40, s37, s40
	v_writelane_b32 v127, s85, 22
	v_writelane_b32 v127, s72, 23
	s_cmp_lg_u32 s58, 0
	v_readlane_b32 s66, v126, 23
	v_writelane_b32 v127, s73, 24
	s_cbranch_scc0 .LBB0_70
; %bb.22:                               ;   in Loop: Header=BB0_13 Depth=1
	s_lshl_b32 s59, s76, 6
	v_add_u32_e32 v108, s59, v67
	v_cmp_gt_i32_e64 s[36:37], s92, v108
	v_cmp_le_i32_e32 vcc, s92, v108
	s_nop 0
	v_writelane_b32 v127, s36, 27
	s_nop 1
	v_writelane_b32 v127, s37, 28
	s_and_saveexec_b64 s[36:37], vcc
	s_xor_b64 s[36:37], exec, s[36:37]
; %bb.23:                               ;   in Loop: Header=BB0_13 Depth=1
	v_add_u32_e32 v1, v112, v93
	ds_write_b32 v1, v33
; %bb.24:                               ;   in Loop: Header=BB0_13 Depth=1
	s_andn2_saveexec_b64 s[36:37], s[36:37]
	s_cbranch_execz .LBB0_26
; %bb.25:                               ;   in Loop: Header=BB0_13 Depth=1
	v_mad_u64_u32 v[2:3], s[52:53], v108, s82, v[68:69]
	v_ashrrev_i32_e32 v3, 31, v2
	v_lshl_add_u64 v[2:3], v[2:3], 3, s[96:97]
	global_load_dwordx2 v[2:3], v[2:3], off
	s_waitcnt vmcnt(0)
	v_cvt_pk_f16_f32 v1, v2, v3
	v_pk_mul_f16 v1, v1, v72
	v_add_u32_e32 v2, v112, v93
	ds_write_b32 v2, v1
.LBB0_26:                               ;   in Loop: Header=BB0_13 Depth=1
	s_or_b64 exec, exec, s[36:37]
	v_add_u32_e32 v107, s59, v94
	v_cmp_gt_i32_e64 s[36:37], s92, v107
	v_cmp_le_i32_e32 vcc, s92, v107
	s_nop 0
	v_writelane_b32 v127, s36, 29
	s_nop 1
	v_writelane_b32 v127, s37, 30
	s_and_saveexec_b64 s[36:37], vcc
	s_xor_b64 s[36:37], exec, s[36:37]
; %bb.27:                               ;   in Loop: Header=BB0_13 Depth=1
	v_add_u32_e32 v1, v112, v93
	ds_write_b32 v1, v33 offset:1152
; %bb.28:                               ;   in Loop: Header=BB0_13 Depth=1
	s_andn2_saveexec_b64 s[36:37], s[36:37]
	s_cbranch_execz .LBB0_30
; %bb.29:                               ;   in Loop: Header=BB0_13 Depth=1
	v_mad_u64_u32 v[2:3], s[52:53], v107, s82, v[68:69]
	v_ashrrev_i32_e32 v3, 31, v2
	v_lshl_add_u64 v[2:3], v[2:3], 3, s[96:97]
	global_load_dwordx2 v[2:3], v[2:3], off
	s_waitcnt vmcnt(0)
	v_cvt_pk_f16_f32 v1, v2, v3
	v_pk_mul_f16 v1, v1, v72
	v_add_u32_e32 v2, v112, v93
	ds_write_b32 v2, v1 offset:1152
.LBB0_30:                               ;   in Loop: Header=BB0_13 Depth=1
	s_or_b64 exec, exec, s[36:37]
	v_add_u32_e32 v1, s59, v95
	v_cmp_gt_i32_e64 s[36:37], s92, v1
	v_cmp_le_i32_e32 vcc, s92, v1
	scratch_store_dword off, v1, off offset:56 ; 4-byte Folded Spill
	v_writelane_b32 v127, s36, 31
	s_nop 1
	v_writelane_b32 v127, s37, 32
	s_and_saveexec_b64 s[36:37], vcc
	s_xor_b64 s[36:37], exec, s[36:37]
; %bb.31:                               ;   in Loop: Header=BB0_13 Depth=1
	v_add_u32_e32 v1, v112, v93
	ds_write_b32 v1, v33 offset:2304
; %bb.32:                               ;   in Loop: Header=BB0_13 Depth=1
	s_andn2_saveexec_b64 s[36:37], s[36:37]
	s_cbranch_execz .LBB0_34
; %bb.33:                               ;   in Loop: Header=BB0_13 Depth=1
	scratch_load_dword v1, off, off offset:56 ; 4-byte Folded Reload
	s_waitcnt vmcnt(0)
	v_mad_u64_u32 v[2:3], s[52:53], v1, s82, v[68:69]
	v_ashrrev_i32_e32 v3, 31, v2
	v_lshl_add_u64 v[2:3], v[2:3], 3, s[96:97]
	global_load_dwordx2 v[2:3], v[2:3], off
	s_waitcnt vmcnt(0)
	v_cvt_pk_f16_f32 v1, v2, v3
	v_pk_mul_f16 v1, v1, v72
	v_add_u32_e32 v2, v112, v93
	ds_write_b32 v2, v1 offset:2304
.LBB0_34:                               ;   in Loop: Header=BB0_13 Depth=1
	s_or_b64 exec, exec, s[36:37]
	v_add_u32_e32 v111, s59, v96
	v_cmp_gt_i32_e64 s[36:37], s92, v111
	v_cmp_le_i32_e32 vcc, s92, v111
	s_nop 0
	v_writelane_b32 v127, s36, 33
	s_nop 1
	v_writelane_b32 v127, s37, 34
	s_and_saveexec_b64 s[36:37], vcc
	s_xor_b64 s[36:37], exec, s[36:37]
; %bb.35:                               ;   in Loop: Header=BB0_13 Depth=1
	v_add_u32_e32 v1, v112, v93
	ds_write_b32 v1, v33 offset:3456
; %bb.36:                               ;   in Loop: Header=BB0_13 Depth=1
	s_andn2_saveexec_b64 s[36:37], s[36:37]
	s_cbranch_execz .LBB0_38
; %bb.37:                               ;   in Loop: Header=BB0_13 Depth=1
	v_mad_u64_u32 v[2:3], s[52:53], v111, s82, v[68:69]
	v_ashrrev_i32_e32 v3, 31, v2
	v_lshl_add_u64 v[2:3], v[2:3], 3, s[96:97]
	global_load_dwordx2 v[2:3], v[2:3], off
	s_waitcnt vmcnt(0)
	v_cvt_pk_f16_f32 v1, v2, v3
	v_pk_mul_f16 v1, v1, v72
	v_add_u32_e32 v2, v112, v93
	ds_write_b32 v2, v1 offset:3456
.LBB0_38:                               ;   in Loop: Header=BB0_13 Depth=1
	s_or_b64 exec, exec, s[36:37]
	v_add_u32_e32 v109, s59, v97
	v_cmp_gt_i32_e64 s[36:37], s92, v109
	v_cmp_le_i32_e32 vcc, s92, v109
	s_nop 0
	v_writelane_b32 v127, s36, 35
	s_nop 1
	v_writelane_b32 v127, s37, 36
	s_and_saveexec_b64 s[36:37], vcc
	s_xor_b64 s[36:37], exec, s[36:37]
; %bb.39:                               ;   in Loop: Header=BB0_13 Depth=1
	v_add_u32_e32 v1, v112, v93
	ds_write_b32 v1, v33 offset:4608
; %bb.40:                               ;   in Loop: Header=BB0_13 Depth=1
	s_andn2_saveexec_b64 s[36:37], s[36:37]
	s_cbranch_execz .LBB0_42
; %bb.41:                               ;   in Loop: Header=BB0_13 Depth=1
	v_mad_u64_u32 v[2:3], s[52:53], v109, s82, v[68:69]
	v_ashrrev_i32_e32 v3, 31, v2
	v_lshl_add_u64 v[2:3], v[2:3], 3, s[96:97]
	global_load_dwordx2 v[2:3], v[2:3], off
	s_waitcnt vmcnt(0)
	v_cvt_pk_f16_f32 v1, v2, v3
	v_pk_mul_f16 v1, v1, v72
	v_add_u32_e32 v2, v112, v93
	ds_write_b32 v2, v1 offset:4608
.LBB0_42:                               ;   in Loop: Header=BB0_13 Depth=1
	;; [unrolled: 27-line block ×4, first 2 shown]
	s_or_b64 exec, exec, s[36:37]
	scratch_load_dword v1, off, off offset:52 ; 4-byte Folded Reload
	s_waitcnt vmcnt(0)
	v_add_u32_e32 v54, s59, v1
	v_cmp_gt_i32_e64 s[36:37], s92, v54
	v_cmp_le_i32_e32 vcc, s92, v54
	s_nop 0
	v_writelane_b32 v127, s36, 41
	s_nop 1
	v_writelane_b32 v127, s37, 42
	s_and_saveexec_b64 s[36:37], vcc
	s_xor_b64 s[36:37], exec, s[36:37]
; %bb.51:                               ;   in Loop: Header=BB0_13 Depth=1
	v_add_u32_e32 v1, v112, v93
	ds_write_b32 v1, v33 offset:8064
; %bb.52:                               ;   in Loop: Header=BB0_13 Depth=1
	s_andn2_saveexec_b64 s[36:37], s[36:37]
	s_cbranch_execz .LBB0_54
; %bb.53:                               ;   in Loop: Header=BB0_13 Depth=1
	v_mad_u64_u32 v[2:3], s[52:53], v54, s82, v[68:69]
	v_ashrrev_i32_e32 v3, 31, v2
	v_lshl_add_u64 v[2:3], v[2:3], 3, s[96:97]
	global_load_dwordx2 v[2:3], v[2:3], off
	s_waitcnt vmcnt(0)
	v_cvt_pk_f16_f32 v1, v2, v3
	v_pk_mul_f16 v1, v1, v72
	v_add_u32_e32 v2, v112, v93
	ds_write_b32 v2, v1 offset:8064
.LBB0_54:                               ;   in Loop: Header=BB0_13 Depth=1
	s_or_b64 exec, exec, s[36:37]
	s_waitcnt lgkmcnt(0)
	s_barrier
	ds_read2_b64 v[6:9], v73 offset1:4
	ds_read2_b64 v[2:5], v73 offset0:8 offset1:12
	s_add_i32 s60, s44, -1
	s_cmp_ge_i32 s58, s60
	s_waitcnt lgkmcnt(0)
	s_barrier
	s_cbranch_scc1 .LBB0_72
; %bb.55:                               ;   in Loop: Header=BB0_13 Depth=1
	v_add_u32_e32 v1, s59, v69
	v_mul_hi_u32 v10, s2, v1
	v_add_u32_e32 v10, v1, v10
	v_lshrrev_b32_e32 v10, s3, v10
	v_mul_lo_u32 v10, v10, s92
	scratch_store_dword off, v111, off offset:136 ; 4-byte Folded Spill
	scratch_store_dword off, v109, off offset:132 ; 4-byte Folded Spill
	v_sub_u32_e32 v1, v1, v10
	v_mad_i64_i32 v[66:67], s[36:37], v1, s80, 0
	scratch_load_dword v1, off, off offset:60 ; 4-byte Folded Reload
	scratch_load_dword v11, off, off offset:48 ; 4-byte Folded Reload
	v_lshlrev_b32_e32 v32, 1, v74
	v_mov_b32_e32 v111, v54
	v_cmp_ne_u64_e64 s[52:53], 0, v[62:63]
	v_lshl_add_u64 v[64:65], v[62:63], 0, v[32:33]
	v_mov_b32_e32 v98, v60
	v_mov_b32_e32 v99, v60
	;; [unrolled: 1-line block ×12, first 2 shown]
	s_waitcnt vmcnt(1)
	v_add_u32_e32 v1, s59, v1
	v_mul_hi_u32 v10, s2, v1
	v_add_u32_e32 v10, v1, v10
	v_lshrrev_b32_e32 v10, s3, v10
	v_mul_lo_u32 v10, v10, s92
	v_sub_u32_e32 v1, v1, v10
	v_mad_i64_i32 v[68:69], s[36:37], v1, s80, 0
	scratch_load_dword v1, off, off offset:64 ; 4-byte Folded Reload
	s_waitcnt vmcnt(0)
	v_add_u32_e32 v1, s59, v1
	v_mul_hi_u32 v10, s2, v1
	v_add_u32_e32 v10, v1, v10
	v_lshrrev_b32_e32 v10, s3, v10
	v_mul_lo_u32 v10, v10, s92
	v_sub_u32_e32 v1, v1, v10
	v_mad_i64_i32 v[70:71], s[36:37], v1, s80, 0
	scratch_load_dword v1, off, off offset:68 ; 4-byte Folded Reload
	;; [unrolled: 9-line block ×14, first 2 shown]
	s_waitcnt vmcnt(0)
	v_add_u32_e32 v1, s59, v1
	v_mul_hi_u32 v10, s2, v1
	v_add_u32_e32 v10, v1, v10
	v_lshrrev_b32_e32 v10, s3, v10
	v_mul_lo_u32 v10, v10, s92
	v_sub_u32_e32 v1, v1, v10
	v_mad_i64_i32 v[96:97], s[36:37], v1, s80, 0
	v_and_b32_e32 v1, 64, v11
	v_add_u32_e32 v1, 64, v1
	v_xor_b32_e32 v10, 32, v11
	v_cmp_lt_i32_e32 vcc, v10, v1
	s_lshl_b32 s36, s58, 6
	s_nop 0
	v_cndmask_b32_e32 v10, v11, v10, vcc
	v_lshlrev_b32_e32 v49, 2, v10
	v_xor_b32_e32 v10, 16, v11
	v_cmp_lt_i32_e32 vcc, v10, v1
	s_nop 1
	v_cndmask_b32_e32 v1, v11, v10, vcc
	v_lshlrev_b32_e32 v109, 2, v1
.LBB0_56:                               ;   Parent Loop BB0_13 Depth=1
                                        ; =>  This Inner Loop Header: Depth=2
	v_cndmask_b32_e64 v1, 0, 1, s[52:53]
	v_cmp_ne_u32_e64 s[54:55], 1, v1
	s_andn2_b64 vcc, exec, s[52:53]
	s_ashr_i32 s37, s36, 31
	s_cbranch_vccnz .LBB0_66
; %bb.57:                               ;   in Loop: Header=BB0_56 Depth=2
	s_and_saveexec_b64 s[56:57], s[86:87]
	s_xor_b64 s[56:57], exec, s[56:57]
	s_cbranch_execz .LBB0_59
; %bb.58:                               ;   in Loop: Header=BB0_56 Depth=2
	v_add_u32_e32 v1, 0x240, v114
	ds_write_b16 v1, v33 offset:9216
	v_add_u32_e32 v1, 0x480, v114
	ds_write_b16 v1, v33 offset:9216
	;; [unrolled: 2-line block ×3, first 2 shown]
	ds_write_b16 v1, v33 offset:9216
.LBB0_59:                               ;   in Loop: Header=BB0_56 Depth=2
	s_or_saveexec_b64 s[56:57], s[56:57]
	v_lshl_add_u64 v[10:11], s[36:37], 1, v[64:65]
	v_mov_b32_e32 v1, 0
	v_mov_b32_e32 v12, 0
	;; [unrolled: 1-line block ×4, first 2 shown]
	s_xor_b64 exec, exec, s[56:57]
	s_cbranch_execz .LBB0_61
; %bb.60:                               ;   in Loop: Header=BB0_56 Depth=2
	v_lshl_add_u64 v[12:13], v[66:67], 1, v[10:11]
	global_load_ushort v1, v[12:13], off
	v_lshl_add_u64 v[12:13], v[68:69], 1, v[10:11]
	global_load_ushort v14, v[12:13], off
	;; [unrolled: 2-line block ×4, first 2 shown]
	s_waitcnt vmcnt(3)
	ds_write_b16 v114, v1 offset:9216
	v_add_u32_e32 v1, 0x240, v114
	s_waitcnt vmcnt(2)
	ds_write_b16 v1, v14 offset:9216
	v_add_u32_e32 v1, 0x480, v114
	;; [unrolled: 3-line block ×3, first 2 shown]
	s_waitcnt vmcnt(0)
	ds_write_b16 v1, v12 offset:9216
	v_lshl_add_u64 v[12:13], v[74:75], 1, v[10:11]
	global_load_ushort v1, v[12:13], off
	v_lshl_add_u64 v[12:13], v[76:77], 1, v[10:11]
	v_lshl_add_u64 v[14:15], v[78:79], 1, v[10:11]
	global_load_ushort v12, v[12:13], off
	s_nop 0
	global_load_ushort v13, v[14:15], off
	v_lshl_add_u64 v[14:15], v[80:81], 1, v[10:11]
	global_load_ushort v14, v[14:15], off
.LBB0_61:                               ;   in Loop: Header=BB0_56 Depth=2
	s_or_b64 exec, exec, s[56:57]
	v_add_u32_e32 v15, 0x900, v114
	s_waitcnt vmcnt(3)
	ds_write_b16 v15, v1 offset:9216
	v_add_u32_e32 v1, 0xb40, v114
	s_waitcnt vmcnt(2)
	ds_write_b16 v1, v12 offset:9216
	;; [unrolled: 3-line block ×4, first 2 shown]
	s_and_saveexec_b64 s[56:57], s[86:87]
	s_xor_b64 s[56:57], exec, s[56:57]
	s_cbranch_execz .LBB0_63
; %bb.62:                               ;   in Loop: Header=BB0_56 Depth=2
	v_add_u32_e32 v1, 0x1200, v114
	ds_write_b16 v1, v33 offset:9216
	ds_write_b16 v56, v33 offset:9216
	;; [unrolled: 1-line block ×4, first 2 shown]
                                        ; implicit-def: $vgpr10_vgpr11
.LBB0_63:                               ;   in Loop: Header=BB0_56 Depth=2
	s_or_saveexec_b64 s[56:57], s[56:57]
	v_mov_b32_e32 v1, 0
	v_mov_b32_e32 v12, 0
	;; [unrolled: 1-line block ×4, first 2 shown]
	s_xor_b64 exec, exec, s[56:57]
	s_cbranch_execz .LBB0_65
; %bb.64:                               ;   in Loop: Header=BB0_56 Depth=2
	v_lshl_add_u64 v[12:13], v[82:83], 1, v[10:11]
	global_load_ushort v1, v[12:13], off
	v_lshl_add_u64 v[12:13], v[84:85], 1, v[10:11]
	global_load_ushort v14, v[12:13], off
	;; [unrolled: 2-line block ×4, first 2 shown]
	v_add_u32_e32 v13, 0x1200, v114
	s_waitcnt vmcnt(3)
	ds_write_b16 v13, v1 offset:9216
	s_waitcnt vmcnt(2)
	ds_write_b16 v56, v14 offset:9216
	;; [unrolled: 2-line block ×4, first 2 shown]
	v_lshl_add_u64 v[12:13], v[90:91], 1, v[10:11]
	global_load_ushort v1, v[12:13], off
	v_lshl_add_u64 v[12:13], v[92:93], 1, v[10:11]
	v_lshl_add_u64 v[14:15], v[94:95], 1, v[10:11]
	;; [unrolled: 1-line block ×3, first 2 shown]
	global_load_ushort v12, v[12:13], off
	s_nop 0
	global_load_ushort v13, v[14:15], off
	s_nop 0
	global_load_ushort v14, v[10:11], off
.LBB0_65:                               ;   in Loop: Header=BB0_56 Depth=2
	s_or_b64 exec, exec, s[56:57]
	s_waitcnt vmcnt(3)
	ds_write_b16 v115, v1 offset:9216
	s_waitcnt vmcnt(2)
	ds_write_b16 v117, v12 offset:9216
	;; [unrolled: 2-line block ×4, first 2 shown]
.LBB0_66:                               ;   in Loop: Header=BB0_56 Depth=2
	scratch_load_dwordx2 v[10:11], off, off offset:16 ; 8-byte Folded Reload
	scratch_load_dwordx2 v[12:13], off, off offset:24 ; 8-byte Folded Reload
	s_mul_hi_i32 s57, s36, s90
	s_mul_i32 s56, s36, s90
	s_lshl_b64 s[56:57], s[56:57], 2
	s_add_u32 s56, s39, s56
	s_addc_u32 s57, s40, s57
	v_lshlrev_b32_e32 v32, 2, v38
	v_mov_b32_e32 v1, s43
	scratch_store_dwordx4 off, v[40:43], off
	s_and_b64 vcc, exec, s[54:55]
	s_waitcnt vmcnt(2)
	v_lshl_add_u64 v[10:11], v[10:11], 2, s[56:57]
	v_lshl_add_u64 v[10:11], v[10:11], 0, v[32:33]
	s_waitcnt vmcnt(1)
	v_lshl_add_u64 v[12:13], v[12:13], 2, s[56:57]
	v_cndmask_b32_e64 v11, v1, v11, s[4:5]
	v_cndmask_b32_e64 v10, v39, v10, s[4:5]
	v_lshl_add_u64 v[12:13], v[12:13], 0, v[32:33]
	v_cndmask_b32_e64 v15, v1, v13, s[6:7]
	v_cndmask_b32_e64 v14, v39, v12, s[6:7]
	flat_load_dwordx4 v[10:13], v[10:11]
	v_add_u32_e32 v1, 0x800, v59
	s_waitcnt vmcnt(0) lgkmcnt(0)
	ds_write_b128 v53, v[10:13]
	flat_load_dwordx4 v[10:13], v[14:15]
	s_waitcnt vmcnt(0) lgkmcnt(0)
	ds_write_b128 v57, v[10:13]
	s_waitcnt lgkmcnt(0)
	s_barrier
	ds_read2_b64 v[10:13], v59 offset1:4
	s_waitcnt lgkmcnt(0)
	v_mfma_f32_16x16x16_f16 v[14:17], v[10:11], v[6:7], 0
	v_mfma_f32_16x16x16_f16 v[10:13], v[12:13], v[8:9], v[14:17]
	s_nop 6
	ds_read2_b64 v[14:17], v59 offset0:8 offset1:12
	s_waitcnt lgkmcnt(0)
	v_mfma_f32_16x16x16_f16 v[10:13], v[14:15], v[2:3], v[10:13]
	v_mfma_f32_16x16x16_f16 v[10:13], v[16:17], v[4:5], v[10:13]
	ds_read2_b64 v[14:17], v1 offset0:32 offset1:36
	s_waitcnt lgkmcnt(0)
	v_mfma_f32_16x16x16_f16 v[18:21], v[14:15], v[6:7], 0
	v_mfma_f32_16x16x16_f16 v[14:17], v[16:17], v[8:9], v[18:21]
	s_nop 6
	ds_read2_b64 v[18:21], v1 offset0:40 offset1:44
	s_waitcnt lgkmcnt(0)
	v_mfma_f32_16x16x16_f16 v[14:17], v[18:19], v[2:3], v[14:17]
	v_add_u32_e32 v1, 0x1000, v59
	v_mfma_f32_16x16x16_f16 v[14:17], v[20:21], v[4:5], v[14:17]
	ds_read2_b64 v[18:21], v1 offset0:64 offset1:68
	s_waitcnt lgkmcnt(0)
	v_mfma_f32_16x16x16_f16 v[22:25], v[18:19], v[6:7], 0
	v_mfma_f32_16x16x16_f16 v[18:21], v[20:21], v[8:9], v[22:25]
	s_nop 6
	ds_read2_b64 v[22:25], v1 offset0:72 offset1:76
	s_waitcnt lgkmcnt(0)
	v_mfma_f32_16x16x16_f16 v[18:21], v[22:23], v[2:3], v[18:21]
	v_add_u32_e32 v1, 0x1800, v59
	v_mfma_f32_16x16x16_f16 v[18:21], v[24:25], v[4:5], v[18:21]
	ds_read2_b64 v[22:25], v1 offset0:96 offset1:100
	s_waitcnt lgkmcnt(0)
	v_mfma_f32_16x16x16_f16 v[44:47], v[22:23], v[6:7], 0
	v_mfma_f32_16x16x16_f16 v[22:25], v[24:25], v[8:9], v[44:47]
	s_nop 6
	ds_read2_b64 v[44:47], v1 offset0:104 offset1:108
	s_waitcnt lgkmcnt(0)
	v_mfma_f32_16x16x16_f16 v[22:25], v[44:45], v[2:3], v[22:25]
	s_barrier
	v_mfma_f32_16x16x16_f16 v[22:25], v[46:47], v[4:5], v[22:25]
	s_cbranch_vccnz .LBB0_68
; %bb.67:                               ;   in Loop: Header=BB0_56 Depth=2
	ds_read_b32 v1, v0 offset:9216
	v_mov_b32_e32 v61, v60
	s_waitcnt lgkmcnt(0)
	v_cvt_f32_f16_sdwa v45, v1 dst_sel:DWORD dst_unused:UNUSED_PAD src0_sel:WORD_1
	v_cvt_f32_f16_e32 v44, v1
	ds_read_b32 v1, v119 offset:9216
	v_pk_fma_f32 v[10:11], v[98:99], v[44:45], v[10:11]
	s_waitcnt lgkmcnt(0)
	v_cvt_f32_f16_sdwa v47, v1 dst_sel:DWORD dst_unused:UNUSED_PAD src0_sel:WORD_1
	v_cvt_f32_f16_e32 v46, v1
	v_add_u32_e32 v1, 0x2400, v55
	ds_read2_b32 v[44:45], v1 offset1:1
	v_add_u32_e32 v1, 0x2400, v123
	v_pk_fma_f32 v[12:13], v[60:61], v[46:47], v[12:13]
	s_waitcnt lgkmcnt(0)
	v_cvt_f32_f16_e32 v46, v44
	v_cvt_f32_f16_sdwa v47, v44 dst_sel:DWORD dst_unused:UNUSED_PAD src0_sel:WORD_1
	v_cvt_f32_f16_e32 v44, v45
	v_cvt_f32_f16_sdwa v45, v45 dst_sel:DWORD dst_unused:UNUSED_PAD src0_sel:WORD_1
	v_pk_fma_f32 v[14:15], v[98:99], v[46:47], v[14:15]
	v_pk_fma_f32 v[16:17], v[60:61], v[44:45], v[16:17]
	ds_read2_b32 v[44:45], v1 offset1:1
	v_add_u32_e32 v1, 0x2400, v30
	s_waitcnt lgkmcnt(0)
	v_cvt_f32_f16_e32 v46, v44
	v_cvt_f32_f16_sdwa v47, v44 dst_sel:DWORD dst_unused:UNUSED_PAD src0_sel:WORD_1
	v_cvt_f32_f16_e32 v44, v45
	v_cvt_f32_f16_sdwa v45, v45 dst_sel:DWORD dst_unused:UNUSED_PAD src0_sel:WORD_1
	v_pk_fma_f32 v[18:19], v[98:99], v[46:47], v[18:19]
	v_pk_fma_f32 v[20:21], v[60:61], v[44:45], v[20:21]
	ds_read2_b32 v[44:45], v1 offset1:1
	s_waitcnt lgkmcnt(0)
	v_cvt_f32_f16_e32 v46, v44
	v_cvt_f32_f16_sdwa v47, v44 dst_sel:DWORD dst_unused:UNUSED_PAD src0_sel:WORD_1
	v_cvt_f32_f16_e32 v44, v45
	v_cvt_f32_f16_sdwa v45, v45 dst_sel:DWORD dst_unused:UNUSED_PAD src0_sel:WORD_1
	v_pk_fma_f32 v[22:23], v[98:99], v[46:47], v[22:23]
	v_pk_fma_f32 v[24:25], v[60:61], v[44:45], v[24:25]
.LBB0_68:                               ;   in Loop: Header=BB0_56 Depth=2
	v_add_f32_e32 v1, 0x40051340, v10
	v_max_f32_e32 v28, v27, v27
	v_max_f32_e32 v1, v28, v1
	v_cndmask_b32_e64 v1, v27, v1, s[8:9]
	v_add_f32_e32 v28, 0x40051340, v11
	v_max_f32_e32 v1, v1, v1
	v_max_f32_e32 v1, v1, v28
	v_cndmask_b32_e64 v1, v27, v1, s[8:9]
	;; [unrolled: 4-line block ×16, first 2 shown]
	ds_bpermute_b32 v28, v49, v1
	v_max_f32_e32 v1, v1, v1
	s_mul_hi_i32 s55, s36, s94
	s_mul_i32 s54, s36, s94
	s_lshl_b64 s[54:55], s[54:55], 2
	s_waitcnt lgkmcnt(0)
	v_max_f32_e32 v28, v28, v28
	v_max_f32_e32 v1, v1, v28
	ds_bpermute_b32 v28, v109, v1
	s_add_u32 s54, s45, s54
	s_addc_u32 s55, s38, s55
	scratch_store_dwordx4 off, v[40:43], off
	s_add_i32 s58, s58, 1
	s_waitcnt lgkmcnt(0)
	v_max_f32_e32 v28, v28, v28
	v_max_f32_e32 v61, v1, v28
	v_sub_f32_e32 v1, v10, v61
	v_mul_f32_e32 v10, 0x3fb8aa3b, v1
	v_fma_f32 v28, v1, s98, -v10
	v_rndne_f32_e32 v36, v10
	v_fmac_f32_e32 v28, 0x32a5705f, v1
	v_sub_f32_e32 v10, v10, v36
	v_add_f32_e32 v10, v10, v28
	v_exp_f32_e32 v10, v10
	v_cvt_i32_f32_e32 v28, v36
	v_sub_f32_e32 v11, v11, v61
	v_cmp_ngt_f32_e32 vcc, s93, v1
	s_add_i32 s36, s36, 64
	v_ldexp_f32 v10, v10, v28
	v_mul_f32_e32 v28, 0x3fb8aa3b, v11
	v_fma_f32 v36, v11, s98, -v28
	v_rndne_f32_e32 v44, v28
	v_fmac_f32_e32 v36, 0x32a5705f, v11
	v_sub_f32_e32 v28, v28, v44
	v_add_f32_e32 v28, v28, v36
	v_exp_f32_e32 v28, v28
	v_cvt_i32_f32_e32 v36, v44
	v_cndmask_b32_e32 v10, 0, v10, vcc
	v_cmp_nlt_f32_e32 vcc, s41, v1
	s_cmp_lt_i32 s58, s60
	v_ldexp_f32 v28, v28, v36
	v_cndmask_b32_e32 v1, v113, v10, vcc
	v_cmp_ngt_f32_e32 vcc, s93, v11
	v_cndmask_b32_e64 v10, 0, v1, s[8:9]
	s_nop 0
	v_cndmask_b32_e32 v28, 0, v28, vcc
	v_cmp_nlt_f32_e32 vcc, s41, v11
	s_nop 1
	v_cndmask_b32_e32 v11, v113, v28, vcc
	v_add_f32_e32 v28, v1, v11
	v_mov_b32_e32 v1, s49
	v_cndmask_b32_e64 v1, v1, v11, s[8:9]
	v_sub_f32_e32 v11, v12, v61
	v_mul_f32_e32 v12, 0x3fb8aa3b, v11
	v_fma_f32 v36, v11, s98, -v12
	v_rndne_f32_e32 v44, v12
	v_fmac_f32_e32 v36, 0x32a5705f, v11
	v_sub_f32_e32 v12, v12, v44
	v_add_f32_e32 v12, v12, v36
	v_exp_f32_e32 v12, v12
	v_cvt_i32_f32_e32 v36, v44
	v_cmp_ngt_f32_e32 vcc, s93, v11
	v_ldexp_f32 v12, v12, v36
	s_nop 0
	v_cndmask_b32_e32 v12, 0, v12, vcc
	v_cmp_nlt_f32_e32 vcc, s41, v11
	s_nop 1
	v_cndmask_b32_e32 v11, v113, v12, vcc
	v_mov_b32_e32 v12, s49
	v_add_f32_e32 v28, v28, v11
	v_cndmask_b32_e64 v12, v12, v11, s[8:9]
	v_sub_f32_e32 v11, v13, v61
	v_mul_f32_e32 v13, 0x3fb8aa3b, v11
	v_fma_f32 v36, v11, s98, -v13
	v_rndne_f32_e32 v44, v13
	v_fmac_f32_e32 v36, 0x32a5705f, v11
	v_sub_f32_e32 v13, v13, v44
	v_add_f32_e32 v13, v13, v36
	v_exp_f32_e32 v13, v13
	v_cvt_i32_f32_e32 v36, v44
	v_cmp_ngt_f32_e32 vcc, s93, v11
	v_mov_b32_e32 v44, s43
	v_ldexp_f32 v13, v13, v36
	v_cndmask_b32_e32 v13, 0, v13, vcc
	v_cmp_nlt_f32_e32 vcc, s41, v11
	v_mov_b32_e32 v11, s49
	s_nop 0
	v_cndmask_b32_e32 v13, v113, v13, vcc
	v_add_f32_e32 v28, v28, v13
	v_cndmask_b32_e64 v116, v11, v13, s[8:9]
	v_sub_f32_e32 v13, v14, v61
	v_mul_f32_e32 v14, 0x3fb8aa3b, v13
	v_cndmask_b32_e64 v11, 0, v28, s[8:9]
	v_fma_f32 v28, v13, s98, -v14
	v_rndne_f32_e32 v36, v14
	v_fmac_f32_e32 v28, 0x32a5705f, v13
	v_sub_f32_e32 v14, v14, v36
	v_add_f32_e32 v14, v14, v28
	v_exp_f32_e32 v14, v14
	v_cvt_i32_f32_e32 v28, v36
	v_cmp_ngt_f32_e32 vcc, s93, v13
	v_ldexp_f32 v14, v14, v28
	s_nop 0
	v_cndmask_b32_e32 v14, 0, v14, vcc
	v_cmp_nlt_f32_e32 vcc, s41, v13
	s_nop 1
	v_cndmask_b32_e32 v13, v113, v14, vcc
	v_add_f32_e32 v28, v13, v11
	v_mov_b32_e32 v14, s49
	v_cndmask_b32_e64 v14, v14, v13, s[10:11]
	v_cndmask_b32_e64 v13, v11, v28, s[10:11]
	v_sub_f32_e32 v11, v15, v61
	v_mul_f32_e32 v15, 0x3fb8aa3b, v11
	v_fma_f32 v28, v11, s98, -v15
	v_rndne_f32_e32 v36, v15
	v_fmac_f32_e32 v28, 0x32a5705f, v11
	v_sub_f32_e32 v15, v15, v36
	v_add_f32_e32 v15, v15, v28
	v_exp_f32_e32 v15, v15
	v_cvt_i32_f32_e32 v28, v36
	v_cmp_ngt_f32_e32 vcc, s93, v11
	v_ldexp_f32 v15, v15, v28
	s_nop 0
	v_cndmask_b32_e32 v15, 0, v15, vcc
	v_cmp_nlt_f32_e32 vcc, s41, v11
	v_mov_b32_e32 v11, s49
	s_nop 0
	v_cndmask_b32_e32 v15, v113, v15, vcc
	v_add_f32_e32 v28, v15, v13
	v_cndmask_b32_e64 v11, v11, v15, s[12:13]
	v_sub_f32_e32 v15, v16, v61
	v_mul_f32_e32 v16, 0x3fb8aa3b, v15
	v_cndmask_b32_e64 v13, v13, v28, s[12:13]
	v_fma_f32 v28, v15, s98, -v16
	v_rndne_f32_e32 v36, v16
	v_fmac_f32_e32 v28, 0x32a5705f, v15
	v_sub_f32_e32 v16, v16, v36
	v_add_f32_e32 v16, v16, v28
	v_exp_f32_e32 v16, v16
	v_cvt_i32_f32_e32 v28, v36
	v_cmp_ngt_f32_e32 vcc, s93, v15
	v_ldexp_f32 v16, v16, v28
	s_nop 0
	v_cndmask_b32_e32 v16, 0, v16, vcc
	v_cmp_nlt_f32_e32 vcc, s41, v15
	s_nop 1
	v_cndmask_b32_e32 v15, v113, v16, vcc
	v_add_f32_e32 v28, v15, v13
	v_mov_b32_e32 v16, s49
	v_cndmask_b32_e64 v16, v16, v15, s[14:15]
	v_cndmask_b32_e64 v15, v13, v28, s[14:15]
	v_sub_f32_e32 v13, v17, v61
	v_mul_f32_e32 v17, 0x3fb8aa3b, v13
	v_fma_f32 v28, v13, s98, -v17
	v_rndne_f32_e32 v36, v17
	v_fmac_f32_e32 v28, 0x32a5705f, v13
	v_sub_f32_e32 v17, v17, v36
	v_add_f32_e32 v17, v17, v28
	v_exp_f32_e32 v17, v17
	v_cvt_i32_f32_e32 v28, v36
	v_cmp_ngt_f32_e32 vcc, s93, v13
	v_ldexp_f32 v17, v17, v28
	s_nop 0
	v_cndmask_b32_e32 v17, 0, v17, vcc
	v_cmp_nlt_f32_e32 vcc, s41, v13
	v_mov_b32_e32 v13, s49
	s_nop 0
	v_cndmask_b32_e32 v17, v113, v17, vcc
	v_add_f32_e32 v28, v17, v15
	v_cndmask_b32_e64 v17, v13, v17, s[16:17]
	v_cndmask_b32_e64 v13, v15, v28, s[16:17]
	v_sub_f32_e32 v15, v18, v61
	v_mul_f32_e32 v18, 0x3fb8aa3b, v15
	v_fma_f32 v28, v15, s98, -v18
	v_rndne_f32_e32 v36, v18
	v_fmac_f32_e32 v28, 0x32a5705f, v15
	v_sub_f32_e32 v18, v18, v36
	v_add_f32_e32 v18, v18, v28
	v_exp_f32_e32 v18, v18
	v_cvt_i32_f32_e32 v28, v36
	v_cmp_ngt_f32_e32 vcc, s93, v15
	v_ldexp_f32 v18, v18, v28
	s_nop 0
	v_cndmask_b32_e32 v18, 0, v18, vcc
	v_cmp_nlt_f32_e32 vcc, s41, v15
	s_nop 1
	v_cndmask_b32_e32 v15, v113, v18, vcc
	v_add_f32_e32 v28, v15, v13
	v_mov_b32_e32 v18, s49
	v_cndmask_b32_e64 v18, v18, v15, s[18:19]
	v_cndmask_b32_e64 v15, v13, v28, s[18:19]
	v_sub_f32_e32 v13, v19, v61
	v_mul_f32_e32 v19, 0x3fb8aa3b, v13
	v_fma_f32 v28, v13, s98, -v19
	v_rndne_f32_e32 v36, v19
	v_fmac_f32_e32 v28, 0x32a5705f, v13
	v_sub_f32_e32 v19, v19, v36
	v_add_f32_e32 v19, v19, v28
	v_exp_f32_e32 v19, v19
	v_cvt_i32_f32_e32 v28, v36
	v_cmp_ngt_f32_e32 vcc, s93, v13
	v_ldexp_f32 v19, v19, v28
	s_nop 0
	v_cndmask_b32_e32 v19, 0, v19, vcc
	v_cmp_nlt_f32_e32 vcc, s41, v13
	v_mov_b32_e32 v13, s49
	s_nop 0
	v_cndmask_b32_e32 v19, v113, v19, vcc
	v_add_f32_e32 v28, v19, v15
	v_cndmask_b32_e64 v13, v13, v19, s[20:21]
	v_sub_f32_e32 v19, v20, v61
	v_mul_f32_e32 v20, 0x3fb8aa3b, v19
	v_cndmask_b32_e64 v15, v15, v28, s[20:21]
	v_fma_f32 v28, v19, s98, -v20
	v_rndne_f32_e32 v36, v20
	v_fmac_f32_e32 v28, 0x32a5705f, v19
	v_sub_f32_e32 v20, v20, v36
	v_add_f32_e32 v20, v20, v28
	v_exp_f32_e32 v20, v20
	v_cvt_i32_f32_e32 v28, v36
	v_cmp_ngt_f32_e32 vcc, s93, v19
	v_ldexp_f32 v20, v20, v28
	s_nop 0
	v_cndmask_b32_e32 v20, 0, v20, vcc
	v_cmp_nlt_f32_e32 vcc, s41, v19
	s_nop 1
	v_cndmask_b32_e32 v19, v113, v20, vcc
	v_add_f32_e32 v28, v19, v15
	v_mov_b32_e32 v20, s49
	v_cndmask_b32_e64 v20, v20, v19, s[22:23]
	v_cndmask_b32_e64 v19, v15, v28, s[22:23]
	v_sub_f32_e32 v15, v21, v61
	v_mul_f32_e32 v21, 0x3fb8aa3b, v15
	v_fma_f32 v28, v15, s98, -v21
	v_rndne_f32_e32 v36, v21
	v_fmac_f32_e32 v28, 0x32a5705f, v15
	v_sub_f32_e32 v21, v21, v36
	v_add_f32_e32 v21, v21, v28
	v_exp_f32_e32 v21, v21
	v_cvt_i32_f32_e32 v28, v36
	v_cmp_ngt_f32_e32 vcc, s93, v15
	v_ldexp_f32 v21, v21, v28
	s_nop 0
	v_cndmask_b32_e32 v21, 0, v21, vcc
	v_cmp_nlt_f32_e32 vcc, s41, v15
	v_mov_b32_e32 v15, s49
	s_nop 0
	v_cndmask_b32_e32 v21, v113, v21, vcc
	v_add_f32_e32 v28, v21, v19
	v_cndmask_b32_e64 v118, v15, v21, s[24:25]
	v_cndmask_b32_e64 v15, v19, v28, s[24:25]
	v_sub_f32_e32 v19, v22, v61
	v_mul_f32_e32 v21, 0x3fb8aa3b, v19
	v_fma_f32 v22, v19, s98, -v21
	v_rndne_f32_e32 v28, v21
	v_fmac_f32_e32 v22, 0x32a5705f, v19
	v_sub_f32_e32 v21, v21, v28
	v_add_f32_e32 v21, v21, v22
	v_exp_f32_e32 v21, v21
	v_cvt_i32_f32_e32 v22, v28
	v_cmp_ngt_f32_e32 vcc, s93, v19
	v_ldexp_f32 v21, v21, v22
	s_nop 0
	v_cndmask_b32_e32 v21, 0, v21, vcc
	v_cmp_nlt_f32_e32 vcc, s41, v19
	v_mov_b32_e32 v22, s49
	s_nop 0
	v_cndmask_b32_e32 v19, v113, v21, vcc
	v_add_f32_e32 v21, v19, v15
	;; [unrolled: 20-line block ×3, first 2 shown]
	v_cndmask_b32_e64 v15, v15, v21, s[26:27]
	v_sub_f32_e32 v21, v24, v61
	v_cndmask_b32_e64 v19, v19, v23, s[26:27]
	v_mul_f32_e32 v23, 0x3fb8aa3b, v21
	v_fma_f32 v24, v21, s98, -v23
	v_rndne_f32_e32 v28, v23
	v_fmac_f32_e32 v24, 0x32a5705f, v21
	v_sub_f32_e32 v23, v23, v28
	v_add_f32_e32 v23, v23, v24
	v_exp_f32_e32 v23, v23
	v_cvt_i32_f32_e32 v24, v28
	v_cmp_ngt_f32_e32 vcc, s93, v21
	v_cvt_pk_f16_f32 v22, v22, v15
	v_ldexp_f32 v23, v23, v24
	v_cndmask_b32_e32 v23, 0, v23, vcc
	v_cmp_nlt_f32_e32 vcc, s41, v21
	v_mov_b32_e32 v24, s49
	s_nop 0
	v_cndmask_b32_e32 v21, v113, v23, vcc
	v_add_f32_e32 v23, v21, v19
	v_cndmask_b32_e64 v24, v24, v21, s[28:29]
	v_cndmask_b32_e64 v21, v19, v23, s[28:29]
	v_sub_f32_e32 v19, v25, v61
	v_mul_f32_e32 v23, 0x3fb8aa3b, v19
	v_fma_f32 v25, v19, s98, -v23
	v_rndne_f32_e32 v28, v23
	v_fmac_f32_e32 v25, 0x32a5705f, v19
	v_sub_f32_e32 v23, v23, v28
	v_add_f32_e32 v23, v23, v25
	v_exp_f32_e32 v23, v23
	v_cvt_i32_f32_e32 v25, v28
	v_cmp_ngt_f32_e32 vcc, s93, v19
	v_ldexp_f32 v23, v23, v25
	s_nop 0
	v_cndmask_b32_e32 v23, 0, v23, vcc
	v_cmp_nlt_f32_e32 vcc, s41, v19
	v_mov_b32_e32 v19, s49
	s_nop 0
	v_cndmask_b32_e32 v23, v113, v23, vcc
	v_add_f32_e32 v25, v23, v21
	v_cndmask_b32_e64 v23, v19, v23, s[30:31]
	v_sub_f32_e32 v19, v27, v61
	v_cndmask_b32_e64 v36, v21, v25, s[30:31]
	v_mul_f32_e32 v21, 0x3fb8aa3b, v19
	v_fma_f32 v25, v19, s98, -v21
	v_rndne_f32_e32 v27, v21
	v_fmac_f32_e32 v25, 0x32a5705f, v19
	v_sub_f32_e32 v21, v21, v27
	v_add_f32_e32 v21, v21, v25
	v_exp_f32_e32 v21, v21
	v_cvt_i32_f32_e32 v25, v27
	v_cmp_ngt_f32_e32 vcc, s93, v19
	v_cvt_pk_f16_f32 v23, v24, v23
	v_ldexp_f32 v21, v21, v25
	v_cndmask_b32_e32 v21, 0, v21, vcc
	v_cmp_nlt_f32_e32 vcc, s41, v19
	s_nop 1
	v_cndmask_b32_e32 v21, v113, v21, vcc
	v_cmp_le_f32_e32 vcc, s42, v19
	s_nop 1
	v_cndmask_b32_e32 v19, 0, v21, vcc
	v_fmac_f32_e32 v36, v26, v19
	v_cvt_f16_f32_e32 v19, v19
	scratch_load_dwordx2 v[26:27], off, off offset:32 ; 8-byte Folded Reload
	v_mul_u32_u24_e32 v25, 0x10001, v19
	v_pk_mul_f16 v120, v100, v25
	v_pk_mul_f16 v106, v106, v25
	;; [unrolled: 1-line block ×8, first 2 shown]
	scratch_load_dwordx2 v[28:29], off, off offset:40 ; 8-byte Folded Reload
	v_cvt_f32_f16_sdwa v15, v105 dst_sel:DWORD dst_unused:UNUSED_PAD src0_sel:WORD_1
	s_waitcnt vmcnt(1)
	v_lshl_add_u64 v[26:27], v[26:27], 2, s[54:55]
	v_lshl_add_u64 v[26:27], v[26:27], 0, v[32:33]
	v_cndmask_b32_e64 v27, v44, v27, s[4:5]
	v_cndmask_b32_e64 v26, v39, v26, s[4:5]
	s_waitcnt vmcnt(0)
	v_lshl_add_u64 v[28:29], v[28:29], 2, s[54:55]
	v_lshl_add_u64 v[28:29], v[28:29], 0, v[32:33]
	v_cndmask_b32_e64 v101, v44, v29, s[6:7]
	v_cndmask_b32_e64 v100, v39, v28, s[6:7]
	flat_load_dwordx4 v[26:29], v[26:27]
	s_waitcnt vmcnt(0) lgkmcnt(0)
	ds_write_b128 v53, v[26:29]
	flat_load_dwordx4 v[26:29], v[100:101]
	v_cvt_pk_f16_f32 v101, v12, v116
	v_cvt_pk_f16_f32 v100, v10, v1
	s_waitcnt vmcnt(0) lgkmcnt(0)
	ds_write_b128 v57, v[26:29]
	s_waitcnt lgkmcnt(0)
	s_barrier
	ds_read_u16 v32, v31 offset:144
	ds_read_u16 v44, v37
	ds_read_u16 v52, v37 offset:32
	ds_read_u16 v45, v110
	ds_read_u16 v54, v110 offset:32
	v_cvt_f32_f16_e32 v26, v120
	v_cvt_f32_f16_sdwa v27, v120 dst_sel:DWORD dst_unused:UNUSED_PAD src0_sel:WORD_1
	v_cvt_f32_f16_e32 v28, v106
	s_waitcnt lgkmcnt(1)
	v_perm_b32 v45, v45, v44, s99
	ds_read_u16 v44, v31
	ds_read_u16 v103, v31 offset:32
	v_cvt_f32_f16_sdwa v29, v106 dst_sel:DWORD dst_unused:UNUSED_PAD src0_sel:WORD_1
	s_waitcnt lgkmcnt(1)
	v_perm_b32 v44, v32, v44, s99
	s_nop 1
	v_mfma_f32_16x16x16_f16 v[26:29], v[44:45], v[100:101], v[26:29]
	s_nop 7
	v_cvt_f16_f32_e32 v1, v26
	v_cvt_f16_f32_e32 v10, v27
	;; [unrolled: 1-line block ×4, first 2 shown]
	ds_read_u16 v27, v31 offset:2304
	ds_read_u16 v28, v31 offset:2448
	ds_read_u16 v29, v37 offset:2304
	ds_read_u16 v32, v110 offset:2304
	v_cvt_f32_f16_e32 v44, v1
	v_cvt_f32_f16_e32 v45, v10
	s_waitcnt lgkmcnt(2)
	v_perm_b32 v28, v28, v27, s99
	v_cvt_f32_f16_e32 v46, v12
	s_waitcnt lgkmcnt(0)
	v_perm_b32 v29, v32, v29, s99
	v_cvt_f32_f16_e32 v47, v26
	v_cvt_pk_f16_f32 v27, v16, v17
	v_cvt_pk_f16_f32 v26, v14, v11
	s_nop 1
	v_mfma_f32_16x16x16_f16 v[44:47], v[28:29], v[26:27], v[44:47]
	ds_read_u16 v14, v31 offset:4608
	ds_read_u16 v16, v31 offset:4752
	;; [unrolled: 1-line block ×4, first 2 shown]
	v_cvt_pk_f16_f32 v29, v20, v118
	s_nop 2
	v_cvt_f16_f32_e32 v10, v45
	v_cvt_f16_f32_e32 v11, v46
	;; [unrolled: 1-line block ×4, first 2 shown]
	v_cvt_f32_f16_e32 v45, v10
	v_cvt_f32_f16_e32 v46, v11
	s_waitcnt lgkmcnt(0)
	v_perm_b32 v11, v28, v17, s99
	v_perm_b32 v10, v16, v14, s99
	v_cvt_f32_f16_e32 v44, v1
	v_cvt_f32_f16_e32 v47, v12
	v_cvt_pk_f16_f32 v28, v18, v13
	ds_read_u16 v14, v31 offset:6912
	ds_read_u16 v16, v31 offset:7056
	;; [unrolled: 1-line block ×4, first 2 shown]
	v_mfma_f32_16x16x16_f16 v[10:13], v[10:11], v[28:29], v[44:47]
	s_waitcnt lgkmcnt(2)
	v_perm_b32 v16, v16, v14, s99
	v_cvt_f32_f16_e32 v14, v105
	s_waitcnt lgkmcnt(0)
	v_perm_b32 v17, v18, v17, s99
	v_perm_b32 v45, v54, v52, s99
	s_nop 1
	v_cvt_f16_f32_e32 v1, v10
	v_cvt_f16_f32_e32 v11, v11
	v_cvt_f16_f32_e32 v12, v12
	v_cvt_f16_f32_e32 v13, v13
	v_cvt_f32_f16_e32 v10, v1
	ds_read_u16 v1, v31 offset:176
	v_cvt_f32_f16_e32 v11, v11
	v_cvt_f32_f16_e32 v12, v12
	;; [unrolled: 1-line block ×3, first 2 shown]
	ds_read_u16 v18, v31 offset:2336
	ds_read_u16 v20, v31 offset:2480
	;; [unrolled: 1-line block ×4, first 2 shown]
	s_waitcnt lgkmcnt(4)
	v_perm_b32 v44, v1, v103, s99
	v_mfma_f32_16x16x16_f16 v[10:13], v[16:17], v[22:23], v[10:13]
	v_cvt_f32_f16_e32 v16, v104
	v_cvt_f32_f16_sdwa v17, v104 dst_sel:DWORD dst_unused:UNUSED_PAD src0_sel:WORD_1
	v_cvt_f32_f16_e32 v46, v19
	v_cvt_f32_f16_sdwa v47, v19 dst_sel:DWORD dst_unused:UNUSED_PAD src0_sel:WORD_1
	v_mfma_f32_16x16x16_f16 v[14:17], v[44:45], v[100:101], v[14:17]
	s_waitcnt lgkmcnt(0)
	v_perm_b32 v45, v32, v24, s99
	v_perm_b32 v44, v20, v18, s99
	ds_read_u16 v18, v31 offset:4640
	ds_read_u16 v20, v31 offset:4784
	;; [unrolled: 1-line block ×4, first 2 shown]
	s_nop 0
	v_cvt_f16_f32_e32 v1, v14
	v_cvt_f16_f32_e32 v15, v15
	;; [unrolled: 1-line block ×4, first 2 shown]
	v_cvt_f32_f16_e32 v14, v1
	v_cvt_f32_f16_e32 v15, v15
	;; [unrolled: 1-line block ×4, first 2 shown]
	v_cvt_pk_f16_f32 v106, v12, v13
	s_nop 0
	v_mfma_f32_16x16x16_f16 v[14:17], v[44:45], v[26:27], v[14:17]
	s_waitcnt lgkmcnt(0)
	v_perm_b32 v45, v32, v24, s99
	v_perm_b32 v44, v20, v18, s99
	ds_read_u16 v18, v31 offset:6944
	ds_read_u16 v20, v31 offset:7088
	;; [unrolled: 1-line block ×4, first 2 shown]
	s_nop 0
	v_cvt_f16_f32_e32 v1, v14
	v_cvt_f16_f32_e32 v15, v15
	;; [unrolled: 1-line block ×4, first 2 shown]
	v_cvt_f32_f16_e32 v14, v1
	v_cvt_f32_f16_e32 v15, v15
	;; [unrolled: 1-line block ×4, first 2 shown]
	s_nop 1
	v_mfma_f32_16x16x16_f16 v[14:17], v[44:45], v[28:29], v[14:17]
	s_waitcnt lgkmcnt(0)
	v_perm_b32 v45, v32, v24, s99
	v_perm_b32 v44, v20, v18, s99
	s_nop 4
	v_cvt_f16_f32_e32 v1, v14
	v_cvt_f16_f32_e32 v15, v15
	v_cvt_f16_f32_e32 v16, v16
	v_cvt_f16_f32_e32 v17, v17
	v_cvt_f32_f16_e32 v14, v1
	ds_read_u16 v1, v31 offset:64
	ds_read_u16 v18, v31 offset:208
	;; [unrolled: 1-line block ×4, first 2 shown]
	v_cvt_f32_f16_e32 v15, v15
	v_cvt_f32_f16_e32 v16, v16
	;; [unrolled: 1-line block ×3, first 2 shown]
	s_waitcnt lgkmcnt(2)
	v_perm_b32 v18, v18, v1, s99
	s_waitcnt lgkmcnt(0)
	v_perm_b32 v19, v24, v20, s99
	v_mfma_f32_16x16x16_f16 v[14:17], v[44:45], v[22:23], v[14:17]
	v_cvt_f32_f16_e32 v44, v21
	v_cvt_f32_f16_sdwa v45, v21 dst_sel:DWORD dst_unused:UNUSED_PAD src0_sel:WORD_1
	s_nop 1
	v_mfma_f32_16x16x16_f16 v[18:21], v[18:19], v[100:101], v[44:47]
	ds_read_u16 v24, v31 offset:2368
	ds_read_u16 v32, v31 offset:2512
	s_nop 0
	ds_read_u16 v44, v37 offset:2368
	ds_read_u16 v45, v110 offset:2368
	v_cvt_f32_f16_e32 v46, v25
	v_cvt_f32_f16_sdwa v47, v25 dst_sel:DWORD dst_unused:UNUSED_PAD src0_sel:WORD_1
	s_nop 0
	v_cvt_f16_f32_e32 v1, v18
	v_cvt_f16_f32_e32 v19, v19
	v_cvt_f16_f32_e32 v20, v20
	v_cvt_f16_f32_e32 v21, v21
	s_waitcnt lgkmcnt(0)
	v_perm_b32 v45, v45, v44, s99
	v_perm_b32 v44, v32, v24, s99
	v_cvt_f32_f16_e32 v18, v1
	v_cvt_f32_f16_e32 v19, v19
	;; [unrolled: 1-line block ×4, first 2 shown]
	v_cvt_pk_f16_f32 v105, v14, v15
	v_cvt_pk_f16_f32 v104, v16, v17
	v_mfma_f32_16x16x16_f16 v[18:21], v[44:45], v[26:27], v[18:21]
	ds_read_u16 v24, v31 offset:4672
	ds_read_u16 v32, v31 offset:4816
	;; [unrolled: 1-line block ×4, first 2 shown]
	s_nop 3
	v_cvt_f16_f32_e32 v1, v18
	v_cvt_f16_f32_e32 v19, v19
	;; [unrolled: 1-line block ×4, first 2 shown]
	s_waitcnt lgkmcnt(0)
	v_perm_b32 v45, v45, v44, s99
	v_perm_b32 v44, v32, v24, s99
	v_cvt_f32_f16_e32 v18, v1
	v_cvt_f32_f16_e32 v19, v19
	;; [unrolled: 1-line block ×4, first 2 shown]
	s_nop 1
	v_mfma_f32_16x16x16_f16 v[18:21], v[44:45], v[28:29], v[18:21]
	ds_read_u16 v24, v31 offset:6976
	ds_read_u16 v32, v31 offset:7120
	;; [unrolled: 1-line block ×4, first 2 shown]
	s_nop 3
	v_cvt_f16_f32_e32 v1, v18
	v_cvt_f16_f32_e32 v19, v19
	;; [unrolled: 1-line block ×4, first 2 shown]
	v_cvt_f32_f16_e32 v18, v1
	s_waitcnt lgkmcnt(0)
	v_perm_b32 v45, v45, v44, s99
	v_perm_b32 v44, v32, v24, s99
	ds_read_u16 v1, v31 offset:96
	ds_read_u16 v24, v31 offset:240
	;; [unrolled: 1-line block ×4, first 2 shown]
	v_cvt_f32_f16_e32 v19, v19
	v_cvt_f32_f16_e32 v20, v20
	;; [unrolled: 1-line block ×3, first 2 shown]
	s_waitcnt lgkmcnt(2)
	v_perm_b32 v24, v24, v1, s99
	s_waitcnt lgkmcnt(0)
	v_perm_b32 v25, v52, v32, s99
	v_mfma_f32_16x16x16_f16 v[18:21], v[44:45], v[22:23], v[18:21]
	v_cvt_f32_f16_e32 v44, v102
	v_cvt_f32_f16_sdwa v45, v102 dst_sel:DWORD dst_unused:UNUSED_PAD src0_sel:WORD_1
	s_nop 1
	v_mfma_f32_16x16x16_f16 v[44:47], v[24:25], v[100:101], v[44:47]
	ds_read_u16 v52, v31 offset:2400
	ds_read_u16 v54, v31 offset:2544
	;; [unrolled: 1-line block ×4, first 2 shown]
	v_cvt_pk_f16_f32 v103, v18, v19
	v_cvt_pk_f16_f32 v102, v20, v21
	s_nop 1
	v_cvt_f16_f32_e32 v24, v45
	v_cvt_f16_f32_e32 v25, v46
	;; [unrolled: 1-line block ×4, first 2 shown]
	v_cvt_f32_f16_e32 v45, v24
	v_cvt_f32_f16_e32 v46, v25
	s_waitcnt lgkmcnt(0)
	v_perm_b32 v25, v101, v100, s99
	v_perm_b32 v24, v54, v52, s99
	v_cvt_f32_f16_e32 v44, v1
	v_cvt_f32_f16_e32 v47, v32
	v_cvt_pk_f16_f32 v100, v10, v11
	s_nop 0
	v_mfma_f32_16x16x16_f16 v[24:27], v[24:25], v[26:27], v[44:47]
	ds_read_u16 v32, v31 offset:4704
	s_nop 1
	ds_read_u16 v44, v31 offset:4848
	ds_read_u16 v45, v37 offset:4704
	;; [unrolled: 1-line block ×3, first 2 shown]
	s_nop 1
	v_cvt_f16_f32_e32 v1, v24
	v_cvt_f16_f32_e32 v25, v25
	v_cvt_f16_f32_e32 v26, v26
	v_cvt_f16_f32_e32 v27, v27
	s_waitcnt lgkmcnt(0)
	v_perm_b32 v45, v46, v45, s99
	v_perm_b32 v44, v44, v32, s99
	v_cvt_f32_f16_e32 v24, v1
	v_cvt_f32_f16_e32 v25, v25
	v_cvt_f32_f16_e32 v26, v26
	v_cvt_f32_f16_e32 v27, v27
	s_nop 1
	v_mfma_f32_16x16x16_f16 v[26:29], v[44:45], v[28:29], v[24:27]
	s_nop 7
	v_cvt_f16_f32_e32 v25, v26
	v_cvt_f16_f32_e32 v26, v27
	;; [unrolled: 1-line block ×4, first 2 shown]
	ds_read_u16 v1, v31 offset:7008
	ds_read_u16 v24, v31 offset:7152
	;; [unrolled: 1-line block ×4, first 2 shown]
	v_cvt_f32_f16_e32 v44, v25
	v_cvt_f32_f16_e32 v45, v26
	s_waitcnt lgkmcnt(2)
	v_perm_b32 v24, v24, v1, s99
	v_cvt_f32_f16_e32 v46, v27
	s_waitcnt lgkmcnt(0)
	v_perm_b32 v25, v32, v29, s99
	v_cvt_f32_f16_e32 v47, v28
	s_barrier
	s_nop 0
	v_mfma_f32_16x16x16_f16 v[22:25], v[24:25], v[22:23], v[44:47]
	s_nop 7
	v_cvt_pk_f16_f32 v101, v22, v23
	v_cvt_pk_f16_f32 v29, v24, v25
	s_cbranch_scc0 .LBB0_73
; %bb.69:                               ;   in Loop: Header=BB0_56 Depth=2
	v_mov_b32_e32 v26, v36
	v_mov_b32_e32 v27, v61
	s_branch .LBB0_56
.LBB0_70:                               ;   in Loop: Header=BB0_13 Depth=1
	s_mov_b64 s[36:37], 0
                                        ; implicit-def: $vgpr2_vgpr3
                                        ; implicit-def: $vgpr54
	s_cbranch_execnz .LBB0_144
.LBB0_71:                               ;   in Loop: Header=BB0_13 Depth=1
	v_readlane_b32 s88, v127, 11
	v_readlane_b32 s89, v127, 12
	v_readlane_b32 s83, v127, 13
	s_and_saveexec_b64 s[38:39], s[36:37]
	s_cbranch_execz .LBB0_12
	s_branch .LBB0_263
.LBB0_72:                               ;   in Loop: Header=BB0_13 Depth=1
	v_mov_b32_e32 v61, 0xfeffffff
	v_mov_b32_e32 v36, 0
	;; [unrolled: 1-line block ×10, first 2 shown]
	s_branch .LBB0_74
.LBB0_73:                               ;   in Loop: Header=BB0_13 Depth=1
	scratch_load_dword v67, off, off offset:120 ; 4-byte Folded Reload
	scratch_load_dword v70, off, off offset:140 ; 4-byte Folded Reload
	scratch_load_dword v71, off, off offset:144 ; 4-byte Folded Reload
	scratch_load_dword v72, off, off offset:148 ; 4-byte Folded Reload
	scratch_load_dword v73, off, off offset:152 ; 4-byte Folded Reload
	scratch_load_dwordx2 v[74:75], off, off offset:156 ; 8-byte Folded Reload
	scratch_load_dword v75, off, off offset:164 ; 4-byte Folded Reload
	scratch_load_dword v76, off, off offset:168 ; 4-byte Folded Reload
	;; [unrolled: 1-line block ×25, first 2 shown]
	v_mov_b32_e32 v54, v111
	scratch_load_dword v109, off, off offset:132 ; 4-byte Folded Reload
	scratch_load_dword v111, off, off offset:136 ; 4-byte Folded Reload
	s_waitcnt vmcnt(31)
	v_and_b32_e32 v68, 31, v70
	v_bfe_u32 v69, v70, 10, 10
.LBB0_74:                               ;   in Loop: Header=BB0_13 Depth=1
	s_lshl_b32 s36, s58, 6
	v_readlane_b32 s52, v126, 4
	v_cmp_eq_u64_e32 vcc, 0, v[62:63]
	s_sub_i32 s88, s52, s36
	v_cmp_ne_u64_e64 s[56:57], 0, v[62:63]
	s_ashr_i32 s37, s36, 31
	v_readlane_b32 s53, v126, 5
	s_cbranch_vccnz .LBB0_92
; %bb.75:                               ;   in Loop: Header=BB0_13 Depth=1
	s_waitcnt vmcnt(27)
	v_cmp_le_i32_e32 vcc, s88, v74
	s_and_saveexec_b64 s[52:53], vcc
	s_xor_b64 s[52:53], exec, s[52:53]
	s_cbranch_execz .LBB0_77
; %bb.76:                               ;   in Loop: Header=BB0_13 Depth=1
	v_add_u32_e32 v1, 0x240, v114
	ds_write_b16 v114, v33 offset:9216
	ds_write_b16 v1, v33 offset:9216
.LBB0_77:                               ;   in Loop: Header=BB0_13 Depth=1
	s_or_saveexec_b64 s[52:53], s[52:53]
	s_lshl_b64 s[54:55], s[36:37], 1
	v_lshl_add_u64 v[10:11], v[62:63], 0, s[54:55]
	v_lshlrev_b32_e32 v32, 1, v74
	v_lshl_add_u64 v[10:11], v[10:11], 0, v[32:33]
	v_mov_b32_e32 v1, 0
	v_mov_b32_e32 v12, 0
	s_xor_b64 exec, exec, s[52:53]
	s_cbranch_execz .LBB0_79
; %bb.78:                               ;   in Loop: Header=BB0_13 Depth=1
	v_add_u32_e32 v1, s59, v69
	v_mul_hi_u32 v12, s2, v1
	v_add_u32_e32 v12, v1, v12
	v_lshrrev_b32_e32 v12, s3, v12
	v_mul_lo_u32 v12, v12, s92
	v_sub_u32_e32 v1, v1, v12
	v_mad_i64_i32 v[12:13], s[54:55], v1, s80, 0
	v_lshl_add_u64 v[12:13], v[12:13], 1, v[10:11]
	global_load_ushort v1, v[12:13], off
	s_nop 0
	scratch_load_dword v12, off, off offset:60 ; 4-byte Folded Reload
	s_waitcnt vmcnt(1)
	ds_write_b16 v114, v1 offset:9216
	s_waitcnt vmcnt(0)
	v_add_u32_e32 v12, s59, v12
	v_mul_hi_u32 v13, s2, v12
	v_add_u32_e32 v13, v12, v13
	v_lshrrev_b32_e32 v13, s3, v13
	v_mul_lo_u32 v13, v13, s92
	v_sub_u32_e32 v12, v12, v13
	v_mad_i64_i32 v[12:13], s[54:55], v12, s80, 0
	v_lshl_add_u64 v[12:13], v[12:13], 1, v[10:11]
	global_load_ushort v12, v[12:13], off
	v_add_u32_e32 v1, 0x240, v114
	s_waitcnt vmcnt(0)
	ds_write_b16 v1, v12 offset:9216
	scratch_load_dword v1, off, off offset:64 ; 4-byte Folded Reload
	s_waitcnt vmcnt(0)
	v_add_u32_e32 v1, s59, v1
	v_mul_hi_u32 v12, s2, v1
	v_add_u32_e32 v12, v1, v12
	v_lshrrev_b32_e32 v12, s3, v12
	v_mul_lo_u32 v12, v12, s92
	v_sub_u32_e32 v1, v1, v12
	v_mad_i64_i32 v[12:13], s[54:55], v1, s80, 0
	v_lshl_add_u64 v[12:13], v[12:13], 1, v[10:11]
	global_load_ushort v1, v[12:13], off
	s_nop 0
	scratch_load_dword v12, off, off offset:68 ; 4-byte Folded Reload
	s_waitcnt vmcnt(0)
	v_add_u32_e32 v12, s59, v12
	v_mul_hi_u32 v13, s2, v12
	v_add_u32_e32 v13, v12, v13
	v_lshrrev_b32_e32 v13, s3, v13
	v_mul_lo_u32 v13, v13, s92
	v_sub_u32_e32 v12, v12, v13
	v_mad_i64_i32 v[12:13], s[54:55], v12, s80, 0
	v_lshl_add_u64 v[12:13], v[12:13], 1, v[10:11]
	global_load_ushort v12, v[12:13], off
.LBB0_79:                               ;   in Loop: Header=BB0_13 Depth=1
	s_or_b64 exec, exec, s[52:53]
	v_add_u32_e32 v13, 0x480, v114
	ds_write_b16 v13, v1 offset:9216
	v_add_u32_e32 v1, 0x6c0, v114
	s_waitcnt vmcnt(0)
	ds_write_b16 v1, v12 offset:9216
	s_and_saveexec_b64 s[52:53], vcc
	s_xor_b64 s[52:53], exec, s[52:53]
	s_cbranch_execz .LBB0_81
; %bb.80:                               ;   in Loop: Header=BB0_13 Depth=1
	v_add_u32_e32 v1, 0x900, v114
	ds_write_b16 v1, v33 offset:9216
	v_add_u32_e32 v1, 0xb40, v114
	ds_write_b16 v1, v33 offset:9216
.LBB0_81:                               ;   in Loop: Header=BB0_13 Depth=1
	s_or_saveexec_b64 s[52:53], s[52:53]
	v_mov_b32_e32 v1, 0
	v_mov_b32_e32 v12, 0
	s_xor_b64 exec, exec, s[52:53]
	s_cbranch_execz .LBB0_83
; %bb.82:                               ;   in Loop: Header=BB0_13 Depth=1
	scratch_load_dword v1, off, off offset:72 ; 4-byte Folded Reload
	s_waitcnt vmcnt(0)
	v_add_u32_e32 v1, s59, v1
	v_mul_hi_u32 v12, s2, v1
	v_add_u32_e32 v12, v1, v12
	v_lshrrev_b32_e32 v12, s3, v12
	v_mul_lo_u32 v12, v12, s92
	v_sub_u32_e32 v1, v1, v12
	v_mad_i64_i32 v[12:13], s[54:55], v1, s80, 0
	v_lshl_add_u64 v[12:13], v[12:13], 1, v[10:11]
	global_load_ushort v1, v[12:13], off
	s_nop 0
	scratch_load_dword v12, off, off offset:76 ; 4-byte Folded Reload
	s_waitcnt vmcnt(0)
	v_add_u32_e32 v12, s59, v12
	v_mul_hi_u32 v13, s2, v12
	v_add_u32_e32 v13, v12, v13
	v_lshrrev_b32_e32 v13, s3, v13
	v_mul_lo_u32 v13, v13, s92
	v_sub_u32_e32 v12, v12, v13
	v_mad_i64_i32 v[12:13], s[54:55], v12, s80, 0
	v_lshl_add_u64 v[12:13], v[12:13], 1, v[10:11]
	global_load_ushort v12, v[12:13], off
	v_add_u32_e32 v13, 0x900, v114
	ds_write_b16 v13, v1 offset:9216
	v_add_u32_e32 v1, 0xb40, v114
	s_waitcnt vmcnt(0)
	ds_write_b16 v1, v12 offset:9216
	scratch_load_dword v1, off, off offset:80 ; 4-byte Folded Reload
	s_waitcnt vmcnt(0)
	v_add_u32_e32 v1, s59, v1
	v_mul_hi_u32 v12, s2, v1
	v_add_u32_e32 v12, v1, v12
	v_lshrrev_b32_e32 v12, s3, v12
	v_mul_lo_u32 v12, v12, s92
	v_sub_u32_e32 v1, v1, v12
	v_mad_i64_i32 v[12:13], s[54:55], v1, s80, 0
	v_lshl_add_u64 v[12:13], v[12:13], 1, v[10:11]
	global_load_ushort v1, v[12:13], off
	s_nop 0
	scratch_load_dword v12, off, off offset:84 ; 4-byte Folded Reload
	s_waitcnt vmcnt(0)
	v_add_u32_e32 v12, s59, v12
	v_mul_hi_u32 v13, s2, v12
	v_add_u32_e32 v13, v12, v13
	v_lshrrev_b32_e32 v13, s3, v13
	v_mul_lo_u32 v13, v13, s92
	v_sub_u32_e32 v12, v12, v13
	v_mad_i64_i32 v[12:13], s[54:55], v12, s80, 0
	v_lshl_add_u64 v[12:13], v[12:13], 1, v[10:11]
	global_load_ushort v12, v[12:13], off
.LBB0_83:                               ;   in Loop: Header=BB0_13 Depth=1
	s_or_b64 exec, exec, s[52:53]
	v_add_u32_e32 v13, 0xd80, v114
	ds_write_b16 v13, v1 offset:9216
	v_add_u32_e32 v1, 0xfc0, v114
	s_waitcnt vmcnt(0)
	ds_write_b16 v1, v12 offset:9216
	s_and_saveexec_b64 s[52:53], vcc
	s_xor_b64 s[52:53], exec, s[52:53]
	s_cbranch_execz .LBB0_85
; %bb.84:                               ;   in Loop: Header=BB0_13 Depth=1
	v_add_u32_e32 v1, 0x1200, v114
	ds_write_b16 v1, v33 offset:9216
	ds_write_b16 v56, v33 offset:9216
.LBB0_85:                               ;   in Loop: Header=BB0_13 Depth=1
	s_or_saveexec_b64 s[52:53], s[52:53]
	v_mov_b32_e32 v1, 0
	v_mov_b32_e32 v12, 0
	s_xor_b64 exec, exec, s[52:53]
	s_cbranch_execz .LBB0_87
; %bb.86:                               ;   in Loop: Header=BB0_13 Depth=1
	scratch_load_dword v1, off, off offset:88 ; 4-byte Folded Reload
	s_waitcnt vmcnt(0)
	v_add_u32_e32 v1, s59, v1
	v_mul_hi_u32 v12, s2, v1
	v_add_u32_e32 v12, v1, v12
	v_lshrrev_b32_e32 v12, s3, v12
	v_mul_lo_u32 v12, v12, s92
	v_sub_u32_e32 v1, v1, v12
	v_mad_i64_i32 v[12:13], s[54:55], v1, s80, 0
	v_lshl_add_u64 v[12:13], v[12:13], 1, v[10:11]
	global_load_ushort v1, v[12:13], off
	s_nop 0
	scratch_load_dword v12, off, off offset:92 ; 4-byte Folded Reload
	s_waitcnt vmcnt(0)
	v_add_u32_e32 v12, s59, v12
	v_mul_hi_u32 v13, s2, v12
	v_add_u32_e32 v13, v12, v13
	v_lshrrev_b32_e32 v13, s3, v13
	v_mul_lo_u32 v13, v13, s92
	v_sub_u32_e32 v12, v12, v13
	v_mad_i64_i32 v[12:13], s[54:55], v12, s80, 0
	v_lshl_add_u64 v[12:13], v[12:13], 1, v[10:11]
	global_load_ushort v12, v[12:13], off
	v_add_u32_e32 v13, 0x1200, v114
	ds_write_b16 v13, v1 offset:9216
	s_waitcnt vmcnt(0)
	ds_write_b16 v56, v12 offset:9216
	scratch_load_dword v1, off, off offset:96 ; 4-byte Folded Reload
	s_waitcnt vmcnt(0)
	v_add_u32_e32 v1, s59, v1
	v_mul_hi_u32 v12, s2, v1
	v_add_u32_e32 v12, v1, v12
	v_lshrrev_b32_e32 v12, s3, v12
	v_mul_lo_u32 v12, v12, s92
	v_sub_u32_e32 v1, v1, v12
	v_mad_i64_i32 v[12:13], s[54:55], v1, s80, 0
	v_lshl_add_u64 v[12:13], v[12:13], 1, v[10:11]
	global_load_ushort v1, v[12:13], off
	s_nop 0
	scratch_load_dword v12, off, off offset:100 ; 4-byte Folded Reload
	s_waitcnt vmcnt(0)
	v_add_u32_e32 v12, s59, v12
	v_mul_hi_u32 v13, s2, v12
	v_add_u32_e32 v13, v12, v13
	v_lshrrev_b32_e32 v13, s3, v13
	v_mul_lo_u32 v13, v13, s92
	v_sub_u32_e32 v12, v12, v13
	v_mad_i64_i32 v[12:13], s[54:55], v12, s80, 0
	v_lshl_add_u64 v[12:13], v[12:13], 1, v[10:11]
	global_load_ushort v12, v[12:13], off
.LBB0_87:                               ;   in Loop: Header=BB0_13 Depth=1
	s_or_b64 exec, exec, s[52:53]
	ds_write_b16 v58, v1 offset:9216
	s_waitcnt vmcnt(0)
	ds_write_b16 v48, v12 offset:9216
	s_and_saveexec_b64 s[52:53], vcc
	s_xor_b64 s[52:53], exec, s[52:53]
	s_cbranch_execz .LBB0_89
; %bb.88:                               ;   in Loop: Header=BB0_13 Depth=1
	ds_write_b16 v115, v33 offset:9216
	ds_write_b16 v117, v33 offset:9216
                                        ; implicit-def: $vgpr10_vgpr11
.LBB0_89:                               ;   in Loop: Header=BB0_13 Depth=1
	s_or_saveexec_b64 s[52:53], s[52:53]
	v_mov_b32_e32 v1, 0
	v_mov_b32_e32 v12, 0
	s_xor_b64 exec, exec, s[52:53]
	s_cbranch_execz .LBB0_91
; %bb.90:                               ;   in Loop: Header=BB0_13 Depth=1
	scratch_load_dword v1, off, off offset:104 ; 4-byte Folded Reload
	s_waitcnt vmcnt(0)
	v_add_u32_e32 v1, s59, v1
	v_mul_hi_u32 v12, s2, v1
	v_add_u32_e32 v12, v1, v12
	v_lshrrev_b32_e32 v12, s3, v12
	v_mul_lo_u32 v12, v12, s92
	v_sub_u32_e32 v1, v1, v12
	v_mad_i64_i32 v[12:13], s[54:55], v1, s80, 0
	v_lshl_add_u64 v[12:13], v[12:13], 1, v[10:11]
	global_load_ushort v1, v[12:13], off
	s_nop 0
	scratch_load_dword v12, off, off offset:108 ; 4-byte Folded Reload
	s_waitcnt vmcnt(0)
	v_add_u32_e32 v12, s59, v12
	v_mul_hi_u32 v13, s2, v12
	v_add_u32_e32 v13, v12, v13
	v_lshrrev_b32_e32 v13, s3, v13
	v_mul_lo_u32 v13, v13, s92
	v_sub_u32_e32 v12, v12, v13
	v_mad_i64_i32 v[12:13], s[54:55], v12, s80, 0
	v_lshl_add_u64 v[12:13], v[12:13], 1, v[10:11]
	global_load_ushort v12, v[12:13], off
	ds_write_b16 v115, v1 offset:9216
	s_waitcnt vmcnt(0)
	ds_write_b16 v117, v12 offset:9216
	scratch_load_dword v1, off, off offset:112 ; 4-byte Folded Reload
	s_waitcnt vmcnt(0)
	v_add_u32_e32 v1, s59, v1
	v_mul_hi_u32 v12, s2, v1
	v_add_u32_e32 v12, v1, v12
	v_lshrrev_b32_e32 v12, s3, v12
	v_mul_lo_u32 v12, v12, s92
	v_sub_u32_e32 v1, v1, v12
	v_mad_i64_i32 v[12:13], s[54:55], v1, s80, 0
	v_lshl_add_u64 v[12:13], v[12:13], 1, v[10:11]
	global_load_ushort v1, v[12:13], off
	s_nop 0
	scratch_load_dword v12, off, off offset:116 ; 4-byte Folded Reload
	s_waitcnt vmcnt(0)
	v_add_u32_e32 v12, s59, v12
	v_mul_hi_u32 v13, s2, v12
	v_add_u32_e32 v13, v12, v13
	v_lshrrev_b32_e32 v13, s3, v13
	v_mul_lo_u32 v13, v13, s92
	v_sub_u32_e32 v12, v12, v13
	v_mad_i64_i32 v[12:13], s[54:55], v12, s80, 0
	v_lshl_add_u64 v[10:11], v[12:13], 1, v[10:11]
	global_load_ushort v12, v[10:11], off
.LBB0_91:                               ;   in Loop: Header=BB0_13 Depth=1
	s_or_b64 exec, exec, s[52:53]
	ds_write_b16 v121, v1 offset:9216
	s_waitcnt vmcnt(0)
	ds_write_b16 v125, v12 offset:9216
.LBB0_92:                               ;   in Loop: Header=BB0_13 Depth=1
	scratch_load_dwordx2 v[10:11], off, off offset:16 ; 8-byte Folded Reload
	scratch_load_dwordx2 v[12:13], off, off offset:24 ; 8-byte Folded Reload
	s_mul_hi_i32 s53, s36, s90
	s_mul_i32 s52, s36, s90
	s_lshl_b64 s[52:53], s[52:53], 2
	s_add_u32 s58, s39, s52
	s_addc_u32 s59, s40, s53
	v_lshlrev_b32_e32 v32, 2, v38
	s_waitcnt vmcnt(28)
	v_cmp_gt_i32_e64 s[52:53], s88, v75
	v_mov_b32_e32 v1, s43
	s_waitcnt vmcnt(27)
	v_cmp_gt_i32_e64 s[54:55], s88, v76
	scratch_store_dwordx4 off, v[40:43], off
	v_writelane_b32 v127, s74, 43
	s_andn2_b64 vcc, exec, s[56:57]
	s_waitcnt vmcnt(2)
	v_lshl_add_u64 v[10:11], v[10:11], 2, s[58:59]
	v_lshl_add_u64 v[10:11], v[10:11], 0, v[32:33]
	s_waitcnt vmcnt(1)
	v_lshl_add_u64 v[12:13], v[12:13], 2, s[58:59]
	v_cndmask_b32_e64 v11, v1, v11, s[52:53]
	v_cndmask_b32_e64 v10, v39, v10, s[52:53]
	v_lshl_add_u64 v[12:13], v[12:13], 0, v[32:33]
	v_cndmask_b32_e64 v15, v1, v13, s[54:55]
	v_cndmask_b32_e64 v14, v39, v12, s[54:55]
	flat_load_dwordx4 v[10:13], v[10:11]
	v_add_u32_e32 v1, 0x800, v59
	v_writelane_b32 v127, s75, 44
	v_writelane_b32 v127, s76, 25
	s_waitcnt vmcnt(0) lgkmcnt(0)
	ds_write_b128 v53, v[10:13]
	flat_load_dwordx4 v[10:13], v[14:15]
	s_waitcnt vmcnt(0) lgkmcnt(0)
	ds_write_b128 v57, v[10:13]
	s_waitcnt lgkmcnt(0)
	s_barrier
	ds_read2_b64 v[10:13], v59 offset1:4
	s_waitcnt lgkmcnt(0)
	v_mfma_f32_16x16x16_f16 v[14:17], v[10:11], v[6:7], 0
	v_mfma_f32_16x16x16_f16 v[10:13], v[12:13], v[8:9], v[14:17]
	s_nop 6
	ds_read2_b64 v[14:17], v59 offset0:8 offset1:12
	s_waitcnt lgkmcnt(0)
	v_mfma_f32_16x16x16_f16 v[10:13], v[14:15], v[2:3], v[10:13]
	v_mfma_f32_16x16x16_f16 v[22:25], v[16:17], v[4:5], v[10:13]
	s_nop 6
	ds_read2_b64 v[10:13], v1 offset0:32 offset1:36
	;; [unrolled: 5-line block ×3, first 2 shown]
	s_waitcnt lgkmcnt(0)
	v_mfma_f32_16x16x16_f16 v[10:13], v[14:15], v[2:3], v[10:13]
	v_add_u32_e32 v1, 0x1000, v59
	v_mfma_f32_16x16x16_f16 v[18:21], v[16:17], v[4:5], v[10:13]
	s_nop 5
	ds_read2_b64 v[10:13], v1 offset0:64 offset1:68
	s_waitcnt lgkmcnt(0)
	v_mfma_f32_16x16x16_f16 v[14:17], v[10:11], v[6:7], 0
	v_mfma_f32_16x16x16_f16 v[10:13], v[12:13], v[8:9], v[14:17]
	s_nop 6
	ds_read2_b64 v[14:17], v1 offset0:72 offset1:76
	s_waitcnt lgkmcnt(0)
	v_mfma_f32_16x16x16_f16 v[10:13], v[14:15], v[2:3], v[10:13]
	v_add_u32_e32 v1, 0x1800, v59
	v_mfma_f32_16x16x16_f16 v[10:13], v[16:17], v[4:5], v[10:13]
	ds_read2_b64 v[14:17], v1 offset0:96 offset1:100
	s_waitcnt lgkmcnt(0)
	v_mfma_f32_16x16x16_f16 v[44:47], v[14:15], v[6:7], 0
	v_mfma_f32_16x16x16_f16 v[6:9], v[16:17], v[8:9], v[44:47]
	ds_read2_b64 v[14:17], v1 offset0:104 offset1:108
	s_waitcnt lgkmcnt(0)
	s_barrier
	v_mfma_f32_16x16x16_f16 v[6:9], v[14:15], v[2:3], v[6:9]
	v_mfma_f32_16x16x16_f16 v[14:17], v[16:17], v[4:5], v[6:9]
	s_cbranch_vccnz .LBB0_94
; %bb.93:                               ;   in Loop: Header=BB0_13 Depth=1
	ds_read_b32 v1, v0 offset:9216
	s_waitcnt lgkmcnt(0)
	v_cvt_f32_f16_sdwa v3, v1 dst_sel:DWORD dst_unused:UNUSED_PAD src0_sel:WORD_1
	v_cvt_f32_f16_e32 v2, v1
	ds_read_b32 v1, v119 offset:9216
	v_pk_fma_f32 v[22:23], v[60:61], v[2:3], v[22:23] op_sel_hi:[0,1,1]
	s_waitcnt lgkmcnt(0)
	v_cvt_f32_f16_sdwa v5, v1 dst_sel:DWORD dst_unused:UNUSED_PAD src0_sel:WORD_1
	v_cvt_f32_f16_e32 v4, v1
	v_add_u32_e32 v1, 0x2400, v55
	ds_read2_b32 v[2:3], v1 offset1:1
	v_add_u32_e32 v1, 0x2400, v123
	v_pk_fma_f32 v[24:25], v[60:61], v[4:5], v[24:25] op_sel_hi:[0,1,1]
	s_waitcnt lgkmcnt(0)
	v_cvt_f32_f16_e32 v4, v2
	v_cvt_f32_f16_sdwa v5, v2 dst_sel:DWORD dst_unused:UNUSED_PAD src0_sel:WORD_1
	v_cvt_f32_f16_e32 v2, v3
	v_cvt_f32_f16_sdwa v3, v3 dst_sel:DWORD dst_unused:UNUSED_PAD src0_sel:WORD_1
	v_pk_fma_f32 v[18:19], v[60:61], v[4:5], v[18:19] op_sel_hi:[0,1,1]
	v_pk_fma_f32 v[20:21], v[60:61], v[2:3], v[20:21] op_sel_hi:[0,1,1]
	ds_read2_b32 v[2:3], v1 offset1:1
	v_add_u32_e32 v1, 0x2400, v30
	s_waitcnt lgkmcnt(0)
	v_cvt_f32_f16_e32 v4, v2
	v_cvt_f32_f16_sdwa v5, v2 dst_sel:DWORD dst_unused:UNUSED_PAD src0_sel:WORD_1
	v_cvt_f32_f16_e32 v2, v3
	v_cvt_f32_f16_sdwa v3, v3 dst_sel:DWORD dst_unused:UNUSED_PAD src0_sel:WORD_1
	v_pk_fma_f32 v[10:11], v[60:61], v[4:5], v[10:11] op_sel_hi:[0,1,1]
	v_pk_fma_f32 v[12:13], v[60:61], v[2:3], v[12:13] op_sel_hi:[0,1,1]
	ds_read2_b32 v[2:3], v1 offset1:1
	s_waitcnt lgkmcnt(0)
	v_cvt_f32_f16_e32 v4, v2
	v_cvt_f32_f16_sdwa v5, v2 dst_sel:DWORD dst_unused:UNUSED_PAD src0_sel:WORD_1
	v_cvt_f32_f16_e32 v2, v3
	v_cvt_f32_f16_sdwa v3, v3 dst_sel:DWORD dst_unused:UNUSED_PAD src0_sel:WORD_1
	v_pk_fma_f32 v[14:15], v[60:61], v[4:5], v[14:15] op_sel_hi:[0,1,1]
	v_pk_fma_f32 v[16:17], v[60:61], v[2:3], v[16:17] op_sel_hi:[0,1,1]
.LBB0_94:                               ;   in Loop: Header=BB0_13 Depth=1
	scratch_load_dword v4, off, off offset:48 ; 4-byte Folded Reload
	v_add_f32_e32 v1, 0x40051340, v22
	v_max_f32_e32 v2, v61, v61
	v_cmp_gt_u32_e64 s[84:85], s88, v77
	v_max_f32_e32 v1, v2, v1
	v_add_f32_e32 v2, 0x40051340, v23
	v_cndmask_b32_e64 v1, v61, v1, s[84:85]
	v_max_f32_e32 v3, v1, v1
	v_cmp_gt_u32_e64 s[82:83], s88, v84
	v_max_f32_e32 v2, v3, v2
	v_cmp_gt_u32_e64 s[80:81], s88, v85
	v_cndmask_b32_e64 v1, v1, v2, s[82:83]
	v_add_f32_e32 v2, 0x40051340, v24
	v_max_f32_e32 v3, v1, v1
	v_max_f32_e32 v2, v3, v2
	v_cndmask_b32_e64 v1, v1, v2, s[80:81]
	v_add_f32_e32 v2, 0x40051340, v25
	v_max_f32_e32 v3, v1, v1
	v_cmp_gt_u32_e64 s[78:79], s88, v86
	v_max_f32_e32 v2, v3, v2
	v_cmp_gt_u32_e64 s[76:77], s88, v78
	v_cndmask_b32_e64 v1, v1, v2, s[78:79]
	v_add_f32_e32 v2, 0x40051340, v18
	v_max_f32_e32 v3, v1, v1
	v_max_f32_e32 v2, v3, v2
	v_cndmask_b32_e64 v1, v1, v2, s[76:77]
	v_add_f32_e32 v2, 0x40051340, v19
	;; [unrolled: 10-line block ×7, first 2 shown]
	v_max_f32_e32 v3, v1, v1
	v_cmp_gt_u32_e32 vcc, s88, v92
	v_max_f32_e32 v2, v3, v2
	s_waitcnt vmcnt(0)
	v_xor_b32_e32 v3, 32, v4
	v_cndmask_b32_e32 v1, v1, v2, vcc
	v_and_b32_e32 v2, 64, v4
	v_add_u32_e32 v2, 64, v2
	v_cmp_lt_i32_e64 s[88:89], v3, v2
	s_mul_hi_i32 s37, s36, s94
	s_mul_i32 s36, s36, s94
	v_cndmask_b32_e64 v3, v4, v3, s[88:89]
	v_lshlrev_b32_e32 v28, 2, v3
	ds_bpermute_b32 v3, v28, v1
	v_max_f32_e32 v1, v1, v1
	s_lshl_b64 s[36:37], s[36:37], 2
	s_add_u32 s36, s45, s36
	s_addc_u32 s37, s38, s37
	s_waitcnt lgkmcnt(0)
	v_max_f32_e32 v3, v3, v3
	v_max_f32_e32 v1, v1, v3
	v_xor_b32_e32 v3, 16, v4
	v_cmp_lt_i32_e64 s[88:89], v3, v2
	scratch_store_dwordx4 off, v[40:43], off
	s_nop 0
	v_cndmask_b32_e64 v2, v4, v3, s[88:89]
	v_lshlrev_b32_e32 v27, 2, v2
	ds_bpermute_b32 v2, v27, v1
	s_waitcnt lgkmcnt(0)
	v_max_f32_e32 v2, v2, v2
	v_max_f32_e32 v26, v1, v2
	v_sub_f32_e32 v1, v22, v26
	v_mul_f32_e32 v2, 0x3fb8aa3b, v1
	v_fma_f32 v3, v1, s98, -v2
	v_rndne_f32_e32 v4, v2
	v_fmac_f32_e32 v3, 0x32a5705f, v1
	v_sub_f32_e32 v2, v2, v4
	v_add_f32_e32 v2, v2, v3
	v_exp_f32_e32 v2, v2
	v_cvt_i32_f32_e32 v3, v4
	v_cmp_ngt_f32_e64 s[88:89], s93, v1
	v_mov_b32_e32 v22, s43
	v_ldexp_f32 v2, v2, v3
	v_cndmask_b32_e64 v2, 0, v2, s[88:89]
	v_cmp_nlt_f32_e64 s[88:89], s41, v1
	s_nop 1
	v_cndmask_b32_e64 v1, v113, v2, s[88:89]
	v_cndmask_b32_e64 v2, 0, v1, s[84:85]
	v_sub_f32_e32 v1, v23, v26
	v_mul_f32_e32 v3, 0x3fb8aa3b, v1
	v_fma_f32 v4, v1, s98, -v3
	v_rndne_f32_e32 v5, v3
	v_fmac_f32_e32 v4, 0x32a5705f, v1
	v_sub_f32_e32 v3, v3, v5
	v_add_f32_e32 v3, v3, v4
	v_exp_f32_e32 v3, v3
	v_cvt_i32_f32_e32 v4, v5
	v_cmp_ngt_f32_e64 s[84:85], s93, v1
	v_ldexp_f32 v3, v3, v4
	s_nop 0
	v_cndmask_b32_e64 v3, 0, v3, s[84:85]
	v_cmp_nlt_f32_e64 s[84:85], s41, v1
	v_mov_b32_e32 v1, s49
	s_nop 0
	v_cndmask_b32_e64 v3, v113, v3, s[84:85]
	v_add_f32_e32 v4, v3, v2
	v_cndmask_b32_e64 v1, v1, v3, s[82:83]
	v_cndmask_b32_e64 v3, v2, v4, s[82:83]
	v_sub_f32_e32 v4, v24, v26
	v_mul_f32_e32 v5, 0x3fb8aa3b, v4
	v_fma_f32 v6, v4, s98, -v5
	v_rndne_f32_e32 v7, v5
	v_fmac_f32_e32 v6, 0x32a5705f, v4
	v_sub_f32_e32 v5, v5, v7
	v_add_f32_e32 v5, v5, v6
	v_exp_f32_e32 v5, v5
	v_cvt_i32_f32_e32 v6, v7
	v_cmp_ngt_f32_e64 s[82:83], s93, v4
	v_ldexp_f32 v5, v5, v6
	s_nop 0
	v_cndmask_b32_e64 v5, 0, v5, s[82:83]
	v_cmp_nlt_f32_e64 s[82:83], s41, v4
	v_mov_b32_e32 v4, s49
	s_nop 0
	v_cndmask_b32_e64 v5, v113, v5, s[82:83]
	v_add_f32_e32 v6, v3, v5
	;; [unrolled: 20-line block ×3, first 2 shown]
	v_cndmask_b32_e64 v49, v3, v6, s[78:79]
	v_cndmask_b32_e64 v3, v5, v7, s[78:79]
	v_sub_f32_e32 v5, v18, v26
	v_mul_f32_e32 v6, 0x3fb8aa3b, v5
	v_fma_f32 v7, v5, s98, -v6
	v_rndne_f32_e32 v8, v6
	v_fmac_f32_e32 v7, 0x32a5705f, v5
	v_sub_f32_e32 v6, v6, v8
	v_add_f32_e32 v6, v6, v7
	v_exp_f32_e32 v6, v6
	v_cvt_i32_f32_e32 v7, v8
	v_cmp_ngt_f32_e64 s[78:79], s93, v5
	v_ldexp_f32 v6, v6, v7
	s_nop 0
	v_cndmask_b32_e64 v6, 0, v6, s[78:79]
	v_cmp_nlt_f32_e64 s[78:79], s41, v5
	s_nop 1
	v_cndmask_b32_e64 v5, v113, v6, s[78:79]
	v_add_f32_e32 v7, v5, v3
	v_mov_b32_e32 v6, s49
	v_cndmask_b32_e64 v6, v6, v5, s[76:77]
	v_cndmask_b32_e64 v5, v3, v7, s[76:77]
	v_sub_f32_e32 v3, v19, v26
	v_mul_f32_e32 v7, 0x3fb8aa3b, v3
	v_fma_f32 v8, v3, s98, -v7
	v_rndne_f32_e32 v9, v7
	v_fmac_f32_e32 v8, 0x32a5705f, v3
	v_sub_f32_e32 v7, v7, v9
	v_add_f32_e32 v7, v7, v8
	v_exp_f32_e32 v7, v7
	v_cvt_i32_f32_e32 v8, v9
	v_cmp_ngt_f32_e64 s[76:77], s93, v3
	v_ldexp_f32 v7, v7, v8
	s_nop 0
	v_cndmask_b32_e64 v7, 0, v7, s[76:77]
	v_cmp_nlt_f32_e64 s[76:77], s41, v3
	v_mov_b32_e32 v3, s49
	s_nop 0
	v_cndmask_b32_e64 v7, v113, v7, s[76:77]
	v_add_f32_e32 v8, v7, v5
	v_cndmask_b32_e64 v3, v3, v7, s[74:75]
	v_sub_f32_e32 v7, v20, v26
	v_cndmask_b32_e64 v5, v5, v8, s[74:75]
	v_mul_f32_e32 v8, 0x3fb8aa3b, v7
	v_fma_f32 v9, v7, s98, -v8
	v_rndne_f32_e32 v18, v8
	v_fmac_f32_e32 v9, 0x32a5705f, v7
	v_sub_f32_e32 v8, v8, v18
	v_add_f32_e32 v8, v8, v9
	v_exp_f32_e32 v8, v8
	v_cvt_i32_f32_e32 v9, v18
	v_cmp_ngt_f32_e64 s[74:75], s93, v7
	v_ldexp_f32 v8, v8, v9
	s_nop 0
	v_cndmask_b32_e64 v8, 0, v8, s[74:75]
	v_cmp_nlt_f32_e64 s[74:75], s41, v7
	s_nop 1
	v_cndmask_b32_e64 v7, v113, v8, s[74:75]
	v_add_f32_e32 v9, v7, v5
	v_mov_b32_e32 v8, s49
	v_cndmask_b32_e64 v8, v8, v7, s[72:73]
	v_cndmask_b32_e64 v7, v5, v9, s[72:73]
	v_sub_f32_e32 v5, v21, v26
	v_mul_f32_e32 v9, 0x3fb8aa3b, v5
	v_fma_f32 v18, v5, s98, -v9
	v_rndne_f32_e32 v19, v9
	v_fmac_f32_e32 v18, 0x32a5705f, v5
	v_sub_f32_e32 v9, v9, v19
	v_add_f32_e32 v9, v9, v18
	v_exp_f32_e32 v9, v9
	v_cvt_i32_f32_e32 v18, v19
	v_cmp_ngt_f32_e64 s[72:73], s93, v5
	v_readlane_b32 s74, v127, 43
	v_readlane_b32 s75, v127, 44
	v_ldexp_f32 v9, v9, v18
	v_cndmask_b32_e64 v9, 0, v9, s[72:73]
	v_cmp_nlt_f32_e64 s[72:73], s41, v5
	v_mov_b32_e32 v5, s49
	s_cmp_eq_u64 s[74:75], 0
	v_cndmask_b32_e64 v9, v113, v9, s[72:73]
	v_add_f32_e32 v18, v9, v7
	v_cndmask_b32_e64 v64, v5, v9, s[70:71]
	v_cndmask_b32_e64 v5, v7, v18, s[70:71]
	v_sub_f32_e32 v7, v10, v26
	v_mul_f32_e32 v9, 0x3fb8aa3b, v7
	v_fma_f32 v10, v7, s98, -v9
	v_rndne_f32_e32 v18, v9
	v_fmac_f32_e32 v10, 0x32a5705f, v7
	v_sub_f32_e32 v9, v9, v18
	v_add_f32_e32 v9, v9, v10
	v_exp_f32_e32 v9, v9
	v_cvt_i32_f32_e32 v10, v18
	v_cmp_ngt_f32_e64 s[70:71], s93, v7
	scratch_load_dwordx2 v[20:21], off, off offset:40 ; 8-byte Folded Reload
	v_ldexp_f32 v9, v9, v10
	v_cndmask_b32_e64 v9, 0, v9, s[70:71]
	v_cmp_nlt_f32_e64 s[70:71], s41, v7
	v_mov_b32_e32 v10, s49
	s_waitcnt vmcnt(0)
	v_lshl_add_u64 v[20:21], v[20:21], 2, s[36:37]
	v_cndmask_b32_e64 v7, v113, v9, s[70:71]
	v_add_f32_e32 v9, v7, v5
	v_cndmask_b32_e64 v10, v10, v7, s[68:69]
	v_cndmask_b32_e64 v7, v5, v9, s[68:69]
	v_sub_f32_e32 v5, v11, v26
	v_mul_f32_e32 v9, 0x3fb8aa3b, v5
	v_fma_f32 v11, v5, s98, -v9
	v_rndne_f32_e32 v18, v9
	v_fmac_f32_e32 v11, 0x32a5705f, v5
	v_sub_f32_e32 v9, v9, v18
	v_add_f32_e32 v9, v9, v11
	v_exp_f32_e32 v9, v9
	v_cvt_i32_f32_e32 v11, v18
	v_cmp_ngt_f32_e64 s[68:69], s93, v5
	v_lshl_add_u64 v[20:21], v[20:21], 0, v[32:33]
	v_cndmask_b32_e64 v23, v22, v21, s[54:55]
	v_ldexp_f32 v9, v9, v11
	v_cndmask_b32_e64 v9, 0, v9, s[68:69]
	v_cmp_nlt_f32_e64 s[68:69], s41, v5
	v_mov_b32_e32 v5, s49
	s_nop 0
	v_cndmask_b32_e64 v9, v113, v9, s[68:69]
	v_add_f32_e32 v11, v9, v7
	v_cndmask_b32_e64 v5, v5, v9, s[66:67]
	v_sub_f32_e32 v9, v12, v26
	v_cndmask_b32_e64 v7, v7, v11, s[66:67]
	v_mul_f32_e32 v11, 0x3fb8aa3b, v9
	v_fma_f32 v12, v9, s98, -v11
	v_rndne_f32_e32 v18, v11
	v_fmac_f32_e32 v12, 0x32a5705f, v9
	v_sub_f32_e32 v11, v11, v18
	v_add_f32_e32 v11, v11, v12
	v_exp_f32_e32 v11, v11
	v_cvt_i32_f32_e32 v12, v18
	v_cmp_ngt_f32_e64 s[66:67], s93, v9
	v_ldexp_f32 v11, v11, v12
	s_nop 0
	v_cndmask_b32_e64 v11, 0, v11, s[66:67]
	v_cmp_nlt_f32_e64 s[66:67], s41, v9
	v_mov_b32_e32 v12, s49
	s_nop 0
	v_cndmask_b32_e64 v9, v113, v11, s[66:67]
	v_add_f32_e32 v11, v9, v7
	v_cndmask_b32_e64 v12, v12, v9, s[64:65]
	v_cndmask_b32_e64 v9, v7, v11, s[64:65]
	v_sub_f32_e32 v7, v13, v26
	v_mul_f32_e32 v11, 0x3fb8aa3b, v7
	v_fma_f32 v13, v7, s98, -v11
	v_rndne_f32_e32 v18, v11
	v_fmac_f32_e32 v13, 0x32a5705f, v7
	v_sub_f32_e32 v11, v11, v18
	v_add_f32_e32 v11, v11, v13
	v_exp_f32_e32 v11, v11
	v_cvt_i32_f32_e32 v13, v18
	v_cmp_ngt_f32_e64 s[64:65], s93, v7
	v_ldexp_f32 v11, v11, v13
	s_nop 0
	v_cndmask_b32_e64 v11, 0, v11, s[64:65]
	v_cmp_nlt_f32_e64 s[64:65], s41, v7
	v_mov_b32_e32 v7, s49
	s_nop 0
	v_cndmask_b32_e64 v11, v113, v11, s[64:65]
	v_add_f32_e32 v13, v11, v9
	v_cndmask_b32_e64 v11, v7, v11, s[62:63]
	v_cndmask_b32_e64 v7, v9, v13, s[62:63]
	v_sub_f32_e32 v9, v14, v26
	;; [unrolled: 20-line block ×3, first 2 shown]
	v_mul_f32_e32 v13, 0x3fb8aa3b, v7
	v_fma_f32 v15, v7, s98, -v13
	v_rndne_f32_e32 v18, v13
	v_fmac_f32_e32 v15, 0x32a5705f, v7
	v_sub_f32_e32 v13, v13, v18
	v_add_f32_e32 v13, v13, v15
	v_exp_f32_e32 v13, v13
	v_cvt_i32_f32_e32 v15, v18
	v_cmp_ngt_f32_e64 s[60:61], s93, v7
	v_ldexp_f32 v13, v13, v15
	s_nop 0
	v_cndmask_b32_e64 v13, 0, v13, s[60:61]
	v_cmp_nlt_f32_e64 s[60:61], s41, v7
	v_mov_b32_e32 v7, s49
	s_nop 0
	v_cndmask_b32_e64 v13, v113, v13, s[60:61]
	v_add_f32_e32 v15, v13, v9
	v_cndmask_b32_e64 v7, v7, v13, s[58:59]
	v_sub_f32_e32 v13, v16, v26
	v_cndmask_b32_e64 v9, v9, v15, s[58:59]
	v_mul_f32_e32 v15, 0x3fb8aa3b, v13
	v_fma_f32 v16, v13, s98, -v15
	v_rndne_f32_e32 v18, v15
	v_fmac_f32_e32 v16, 0x32a5705f, v13
	v_sub_f32_e32 v15, v15, v18
	v_add_f32_e32 v15, v15, v16
	v_exp_f32_e32 v15, v15
	v_cvt_i32_f32_e32 v16, v18
	v_cmp_ngt_f32_e64 s[58:59], s93, v13
	v_ldexp_f32 v15, v15, v16
	s_nop 0
	v_cndmask_b32_e64 v15, 0, v15, s[58:59]
	v_cmp_nlt_f32_e64 s[58:59], s41, v13
	v_mov_b32_e32 v16, s49
	s_nop 0
	v_cndmask_b32_e64 v13, v113, v15, s[58:59]
	v_add_f32_e32 v15, v13, v9
	v_cndmask_b32_e64 v16, v16, v13, s[56:57]
	v_cndmask_b32_e64 v13, v9, v15, s[56:57]
	v_sub_f32_e32 v9, v17, v26
	v_mul_f32_e32 v15, 0x3fb8aa3b, v9
	v_fma_f32 v17, v9, s98, -v15
	v_rndne_f32_e32 v18, v15
	v_fmac_f32_e32 v17, 0x32a5705f, v9
	v_sub_f32_e32 v15, v15, v18
	v_add_f32_e32 v15, v15, v17
	v_exp_f32_e32 v15, v15
	v_cvt_i32_f32_e32 v17, v18
	v_cmp_ngt_f32_e64 s[56:57], s93, v9
	v_ldexp_f32 v15, v15, v17
	s_nop 0
	v_cndmask_b32_e64 v15, 0, v15, s[56:57]
	v_cmp_nlt_f32_e64 s[56:57], s41, v9
	v_mov_b32_e32 v9, s49
	s_nop 0
	v_cndmask_b32_e64 v15, v113, v15, s[56:57]
	v_add_f32_e32 v17, v15, v13
	v_cndmask_b32_e32 v65, v9, v15, vcc
	v_sub_f32_e32 v9, v61, v26
	v_cndmask_b32_e32 v15, v13, v17, vcc
	v_mul_f32_e32 v13, 0x3fb8aa3b, v9
	v_fma_f32 v17, v9, s98, -v13
	v_rndne_f32_e32 v18, v13
	v_fmac_f32_e32 v17, 0x32a5705f, v9
	v_sub_f32_e32 v13, v13, v18
	v_add_f32_e32 v13, v13, v17
	v_cvt_i32_f32_e32 v17, v18
	scratch_load_dwordx2 v[18:19], off, off offset:32 ; 8-byte Folded Reload
	v_exp_f32_e32 v13, v13
	v_cmp_ngt_f32_e32 vcc, s93, v9
	v_ldexp_f32 v13, v13, v17
	s_nop 0
	v_cndmask_b32_e32 v13, 0, v13, vcc
	v_cmp_nlt_f32_e32 vcc, s41, v9
	s_waitcnt vmcnt(0)
	v_lshl_add_u64 v[18:19], v[18:19], 2, s[36:37]
	v_lshl_add_u64 v[18:19], v[18:19], 0, v[32:33]
	v_cndmask_b32_e64 v19, v22, v19, s[52:53]
	v_cndmask_b32_e64 v18, v39, v18, s[52:53]
	;; [unrolled: 1-line block ×3, first 2 shown]
	flat_load_dwordx4 v[18:21], v[18:19]
	v_cndmask_b32_e32 v13, v113, v13, vcc
	v_cmp_le_f32_e32 vcc, s42, v9
	s_waitcnt vmcnt(0) lgkmcnt(0)
	ds_write_b128 v53, v[18:21]
	flat_load_dwordx4 v[18:21], v[22:23]
	v_cndmask_b32_e32 v9, 0, v13, vcc
	v_fmac_f32_e32 v15, v36, v9
	v_cvt_f16_f32_e32 v9, v9
	v_mul_u32_u24_e32 v17, 0x10001, v9
	v_pk_mul_f16 v13, v106, v17
	v_pk_mul_f16 v66, v100, v17
	;; [unrolled: 1-line block ×8, first 2 shown]
	v_cvt_f32_f16_e32 v46, v13
	v_cvt_f32_f16_sdwa v47, v13 dst_sel:DWORD dst_unused:UNUSED_PAD src0_sel:WORD_1
	v_cvt_f32_f16_e32 v44, v66
	v_cvt_f32_f16_sdwa v45, v66 dst_sel:DWORD dst_unused:UNUSED_PAD src0_sel:WORD_1
	s_waitcnt vmcnt(0) lgkmcnt(0)
	ds_write_b128 v57, v[18:21]
	s_waitcnt lgkmcnt(0)
	s_barrier
	ds_read_u16 v18, v31 offset:144
	ds_read_u16 v13, v37
	ds_read_u16 v29, v37 offset:32
	ds_read_u16 v19, v110
	ds_read_u16 v32, v110 offset:32
	v_cvt_pk_f16_f32 v21, v4, v49
	v_cvt_pk_f16_f32 v20, v2, v1
	s_waitcnt lgkmcnt(1)
	v_perm_b32 v19, v19, v13, s99
	ds_read_u16 v13, v31
	ds_read_u16 v52, v31 offset:32
	s_waitcnt lgkmcnt(1)
	v_perm_b32 v18, v18, v13, s99
	s_nop 1
	v_mfma_f32_16x16x16_f16 v[44:47], v[18:19], v[20:21], v[44:47]
	ds_read_u16 v18, v31 offset:2304
	ds_read_u16 v19, v31 offset:2448
	;; [unrolled: 1-line block ×4, first 2 shown]
	s_nop 3
	v_cvt_f16_f32_e32 v1, v44
	v_cvt_f16_f32_e32 v2, v45
	;; [unrolled: 1-line block ×4, first 2 shown]
	s_waitcnt lgkmcnt(0)
	v_perm_b32 v23, v23, v22, s99
	v_perm_b32 v22, v19, v18, s99
	v_cvt_f32_f16_e32 v44, v1
	v_cvt_f32_f16_e32 v45, v2
	;; [unrolled: 1-line block ×4, first 2 shown]
	v_cvt_pk_f16_f32 v19, v8, v64
	v_cvt_pk_f16_f32 v18, v6, v3
	s_nop 1
	v_mfma_f32_16x16x16_f16 v[44:47], v[22:23], v[18:19], v[44:47]
	ds_read_u16 v6, v31 offset:4608
	ds_read_u16 v8, v31 offset:4752
	;; [unrolled: 1-line block ×4, first 2 shown]
	s_nop 3
	v_cvt_f16_f32_e32 v2, v45
	v_cvt_f16_f32_e32 v3, v46
	;; [unrolled: 1-line block ×4, first 2 shown]
	v_cvt_f32_f16_e32 v45, v2
	v_cvt_f32_f16_e32 v46, v3
	s_waitcnt lgkmcnt(0)
	v_perm_b32 v3, v22, v13, s99
	v_perm_b32 v2, v8, v6, s99
	v_cvt_f32_f16_e32 v44, v1
	v_cvt_f32_f16_e32 v47, v4
	v_cvt_pk_f16_f32 v13, v12, v11
	v_cvt_pk_f16_f32 v12, v10, v5
	ds_read_u16 v6, v31 offset:6912
	ds_read_u16 v8, v31 offset:7056
	;; [unrolled: 1-line block ×4, first 2 shown]
	v_mfma_f32_16x16x16_f16 v[2:5], v[2:3], v[12:13], v[44:47]
	s_waitcnt lgkmcnt(2)
	v_perm_b32 v22, v8, v6, s99
	ds_read_u16 v8, v31 offset:176
	s_waitcnt lgkmcnt(1)
	v_perm_b32 v23, v11, v10, s99
	v_cvt_pk_f16_f32 v11, v16, v65
	s_nop 1
	v_cvt_f16_f32_e32 v1, v2
	v_cvt_f16_f32_e32 v3, v3
	;; [unrolled: 1-line block ×4, first 2 shown]
	v_cvt_f32_f16_e32 v2, v1
	v_cvt_f32_f16_e32 v3, v3
	;; [unrolled: 1-line block ×4, first 2 shown]
	v_cvt_pk_f16_f32 v10, v14, v7
	v_cvt_f32_f16_e32 v6, v36
	v_cvt_f32_f16_sdwa v7, v36 dst_sel:DWORD dst_unused:UNUSED_PAD src0_sel:WORD_1
	v_mfma_f32_16x16x16_f16 v[2:5], v[22:23], v[10:11], v[2:5]
	v_perm_b32 v23, v32, v29, s99
	s_waitcnt lgkmcnt(0)
	v_perm_b32 v22, v8, v52, s99
	s_nop 4
	v_cvt_f16_f32_e32 v1, v4
	v_cvt_f16_f32_e32 v4, v5
	v_cvt_f32_f16_sdwa v5, v61 dst_sel:DWORD dst_unused:UNUSED_PAD src0_sel:WORD_1
	v_perm_b32 v1, v4, v1, s99
	v_cvt_f32_f16_e32 v4, v61
	s_nop 1
	v_mfma_f32_16x16x16_f16 v[4:7], v[22:23], v[20:21], v[4:7]
	ds_read_u16 v8, v31 offset:2336
	ds_read_u16 v14, v31 offset:2480
	ds_read_u16 v16, v37 offset:2336
	ds_read_u16 v22, v110 offset:2336
	s_nop 3
	v_cvt_f16_f32_e32 v4, v4
	v_cvt_f16_f32_e32 v5, v5
	v_cvt_f16_f32_e32 v6, v6
	v_cvt_f16_f32_e32 v7, v7
	s_waitcnt lgkmcnt(0)
	v_perm_b32 v23, v22, v16, s99
	v_perm_b32 v22, v14, v8, s99
	v_cvt_f32_f16_e32 v4, v4
	v_cvt_f32_f16_e32 v5, v5
	v_cvt_f32_f16_e32 v6, v6
	v_cvt_f32_f16_e32 v7, v7
	s_nop 1
	v_mfma_f32_16x16x16_f16 v[4:7], v[22:23], v[18:19], v[4:7]
	ds_read_u16 v8, v31 offset:4640
	ds_read_u16 v14, v31 offset:4784
	ds_read_u16 v16, v37 offset:4640
	ds_read_u16 v22, v110 offset:4640
	s_nop 3
	v_cvt_f16_f32_e32 v4, v4
	v_cvt_f16_f32_e32 v5, v5
	v_cvt_f16_f32_e32 v6, v6
	v_cvt_f16_f32_e32 v7, v7
	s_waitcnt lgkmcnt(0)
	v_perm_b32 v23, v22, v16, s99
	v_perm_b32 v22, v14, v8, s99
	v_cvt_f32_f16_e32 v4, v4
	v_cvt_f32_f16_e32 v5, v5
	v_cvt_f32_f16_e32 v6, v6
	;; [unrolled: 18-line block ×3, first 2 shown]
	v_cvt_f32_f16_e32 v7, v7
	v_cvt_f32_f16_e32 v8, v9
	v_cvt_f32_f16_sdwa v9, v9 dst_sel:DWORD dst_unused:UNUSED_PAD src0_sel:WORD_1
	v_mfma_f32_16x16x16_f16 v[4:7], v[22:23], v[10:11], v[4:7]
	ds_read_u16 v16, v31 offset:64
	ds_read_u16 v22, v31 offset:208
	;; [unrolled: 1-line block ×4, first 2 shown]
	s_nop 3
	v_cvt_f16_f32_e32 v6, v6
	v_cvt_f16_f32_e32 v7, v7
	s_waitcnt lgkmcnt(0)
	v_perm_b32 v23, v29, v23, s99
	v_perm_b32 v22, v22, v16, s99
	;; [unrolled: 1-line block ×3, first 2 shown]
	v_cvt_f32_f16_e32 v6, v25
	v_cvt_f32_f16_sdwa v7, v25 dst_sel:DWORD dst_unused:UNUSED_PAD src0_sel:WORD_1
	s_nop 1
	v_mfma_f32_16x16x16_f16 v[6:9], v[22:23], v[20:21], v[6:9]
	ds_read_u16 v16, v31 offset:2368
	ds_read_u16 v22, v31 offset:2512
	ds_read_u16 v23, v37 offset:2368
	ds_read_u16 v25, v110 offset:2368
	s_nop 3
	v_cvt_f16_f32_e32 v6, v6
	v_cvt_f16_f32_e32 v7, v7
	v_cvt_f16_f32_e32 v8, v8
	v_cvt_f16_f32_e32 v9, v9
	s_waitcnt lgkmcnt(0)
	v_perm_b32 v23, v25, v23, s99
	v_perm_b32 v22, v22, v16, s99
	v_cvt_f32_f16_e32 v6, v6
	v_cvt_f32_f16_e32 v7, v7
	v_cvt_f32_f16_e32 v8, v8
	v_cvt_f32_f16_e32 v9, v9
	s_nop 1
	v_mfma_f32_16x16x16_f16 v[6:9], v[22:23], v[18:19], v[6:9]
	ds_read_u16 v16, v31 offset:4672
	ds_read_u16 v22, v31 offset:4816
	ds_read_u16 v23, v37 offset:4672
	ds_read_u16 v25, v110 offset:4672
	s_nop 3
	v_cvt_f16_f32_e32 v6, v6
	v_cvt_f16_f32_e32 v7, v7
	v_cvt_f16_f32_e32 v8, v8
	v_cvt_f16_f32_e32 v9, v9
	s_waitcnt lgkmcnt(0)
	v_perm_b32 v23, v25, v23, s99
	v_perm_b32 v22, v22, v16, s99
	v_cvt_f32_f16_e32 v6, v6
	v_cvt_f32_f16_e32 v7, v7
	v_cvt_f32_f16_e32 v8, v8
	v_cvt_f32_f16_e32 v9, v9
	;; [unrolled: 18-line block ×3, first 2 shown]
	v_cvt_f32_f16_sdwa v25, v17 dst_sel:DWORD dst_unused:UNUSED_PAD src0_sel:WORD_1
	s_nop 0
	v_mfma_f32_16x16x16_f16 v[6:9], v[22:23], v[10:11], v[6:9]
	v_cvt_f32_f16_e32 v22, v24
	v_cvt_f32_f16_sdwa v23, v24 dst_sel:DWORD dst_unused:UNUSED_PAD src0_sel:WORD_1
	v_cvt_f32_f16_e32 v24, v17
	s_nop 4
	v_cvt_f16_f32_e32 v8, v8
	v_cvt_f16_f32_e32 v9, v9
	v_perm_b32 v16, v9, v8, s99
	ds_read_u16 v8, v31 offset:96
	ds_read_u16 v29, v31 offset:240
	;; [unrolled: 1-line block ×4, first 2 shown]
	s_waitcnt lgkmcnt(2)
	v_perm_b32 v8, v29, v8, s99
	s_waitcnt lgkmcnt(0)
	v_perm_b32 v9, v32, v9, s99
	s_nop 1
	v_mfma_f32_16x16x16_f16 v[20:23], v[8:9], v[20:21], v[22:25]
	s_nop 7
	v_cvt_f16_f32_e32 v9, v20
	v_cvt_f16_f32_e32 v17, v21
	v_cvt_f16_f32_e32 v20, v22
	v_cvt_f16_f32_e32 v21, v23
	ds_read_u16 v8, v31 offset:2400
	ds_read_u16 v22, v31 offset:2544
	;; [unrolled: 1-line block ×4, first 2 shown]
	v_cvt_f32_f16_e32 v44, v9
	v_cvt_f32_f16_e32 v45, v17
	s_waitcnt lgkmcnt(2)
	v_perm_b32 v8, v22, v8, s99
	v_cvt_f32_f16_e32 v46, v20
	s_waitcnt lgkmcnt(0)
	v_perm_b32 v9, v24, v23, s99
	v_cvt_f32_f16_e32 v47, v21
	ds_read_u16 v22, v31 offset:4704
	ds_read_u16 v23, v31 offset:4848
	;; [unrolled: 1-line block ×4, first 2 shown]
	v_mfma_f32_16x16x16_f16 v[18:21], v[8:9], v[18:19], v[44:47]
	s_nop 7
	v_cvt_f16_f32_e32 v8, v18
	v_cvt_f16_f32_e32 v9, v19
	;; [unrolled: 1-line block ×4, first 2 shown]
	v_cvt_f32_f16_e32 v18, v8
	v_cvt_f32_f16_e32 v19, v9
	s_waitcnt lgkmcnt(0)
	v_perm_b32 v9, v25, v24, s99
	v_perm_b32 v8, v23, v22, s99
	v_cvt_f32_f16_e32 v20, v17
	v_cvt_f32_f16_e32 v21, v21
	s_nop 1
	v_mfma_f32_16x16x16_f16 v[18:21], v[8:9], v[12:13], v[18:21]
	s_nop 7
	v_cvt_f16_f32_e32 v13, v19
	v_cvt_f16_f32_e32 v17, v20
	ds_read_u16 v8, v31 offset:7008
	ds_read_u16 v9, v31 offset:7152
	;; [unrolled: 1-line block ×4, first 2 shown]
	v_cvt_f16_f32_e32 v12, v18
	v_cvt_f16_f32_e32 v18, v21
	v_cvt_f32_f16_e32 v23, v13
	v_cvt_f32_f16_e32 v24, v17
	;; [unrolled: 1-line block ×3, first 2 shown]
	s_waitcnt lgkmcnt(0)
	v_perm_b32 v13, v20, v19, s99
	v_perm_b32 v12, v9, v8, s99
	v_cvt_f32_f16_e32 v25, v18
	s_barrier
	s_nop 0
	v_mfma_f32_16x16x16_f16 v[8:11], v[12:13], v[10:11], v[22:25]
	s_nop 7
	v_cvt_f16_f32_e32 v10, v10
	v_cvt_f16_f32_e32 v11, v11
	v_perm_b32 v10, v11, v10, s99
	ds_bpermute_b32 v11, v28, v15
	s_waitcnt lgkmcnt(0)
	v_add_f32_e32 v11, v15, v11
	ds_bpermute_b32 v12, v27, v11
	s_waitcnt lgkmcnt(0)
	v_add_f32_e32 v27, v11, v12
	s_cbranch_scc1 .LBB0_96
; %bb.95:                               ;   in Loop: Header=BB0_13 Depth=1
	v_cvt_pk_f16_f32 v5, v4, v5
	global_load_dword v4, v33, s[74:75]
	v_cvt_pk_f16_f32 v3, v2, v3
	v_cvt_pk_f16_f32 v6, v6, v7
	;; [unrolled: 1-line block ×3, first 2 shown]
	v_max_f32_e32 v8, v26, v26
	s_waitcnt vmcnt(0)
	v_max_f32_e32 v2, v4, v4
	v_max_f32_e32 v2, v8, v2
	v_sub_f32_e32 v8, v26, v2
	v_mul_f32_e32 v9, 0x3fb8aa3b, v8
	v_fma_f32 v11, v8, s98, -v9
	v_rndne_f32_e32 v12, v9
	v_fmac_f32_e32 v11, 0x32a5705f, v8
	v_sub_f32_e32 v9, v9, v12
	v_add_f32_e32 v9, v9, v11
	v_exp_f32_e32 v9, v9
	v_cvt_i32_f32_e32 v11, v12
	v_cmp_ngt_f32_e32 vcc, s93, v8
	v_ldexp_f32 v9, v9, v11
	s_nop 0
	v_cndmask_b32_e32 v9, 0, v9, vcc
	v_cmp_nlt_f32_e32 vcc, s41, v8
	s_nop 1
	v_cndmask_b32_e32 v9, v113, v9, vcc
	v_cmp_le_f32_e32 vcc, s42, v8
	s_nop 1
	v_cndmask_b32_e32 v8, 0, v9, vcc
	v_sub_f32_e32 v9, v4, v2
	v_cvt_f16_f32_e32 v4, v8
	v_cmp_ngt_f32_e32 vcc, s93, v9
	v_mul_u32_u24_e32 v11, 0x10001, v4
	v_pk_mul_f16 v4, v3, v11
	v_mul_f32_e32 v3, 0x3fb8aa3b, v9
	v_pk_mul_f16 v1, v1, v11
	v_pk_mul_f16 v5, v5, v11
	;; [unrolled: 1-line block ×7, first 2 shown]
	v_fma_f32 v11, v9, s98, -v3
	v_rndne_f32_e32 v12, v3
	v_fmac_f32_e32 v11, 0x32a5705f, v9
	v_sub_f32_e32 v3, v3, v12
	v_add_f32_e32 v3, v3, v11
	v_exp_f32_e32 v3, v3
	v_cvt_i32_f32_e32 v11, v12
	v_ldexp_f32 v3, v3, v11
	v_cndmask_b32_e32 v3, 0, v3, vcc
	v_cmp_nlt_f32_e32 vcc, s41, v9
	s_nop 1
	v_cndmask_b32_e32 v3, v113, v3, vcc
	v_fmac_f32_e32 v3, v27, v8
	v_mov_b64_e32 v[26:27], v[2:3]
	s_branch .LBB0_97
.LBB0_96:                               ;   in Loop: Header=BB0_13 Depth=1
	v_cvt_f16_f32_e32 v2, v2
	v_cvt_f16_f32_e32 v3, v3
	v_cvt_f16_f32_e32 v11, v4
	v_cvt_f16_f32_e32 v5, v5
	v_cvt_f16_f32_e32 v6, v6
	v_cvt_f16_f32_e32 v7, v7
	v_cvt_f16_f32_e32 v8, v8
	v_cvt_f16_f32_e32 v9, v9
	v_perm_b32 v4, v3, v2, s99
	v_perm_b32 v5, v5, v11, s99
	;; [unrolled: 1-line block ×4, first 2 shown]
.LBB0_97:                               ;   in Loop: Header=BB0_13 Depth=1
	v_readlane_b32 s76, v127, 7
	v_readlane_b32 s72, v127, 23
	;; [unrolled: 1-line block ×8, first 2 shown]
	s_barrier
	s_mov_b64 s[36:37], exec
	v_readlane_b32 s52, v126, 53
	v_readlane_b32 s53, v126, 54
	s_and_b64 s[52:53], s[36:37], s[52:53]
	v_readlane_b32 s80, v127, 4
	v_readlane_b32 s82, v127, 6
	;; [unrolled: 1-line block ×4, first 2 shown]
	s_mov_b64 exec, s[52:53]
	s_cbranch_execz .LBB0_99
; %bb.98:                               ;   in Loop: Header=BB0_13 Depth=1
	scratch_load_dwordx2 v[2:3], off, off offset:288 ; 8-byte Folded Reload
	s_waitcnt vmcnt(0)
	global_store_dwordx2 v[2:3], v[26:27], off
.LBB0_99:                               ;   in Loop: Header=BB0_13 Depth=1
	s_or_b64 exec, exec, s[36:37]
	scratch_load_dword v2, off, off offset:128 ; 4-byte Folded Reload
	s_waitcnt vmcnt(0)
	ds_write2_b32 v2, v4, v1 offset1:1
	ds_write2_b32 v2, v5, v14 offset0:8 offset1:9
	ds_write2_b32 v2, v6, v16 offset0:16 offset1:17
	;; [unrolled: 1-line block ×3, first 2 shown]
	v_mov_b32_e32 v1, 50
	s_waitcnt lgkmcnt(0)
	s_barrier
	s_mov_b64 s[36:37], exec
	v_readlane_b32 s52, v127, 27
	v_readlane_b32 s53, v127, 28
	s_and_b64 s[52:53], s[36:37], s[52:53]
	s_mov_b64 exec, s[52:53]
	s_cbranch_execz .LBB0_101
; %bb.100:                              ;   in Loop: Header=BB0_13 Depth=1
	v_add_u32_e32 v1, v112, v93
	ds_read_b32 v1, v1
	v_readlane_b32 s52, v126, 55
	s_waitcnt lgkmcnt(0)
	v_cvt_f32_f16_e32 v2, v1
	v_cvt_f32_f16_sdwa v3, v1 dst_sel:DWORD dst_unused:UNUSED_PAD src0_sel:WORD_1
	v_mul_lo_u32 v4, s52, v108
	v_or_b32_e32 v4, v4, v68
	v_ashrrev_i32_e32 v5, 31, v4
	v_lshl_add_u64 v[4:5], v[4:5], 3, s[72:73]
	v_pk_add_f32 v[2:3], v[2:3], 0 op_sel_hi:[1,0]
	v_mov_b32_e32 v1, 0
	global_store_dwordx2 v[4:5], v[2:3], off
.LBB0_101:                              ;   in Loop: Header=BB0_13 Depth=1
	s_or_b64 exec, exec, s[36:37]
	v_cmp_gt_i32_e32 vcc, 50, v1
	s_mov_b64 s[56:57], -1
	s_and_saveexec_b64 s[36:37], vcc
; %bb.102:                              ;   in Loop: Header=BB0_13 Depth=1
	v_cmp_eq_u32_e32 vcc, 0, v1
	s_orn2_b64 s[56:57], vcc, exec
; %bb.103:                              ;   in Loop: Header=BB0_13 Depth=1
	s_or_b64 exec, exec, s[36:37]
	s_mov_b64 s[52:53], 0
	s_mov_b64 s[36:37], 0
                                        ; implicit-def: $vgpr2_vgpr3
	s_and_saveexec_b64 s[54:55], s[56:57]
	s_cbranch_execz .LBB0_143
; %bb.104:                              ;   in Loop: Header=BB0_13 Depth=1
	v_mov_b32_e32 v1, 50
	s_mov_b64 s[36:37], exec
	v_readlane_b32 s56, v127, 29
	v_readlane_b32 s57, v127, 30
	s_and_b64 s[56:57], s[36:37], s[56:57]
	s_mov_b64 exec, s[56:57]
	s_cbranch_execz .LBB0_106
; %bb.105:                              ;   in Loop: Header=BB0_13 Depth=1
	v_add_u32_e32 v1, v112, v93
	ds_read_b32 v1, v1 offset:1152
	v_readlane_b32 s56, v126, 55
	s_waitcnt lgkmcnt(0)
	v_cvt_f32_f16_e32 v2, v1
	v_cvt_f32_f16_sdwa v3, v1 dst_sel:DWORD dst_unused:UNUSED_PAD src0_sel:WORD_1
	v_mul_lo_u32 v4, s56, v107
	v_or_b32_e32 v4, v4, v68
	v_ashrrev_i32_e32 v5, 31, v4
	v_lshl_add_u64 v[4:5], v[4:5], 3, s[72:73]
	v_pk_add_f32 v[2:3], v[2:3], 0 op_sel_hi:[1,0]
	v_mov_b32_e32 v1, 0
	global_store_dwordx2 v[4:5], v[2:3], off
.LBB0_106:                              ;   in Loop: Header=BB0_13 Depth=1
	s_or_b64 exec, exec, s[36:37]
	v_cmp_gt_i32_e32 vcc, 50, v1
	s_mov_b64 s[58:59], -1
	s_and_saveexec_b64 s[36:37], vcc
; %bb.107:                              ;   in Loop: Header=BB0_13 Depth=1
	v_cmp_eq_u32_e32 vcc, 0, v1
	s_orn2_b64 s[58:59], vcc, exec
; %bb.108:                              ;   in Loop: Header=BB0_13 Depth=1
	s_or_b64 exec, exec, s[36:37]
	s_mov_b64 s[56:57], 0
                                        ; implicit-def: $vgpr2_vgpr3
	s_and_saveexec_b64 s[36:37], s[58:59]
	s_cbranch_execz .LBB0_142
; %bb.109:                              ;   in Loop: Header=BB0_13 Depth=1
	v_mov_b32_e32 v1, 50
	s_mov_b64 s[56:57], exec
	v_readlane_b32 s58, v127, 31
	v_readlane_b32 s59, v127, 32
	s_and_b64 s[58:59], s[56:57], s[58:59]
	s_mov_b64 exec, s[58:59]
	s_cbranch_execz .LBB0_111
; %bb.110:                              ;   in Loop: Header=BB0_13 Depth=1
	scratch_load_dword v1, off, off offset:352 ; 4-byte Folded Reload
	scratch_load_dword v2, off, off offset:56 ; 4-byte Folded Reload
	v_readlane_b32 s58, v126, 55
	s_waitcnt vmcnt(1)
	ds_read_b32 v1, v1
	s_waitcnt vmcnt(0)
	v_mul_lo_u32 v4, s58, v2
	v_or_b32_e32 v4, v4, v68
	v_ashrrev_i32_e32 v5, 31, v4
	v_lshl_add_u64 v[4:5], v[4:5], 3, s[72:73]
	s_waitcnt lgkmcnt(0)
	v_cvt_f32_f16_e32 v2, v1
	v_cvt_f32_f16_sdwa v3, v1 dst_sel:DWORD dst_unused:UNUSED_PAD src0_sel:WORD_1
	v_mov_b32_e32 v1, 0
	v_pk_add_f32 v[2:3], v[2:3], 0 op_sel_hi:[1,0]
	global_store_dwordx2 v[4:5], v[2:3], off
.LBB0_111:                              ;   in Loop: Header=BB0_13 Depth=1
	s_or_b64 exec, exec, s[56:57]
	v_cmp_gt_i32_e32 vcc, 50, v1
	s_mov_b64 s[60:61], -1
	s_and_saveexec_b64 s[56:57], vcc
; %bb.112:                              ;   in Loop: Header=BB0_13 Depth=1
	v_cmp_eq_u32_e32 vcc, 0, v1
	s_orn2_b64 s[60:61], vcc, exec
; %bb.113:                              ;   in Loop: Header=BB0_13 Depth=1
	s_or_b64 exec, exec, s[56:57]
	s_mov_b64 s[58:59], 0
                                        ; implicit-def: $vgpr2_vgpr3
	s_and_saveexec_b64 s[56:57], s[60:61]
	s_cbranch_execz .LBB0_141
; %bb.114:                              ;   in Loop: Header=BB0_13 Depth=1
	v_mov_b32_e32 v1, 50
	s_mov_b64 s[58:59], exec
	v_readlane_b32 s60, v127, 33
	v_readlane_b32 s61, v127, 34
	s_and_b64 s[60:61], s[58:59], s[60:61]
	s_mov_b64 exec, s[60:61]
	s_cbranch_execz .LBB0_116
; %bb.115:                              ;   in Loop: Header=BB0_13 Depth=1
	v_add_u32_e32 v1, v112, v93
	ds_read_b32 v1, v1 offset:3456
	v_readlane_b32 s60, v126, 55
	s_waitcnt lgkmcnt(0)
	v_cvt_f32_f16_e32 v2, v1
	v_cvt_f32_f16_sdwa v3, v1 dst_sel:DWORD dst_unused:UNUSED_PAD src0_sel:WORD_1
	v_mul_lo_u32 v4, s60, v111
	v_or_b32_e32 v4, v4, v68
	v_ashrrev_i32_e32 v5, 31, v4
	v_lshl_add_u64 v[4:5], v[4:5], 3, s[72:73]
	v_pk_add_f32 v[2:3], v[2:3], 0 op_sel_hi:[1,0]
	v_mov_b32_e32 v1, 0
	global_store_dwordx2 v[4:5], v[2:3], off
.LBB0_116:                              ;   in Loop: Header=BB0_13 Depth=1
	s_or_b64 exec, exec, s[58:59]
	v_cmp_gt_i32_e32 vcc, 50, v1
	s_mov_b64 s[62:63], -1
	s_and_saveexec_b64 s[58:59], vcc
; %bb.117:                              ;   in Loop: Header=BB0_13 Depth=1
	v_cmp_eq_u32_e32 vcc, 0, v1
	s_orn2_b64 s[62:63], vcc, exec
; %bb.118:                              ;   in Loop: Header=BB0_13 Depth=1
	s_or_b64 exec, exec, s[58:59]
	s_mov_b64 s[60:61], 0
                                        ; implicit-def: $vgpr2_vgpr3
	s_and_saveexec_b64 s[58:59], s[62:63]
	s_cbranch_execz .LBB0_140
; %bb.119:                              ;   in Loop: Header=BB0_13 Depth=1
	v_mov_b32_e32 v1, 50
	s_mov_b64 s[60:61], exec
	v_readlane_b32 s62, v127, 35
	v_readlane_b32 s63, v127, 36
	s_and_b64 s[62:63], s[60:61], s[62:63]
	s_mov_b64 exec, s[62:63]
	s_cbranch_execz .LBB0_121
; %bb.120:                              ;   in Loop: Header=BB0_13 Depth=1
	scratch_load_dword v1, off, off offset:380 ; 4-byte Folded Reload
	v_readlane_b32 s62, v126, 55
	s_waitcnt vmcnt(0)
	ds_read_b32 v1, v1
	v_mul_lo_u32 v4, s62, v109
	v_or_b32_e32 v4, v4, v68
	v_ashrrev_i32_e32 v5, 31, v4
	v_lshl_add_u64 v[4:5], v[4:5], 3, s[72:73]
	s_waitcnt lgkmcnt(0)
	v_cvt_f32_f16_e32 v2, v1
	v_cvt_f32_f16_sdwa v3, v1 dst_sel:DWORD dst_unused:UNUSED_PAD src0_sel:WORD_1
	v_mov_b32_e32 v1, 0
	v_pk_add_f32 v[2:3], v[2:3], 0 op_sel_hi:[1,0]
	global_store_dwordx2 v[4:5], v[2:3], off
.LBB0_121:                              ;   in Loop: Header=BB0_13 Depth=1
	s_or_b64 exec, exec, s[60:61]
	v_cmp_gt_i32_e32 vcc, 50, v1
	s_mov_b64 s[64:65], -1
	s_and_saveexec_b64 s[60:61], vcc
; %bb.122:                              ;   in Loop: Header=BB0_13 Depth=1
	v_cmp_eq_u32_e32 vcc, 0, v1
	s_orn2_b64 s[64:65], vcc, exec
; %bb.123:                              ;   in Loop: Header=BB0_13 Depth=1
	s_or_b64 exec, exec, s[60:61]
	s_mov_b64 s[62:63], 0
                                        ; implicit-def: $vgpr2_vgpr3
	s_and_saveexec_b64 s[60:61], s[64:65]
	s_cbranch_execz .LBB0_139
; %bb.124:                              ;   in Loop: Header=BB0_13 Depth=1
	v_mov_b32_e32 v1, 50
	s_mov_b64 s[62:63], exec
	v_readlane_b32 s64, v127, 37
	v_readlane_b32 s65, v127, 38
	s_and_b64 s[64:65], s[62:63], s[64:65]
	s_mov_b64 exec, s[64:65]
	s_cbranch_execz .LBB0_126
; %bb.125:                              ;   in Loop: Header=BB0_13 Depth=1
	v_add_u32_e32 v1, v112, v93
	ds_read_b32 v1, v1 offset:5760
	v_readlane_b32 s64, v126, 55
	s_waitcnt lgkmcnt(0)
	v_cvt_f32_f16_e32 v2, v1
	v_cvt_f32_f16_sdwa v3, v1 dst_sel:DWORD dst_unused:UNUSED_PAD src0_sel:WORD_1
	v_mul_lo_u32 v4, s64, v124
	v_or_b32_e32 v4, v4, v68
	v_ashrrev_i32_e32 v5, 31, v4
	v_lshl_add_u64 v[4:5], v[4:5], 3, s[72:73]
	v_pk_add_f32 v[2:3], v[2:3], 0 op_sel_hi:[1,0]
	v_mov_b32_e32 v1, 0
	global_store_dwordx2 v[4:5], v[2:3], off
.LBB0_126:                              ;   in Loop: Header=BB0_13 Depth=1
	s_or_b64 exec, exec, s[62:63]
	v_cmp_gt_i32_e32 vcc, 50, v1
	s_mov_b64 s[66:67], -1
	s_and_saveexec_b64 s[62:63], vcc
; %bb.127:                              ;   in Loop: Header=BB0_13 Depth=1
	v_cmp_eq_u32_e32 vcc, 0, v1
	s_orn2_b64 s[66:67], vcc, exec
; %bb.128:                              ;   in Loop: Header=BB0_13 Depth=1
	s_or_b64 exec, exec, s[62:63]
	s_mov_b64 s[64:65], 0
                                        ; implicit-def: $vgpr2_vgpr3
	s_and_saveexec_b64 s[62:63], s[66:67]
	s_cbranch_execz .LBB0_138
; %bb.129:                              ;   in Loop: Header=BB0_13 Depth=1
	v_mov_b32_e32 v1, 50
	s_mov_b64 s[64:65], exec
	v_readlane_b32 s66, v127, 39
	v_readlane_b32 s67, v127, 40
	s_and_b64 s[66:67], s[64:65], s[66:67]
	s_mov_b64 exec, s[66:67]
	s_cbranch_execz .LBB0_131
; %bb.130:                              ;   in Loop: Header=BB0_13 Depth=1
	scratch_load_dword v1, off, off offset:400 ; 4-byte Folded Reload
	v_readlane_b32 s66, v126, 55
	s_waitcnt vmcnt(0)
	ds_read_b32 v1, v1
	v_mul_lo_u32 v4, s66, v122
	v_or_b32_e32 v4, v4, v68
	v_ashrrev_i32_e32 v5, 31, v4
	v_lshl_add_u64 v[4:5], v[4:5], 3, s[72:73]
	s_waitcnt lgkmcnt(0)
	v_cvt_f32_f16_e32 v2, v1
	v_cvt_f32_f16_sdwa v3, v1 dst_sel:DWORD dst_unused:UNUSED_PAD src0_sel:WORD_1
	v_mov_b32_e32 v1, 0
	v_pk_add_f32 v[2:3], v[2:3], 0 op_sel_hi:[1,0]
	global_store_dwordx2 v[4:5], v[2:3], off
.LBB0_131:                              ;   in Loop: Header=BB0_13 Depth=1
	s_or_b64 exec, exec, s[64:65]
	v_cmp_gt_i32_e32 vcc, 50, v1
	s_mov_b64 s[68:69], -1
	s_and_saveexec_b64 s[64:65], vcc
; %bb.132:                              ;   in Loop: Header=BB0_13 Depth=1
	v_cmp_eq_u32_e32 vcc, 0, v1
	s_orn2_b64 s[68:69], vcc, exec
; %bb.133:                              ;   in Loop: Header=BB0_13 Depth=1
	s_or_b64 exec, exec, s[64:65]
	s_mov_b64 s[66:67], 0
                                        ; implicit-def: $vgpr2_vgpr3
	s_and_saveexec_b64 s[64:65], s[68:69]
	s_cbranch_execz .LBB0_137
; %bb.134:                              ;   in Loop: Header=BB0_13 Depth=1
                                        ; implicit-def: $vgpr2_vgpr3
	s_mov_b64 s[68:69], exec
	v_readlane_b32 s70, v127, 41
	v_readlane_b32 s71, v127, 42
	s_and_b64 s[70:71], s[68:69], s[70:71]
	s_xor_b64 s[68:69], s[70:71], s[68:69]
	s_mov_b64 exec, s[70:71]
	s_cbranch_execz .LBB0_136
; %bb.135:                              ;   in Loop: Header=BB0_13 Depth=1
	v_add_u32_e32 v1, v112, v93
	ds_read_b32 v1, v1 offset:8064
	s_mov_b64 s[66:67], exec
	s_waitcnt lgkmcnt(0)
	v_cvt_f32_f16_e32 v2, v1
	v_cvt_f32_f16_sdwa v3, v1 dst_sel:DWORD dst_unused:UNUSED_PAD src0_sel:WORD_1
	v_pk_add_f32 v[2:3], v[2:3], 0 op_sel_hi:[1,0]
.LBB0_136:                              ;   in Loop: Header=BB0_13 Depth=1
	s_or_b64 exec, exec, s[68:69]
	s_and_b64 s[66:67], s[66:67], exec
.LBB0_137:                              ;   in Loop: Header=BB0_13 Depth=1
	s_or_b64 exec, exec, s[64:65]
	s_and_b64 s[64:65], s[66:67], exec
.LBB0_138:                              ;   in Loop: Header=BB0_13 Depth=1
	s_or_b64 exec, exec, s[62:63]
	s_and_b64 s[62:63], s[64:65], exec
.LBB0_139:                              ;   in Loop: Header=BB0_13 Depth=1
	s_or_b64 exec, exec, s[60:61]
	s_and_b64 s[60:61], s[62:63], exec
.LBB0_140:                              ;   in Loop: Header=BB0_13 Depth=1
	s_or_b64 exec, exec, s[58:59]
	s_and_b64 s[58:59], s[60:61], exec
.LBB0_141:                              ;   in Loop: Header=BB0_13 Depth=1
	s_or_b64 exec, exec, s[56:57]
	s_and_b64 s[56:57], s[58:59], exec
.LBB0_142:                              ;   in Loop: Header=BB0_13 Depth=1
	s_or_b64 exec, exec, s[36:37]
	s_and_b64 s[36:37], s[56:57], exec
.LBB0_143:                              ;   in Loop: Header=BB0_13 Depth=1
	s_or_b64 exec, exec, s[54:55]
	s_and_b64 vcc, exec, s[52:53]
	s_cbranch_vccz .LBB0_71
.LBB0_144:                              ;   in Loop: Header=BB0_13 Depth=1
	s_lshl_b32 s58, s76, 6
	v_add_u32_e32 v103, s58, v67
	v_cmp_gt_i32_e64 s[52:53], s92, v103
	v_cmp_le_i32_e32 vcc, s92, v103
	s_nop 0
	v_writelane_b32 v127, s52, 25
	s_nop 1
	v_writelane_b32 v127, s53, 26
	s_and_saveexec_b64 s[52:53], vcc
	s_xor_b64 s[52:53], exec, s[52:53]
; %bb.145:                              ;   in Loop: Header=BB0_13 Depth=1
	v_add_u32_e32 v1, v112, v93
	ds_write_b32 v1, v33
; %bb.146:                              ;   in Loop: Header=BB0_13 Depth=1
	s_andn2_saveexec_b64 s[52:53], s[52:53]
	s_cbranch_execz .LBB0_148
; %bb.147:                              ;   in Loop: Header=BB0_13 Depth=1
	v_mad_u64_u32 v[2:3], s[54:55], v103, s82, v[68:69]
	v_ashrrev_i32_e32 v3, 31, v2
	v_lshl_add_u64 v[2:3], v[2:3], 3, s[96:97]
	global_load_dwordx2 v[2:3], v[2:3], off
	s_waitcnt vmcnt(0)
	v_cvt_pk_f16_f32 v1, v2, v3
	v_pk_mul_f16 v1, v1, v72
	v_add_u32_e32 v2, v112, v93
	ds_write_b32 v2, v1
.LBB0_148:                              ;   in Loop: Header=BB0_13 Depth=1
	s_or_b64 exec, exec, s[52:53]
	v_add_u32_e32 v102, s58, v94
	v_cmp_gt_i32_e64 s[52:53], s92, v102
	v_cmp_le_i32_e32 vcc, s92, v102
	s_nop 0
	v_writelane_b32 v127, s52, 27
	s_nop 1
	v_writelane_b32 v127, s53, 28
	s_and_saveexec_b64 s[52:53], vcc
	s_xor_b64 s[52:53], exec, s[52:53]
; %bb.149:                              ;   in Loop: Header=BB0_13 Depth=1
	v_add_u32_e32 v1, v112, v93
	ds_write_b32 v1, v33 offset:1152
; %bb.150:                              ;   in Loop: Header=BB0_13 Depth=1
	s_andn2_saveexec_b64 s[52:53], s[52:53]
	s_cbranch_execz .LBB0_152
; %bb.151:                              ;   in Loop: Header=BB0_13 Depth=1
	v_mad_u64_u32 v[2:3], s[54:55], v102, s82, v[68:69]
	v_ashrrev_i32_e32 v3, 31, v2
	v_lshl_add_u64 v[2:3], v[2:3], 3, s[96:97]
	global_load_dwordx2 v[2:3], v[2:3], off
	s_waitcnt vmcnt(0)
	v_cvt_pk_f16_f32 v1, v2, v3
	v_pk_mul_f16 v1, v1, v72
	v_add_u32_e32 v2, v112, v93
	ds_write_b32 v2, v1 offset:1152
.LBB0_152:                              ;   in Loop: Header=BB0_13 Depth=1
	s_or_b64 exec, exec, s[52:53]
	v_add_u32_e32 v101, s58, v95
	v_cmp_gt_i32_e64 s[52:53], s92, v101
	v_cmp_le_i32_e32 vcc, s92, v101
	s_nop 0
	v_writelane_b32 v127, s52, 29
	s_nop 1
	v_writelane_b32 v127, s53, 30
	s_and_saveexec_b64 s[52:53], vcc
	s_xor_b64 s[52:53], exec, s[52:53]
; %bb.153:                              ;   in Loop: Header=BB0_13 Depth=1
	v_add_u32_e32 v1, v112, v93
	ds_write_b32 v1, v33 offset:2304
; %bb.154:                              ;   in Loop: Header=BB0_13 Depth=1
	s_andn2_saveexec_b64 s[52:53], s[52:53]
	s_cbranch_execz .LBB0_156
; %bb.155:                              ;   in Loop: Header=BB0_13 Depth=1
	v_mad_u64_u32 v[2:3], s[54:55], v101, s82, v[68:69]
	v_ashrrev_i32_e32 v3, 31, v2
	v_lshl_add_u64 v[2:3], v[2:3], 3, s[96:97]
	global_load_dwordx2 v[2:3], v[2:3], off
	s_waitcnt vmcnt(0)
	v_cvt_pk_f16_f32 v1, v2, v3
	v_pk_mul_f16 v1, v1, v72
	v_add_u32_e32 v2, v112, v93
	ds_write_b32 v2, v1 offset:2304
.LBB0_156:                              ;   in Loop: Header=BB0_13 Depth=1
	;; [unrolled: 27-line block ×6, first 2 shown]
	s_or_b64 exec, exec, s[52:53]
	scratch_load_dword v1, off, off offset:52 ; 4-byte Folded Reload
	s_waitcnt vmcnt(0)
	v_add_u32_e32 v4, s58, v1
	v_cmp_gt_i32_e64 s[52:53], s92, v4
	v_cmp_le_i32_e32 vcc, s92, v4
	s_nop 0
	v_writelane_b32 v127, s52, 39
	s_nop 1
	v_writelane_b32 v127, s53, 40
	s_and_saveexec_b64 s[52:53], vcc
	s_xor_b64 s[52:53], exec, s[52:53]
; %bb.173:                              ;   in Loop: Header=BB0_13 Depth=1
	v_add_u32_e32 v1, v112, v93
	ds_write_b32 v1, v33 offset:8064
; %bb.174:                              ;   in Loop: Header=BB0_13 Depth=1
	s_andn2_saveexec_b64 s[52:53], s[52:53]
	s_cbranch_execz .LBB0_176
; %bb.175:                              ;   in Loop: Header=BB0_13 Depth=1
	v_mad_u64_u32 v[2:3], s[54:55], v4, s82, v[68:69]
	v_ashrrev_i32_e32 v3, 31, v2
	v_lshl_add_u64 v[2:3], v[2:3], 3, s[96:97]
	global_load_dwordx2 v[2:3], v[2:3], off
	s_waitcnt vmcnt(0)
	v_cvt_pk_f16_f32 v1, v2, v3
	v_pk_mul_f16 v1, v1, v72
	v_add_u32_e32 v2, v112, v93
	ds_write_b32 v2, v1 offset:8064
.LBB0_176:                              ;   in Loop: Header=BB0_13 Depth=1
	s_or_b64 exec, exec, s[52:53]
	scratch_store_dword off, v4, off offset:56 ; 4-byte Folded Spill
	s_waitcnt lgkmcnt(0)
	s_barrier
	ds_read2_b64 v[6:9], v73 offset1:4
	ds_read2_b64 v[2:5], v73 offset0:8 offset1:12
	s_cmp_lt_i32 s44, 2
	v_cmp_ne_u64_e64 s[52:53], 0, v[62:63]
	s_waitcnt lgkmcnt(0)
	s_barrier
	s_cbranch_scc1 .LBB0_191
; %bb.177:                              ;   in Loop: Header=BB0_13 Depth=1
	v_add_u32_e32 v1, s58, v69
	v_mul_hi_u32 v10, s2, v1
	v_add_u32_e32 v10, v1, v10
	v_lshrrev_b32_e32 v10, s3, v10
	scratch_store_dword off, v103, off offset:284 ; 4-byte Folded Spill
	scratch_store_dword off, v102, off offset:280 ; 4-byte Folded Spill
	;; [unrolled: 1-line block ×7, first 2 shown]
	v_mul_lo_u32 v10, v10, s92
	v_sub_u32_e32 v1, v1, v10
	scratch_load_dword v10, off, off offset:60 ; 4-byte Folded Reload
	scratch_load_dword v27, off, off offset:48 ; 4-byte Folded Reload
	v_readlane_b32 s54, v127, 2
	v_readlane_b32 s55, v127, 3
	s_mov_b32 s56, s54
	v_mad_i64_i32 v[66:67], s[54:55], s56, v1, v[62:63]
	s_add_i32 s44, s44, -1
	v_mov_b32_e32 v64, v60
	v_mov_b32_e32 v65, v60
	;; [unrolled: 1-line block ×12, first 2 shown]
	s_waitcnt vmcnt(1)
	v_add_u32_e32 v10, s58, v10
	v_mul_hi_u32 v11, s2, v10
	v_add_u32_e32 v11, v10, v11
	v_lshrrev_b32_e32 v11, s3, v11
	v_mul_lo_u32 v11, v11, s92
	v_sub_u32_e32 v10, v10, v11
	scratch_load_dword v11, off, off offset:64 ; 4-byte Folded Reload
	v_mad_i64_i32 v[68:69], s[54:55], s56, v10, v[62:63]
	s_waitcnt vmcnt(1)
	v_xor_b32_e32 v26, 32, v27
	s_waitcnt vmcnt(0)
	v_add_u32_e32 v11, s58, v11
	v_mul_hi_u32 v12, s2, v11
	v_add_u32_e32 v12, v11, v12
	v_lshrrev_b32_e32 v12, s3, v12
	v_mul_lo_u32 v12, v12, s92
	v_sub_u32_e32 v11, v11, v12
	scratch_load_dword v12, off, off offset:68 ; 4-byte Folded Reload
	v_mad_i64_i32 v[70:71], s[54:55], s56, v11, v[62:63]
	scratch_load_dwordx2 v[10:11], off, off offset:304 ; 8-byte Folded Reload
	s_waitcnt vmcnt(1)
	v_add_u32_e32 v12, s58, v12
	v_mul_hi_u32 v13, s2, v12
	v_add_u32_e32 v13, v12, v13
	v_lshrrev_b32_e32 v13, s3, v13
	v_mul_lo_u32 v13, v13, s92
	v_sub_u32_e32 v12, v12, v13
	scratch_load_dword v13, off, off offset:72 ; 4-byte Folded Reload
	v_mad_i64_i32 v[72:73], s[54:55], s56, v12, v[62:63]
	s_waitcnt vmcnt(0)
	v_add_u32_e32 v13, s58, v13
	v_mul_hi_u32 v14, s2, v13
	v_add_u32_e32 v14, v13, v14
	v_lshrrev_b32_e32 v14, s3, v14
	v_mul_lo_u32 v14, v14, s92
	v_sub_u32_e32 v13, v13, v14
	scratch_load_dword v14, off, off offset:76 ; 4-byte Folded Reload
	v_mad_i64_i32 v[74:75], s[54:55], s56, v13, v[62:63]
	;; [unrolled: 9-line block ×12, first 2 shown]
	s_waitcnt vmcnt(0)
	v_add_u32_e32 v24, s58, v24
	v_mul_hi_u32 v25, s2, v24
	v_add_u32_e32 v25, v24, v25
	v_lshrrev_b32_e32 v25, s3, v25
	v_mul_lo_u32 v25, v25, s92
	v_sub_u32_e32 v24, v24, v25
	v_mad_i64_i32 v[96:97], s[54:55], s56, v24, v[62:63]
	v_readlane_b32 s54, v127, 14
	v_readlane_b32 s55, v127, 16
	s_add_u32 s54, s54, s55
	v_readlane_b32 s55, v127, 15
	v_readlane_b32 s56, v127, 17
	s_addc_u32 s55, s55, s56
	v_lshl_add_u64 v[98:99], v[10:11], 0, s[54:55]
	scratch_load_dwordx2 v[10:11], off, off offset:312 ; 8-byte Folded Reload
	v_and_b32_e32 v25, 64, v27
	v_add_u32_e32 v25, 64, v25
	v_cmp_lt_i32_e32 vcc, v26, v25
	s_waitcnt vmcnt(0)
	v_lshl_add_u64 v[100:101], v[10:11], 0, s[54:55]
	scratch_load_dwordx2 v[10:11], off, off offset:320 ; 8-byte Folded Reload
	v_readlane_b32 s54, v127, 18
	s_add_u32 s54, s54, s48
	v_readlane_b32 s48, v127, 19
	v_readlane_b32 s55, v127, 20
	s_addc_u32 s55, s48, s55
	v_cndmask_b32_e32 v26, v27, v26, vcc
	v_lshlrev_b32_e32 v32, 2, v26
	v_xor_b32_e32 v26, 16, v27
	v_cmp_lt_i32_e32 vcc, v26, v25
	s_mov_b32 s48, s44
	s_waitcnt vmcnt(0)
	v_lshl_add_u64 v[102:103], v[10:11], 0, s[54:55]
	scratch_load_dwordx2 v[10:11], off, off offset:328 ; 8-byte Folded Reload
	v_cndmask_b32_e32 v25, v27, v26, vcc
	v_lshlrev_b32_e32 v49, 2, v25
	s_waitcnt vmcnt(0)
	v_lshl_add_u64 v[104:105], v[10:11], 0, s[54:55]
	v_cndmask_b32_e64 v1, 0, 1, s[52:53]
	v_cmp_ne_u32_e64 s[54:55], 1, v1
	s_andn2_b64 vcc, exec, s[52:53]
	s_cbranch_vccnz .LBB0_187
.LBB0_178:                              ;   in Loop: Header=BB0_13 Depth=1
	s_and_saveexec_b64 s[56:57], s[86:87]
	s_xor_b64 s[56:57], exec, s[56:57]
	s_cbranch_execz .LBB0_180
; %bb.179:                              ;   in Loop: Header=BB0_13 Depth=1
	v_add_u32_e32 v1, 0x240, v114
	ds_write_b16 v1, v33 offset:9216
	v_add_u32_e32 v1, 0x480, v114
	ds_write_b16 v1, v33 offset:9216
	;; [unrolled: 2-line block ×3, first 2 shown]
	ds_write_b16 v1, v33 offset:9216
.LBB0_180:                              ;   in Loop: Header=BB0_13 Depth=1
	s_or_saveexec_b64 s[56:57], s[56:57]
	v_mov_b32_e32 v1, 0
	v_mov_b32_e32 v10, 0
	;; [unrolled: 1-line block ×4, first 2 shown]
	s_xor_b64 exec, exec, s[56:57]
	s_cbranch_execz .LBB0_182
; %bb.181:                              ;   in Loop: Header=BB0_13 Depth=1
	v_lshl_add_u64 v[10:11], v[66:67], 0, v[34:35]
	global_load_ushort v1, v[10:11], off
	v_lshl_add_u64 v[10:11], v[68:69], 0, v[34:35]
	global_load_ushort v12, v[10:11], off
	;; [unrolled: 2-line block ×4, first 2 shown]
	s_waitcnt vmcnt(3)
	ds_write_b16 v114, v1 offset:9216
	v_add_u32_e32 v1, 0x240, v114
	s_waitcnt vmcnt(2)
	ds_write_b16 v1, v12 offset:9216
	v_add_u32_e32 v1, 0x480, v114
	;; [unrolled: 3-line block ×3, first 2 shown]
	s_waitcnt vmcnt(0)
	ds_write_b16 v1, v10 offset:9216
	v_lshl_add_u64 v[10:11], v[74:75], 0, v[34:35]
	global_load_ushort v1, v[10:11], off
	v_lshl_add_u64 v[10:11], v[76:77], 0, v[34:35]
	v_lshl_add_u64 v[12:13], v[78:79], 0, v[34:35]
	global_load_ushort v10, v[10:11], off
	s_nop 0
	global_load_ushort v11, v[12:13], off
	v_lshl_add_u64 v[12:13], v[80:81], 0, v[34:35]
	global_load_ushort v12, v[12:13], off
.LBB0_182:                              ;   in Loop: Header=BB0_13 Depth=1
	s_or_b64 exec, exec, s[56:57]
	v_add_u32_e32 v13, 0x900, v114
	s_waitcnt vmcnt(3)
	ds_write_b16 v13, v1 offset:9216
	v_add_u32_e32 v1, 0xb40, v114
	s_waitcnt vmcnt(2)
	ds_write_b16 v1, v10 offset:9216
	;; [unrolled: 3-line block ×4, first 2 shown]
	s_and_saveexec_b64 s[56:57], s[86:87]
	s_xor_b64 s[56:57], exec, s[56:57]
	s_cbranch_execz .LBB0_184
; %bb.183:                              ;   in Loop: Header=BB0_13 Depth=1
	v_add_u32_e32 v1, 0x1200, v114
	ds_write_b16 v1, v33 offset:9216
	ds_write_b16 v56, v33 offset:9216
	;; [unrolled: 1-line block ×4, first 2 shown]
.LBB0_184:                              ;   in Loop: Header=BB0_13 Depth=1
	s_or_saveexec_b64 s[56:57], s[56:57]
	v_mov_b32_e32 v1, 0
	v_mov_b32_e32 v10, 0
	;; [unrolled: 1-line block ×4, first 2 shown]
	s_xor_b64 exec, exec, s[56:57]
	s_cbranch_execz .LBB0_186
; %bb.185:                              ;   in Loop: Header=BB0_13 Depth=1
	v_lshl_add_u64 v[10:11], v[82:83], 0, v[34:35]
	global_load_ushort v1, v[10:11], off
	v_lshl_add_u64 v[10:11], v[84:85], 0, v[34:35]
	global_load_ushort v12, v[10:11], off
	;; [unrolled: 2-line block ×4, first 2 shown]
	v_add_u32_e32 v11, 0x1200, v114
	s_waitcnt vmcnt(3)
	ds_write_b16 v11, v1 offset:9216
	s_waitcnt vmcnt(2)
	ds_write_b16 v56, v12 offset:9216
	;; [unrolled: 2-line block ×4, first 2 shown]
	v_lshl_add_u64 v[10:11], v[90:91], 0, v[34:35]
	global_load_ushort v1, v[10:11], off
	v_lshl_add_u64 v[10:11], v[92:93], 0, v[34:35]
	v_lshl_add_u64 v[12:13], v[94:95], 0, v[34:35]
	global_load_ushort v10, v[10:11], off
	s_nop 0
	global_load_ushort v11, v[12:13], off
	v_lshl_add_u64 v[12:13], v[96:97], 0, v[34:35]
	global_load_ushort v12, v[12:13], off
.LBB0_186:                              ;   in Loop: Header=BB0_13 Depth=1
	s_or_b64 exec, exec, s[56:57]
	s_waitcnt vmcnt(3)
	ds_write_b16 v115, v1 offset:9216
	s_waitcnt vmcnt(2)
	ds_write_b16 v117, v10 offset:9216
	;; [unrolled: 2-line block ×4, first 2 shown]
.LBB0_187:                              ;   Parent Loop BB0_13 Depth=1
                                        ; =>  This Inner Loop Header: Depth=2
	v_lshl_add_u64 v[10:11], v[102:103], 0, v[50:51]
	v_mov_b32_e32 v1, s43
	v_cndmask_b32_e64 v11, v1, v11, s[4:5]
	v_cndmask_b32_e64 v10, v39, v10, s[4:5]
	v_lshl_add_u64 v[12:13], v[104:105], 0, v[50:51]
	scratch_store_dwordx4 off, v[40:43], off
	v_cndmask_b32_e64 v15, v1, v13, s[6:7]
	v_cndmask_b32_e64 v14, v39, v12, s[6:7]
	flat_load_dwordx4 v[10:13], v[10:11]
	v_add_u32_e32 v1, 0x800, v59
	s_and_b64 vcc, exec, s[54:55]
	s_waitcnt vmcnt(0) lgkmcnt(0)
	ds_write_b128 v53, v[10:13]
	flat_load_dwordx4 v[10:13], v[14:15]
	s_waitcnt vmcnt(0) lgkmcnt(0)
	ds_write_b128 v57, v[10:13]
	s_waitcnt lgkmcnt(0)
	s_barrier
	ds_read2_b64 v[10:13], v59 offset1:4
	s_waitcnt lgkmcnt(0)
	v_mfma_f32_16x16x16_f16 v[14:17], v[10:11], v[6:7], 0
	v_mfma_f32_16x16x16_f16 v[10:13], v[12:13], v[8:9], v[14:17]
	s_nop 6
	ds_read2_b64 v[14:17], v59 offset0:8 offset1:12
	s_waitcnt lgkmcnt(0)
	v_mfma_f32_16x16x16_f16 v[10:13], v[14:15], v[2:3], v[10:13]
	v_mfma_f32_16x16x16_f16 v[16:19], v[16:17], v[4:5], v[10:13]
	s_nop 6
	ds_read2_b64 v[10:13], v1 offset0:32 offset1:36
	;; [unrolled: 5-line block ×3, first 2 shown]
	s_waitcnt lgkmcnt(0)
	v_mfma_f32_16x16x16_f16 v[10:13], v[20:21], v[2:3], v[10:13]
	v_add_u32_e32 v1, 0x1000, v59
	v_mfma_f32_16x16x16_f16 v[12:15], v[22:23], v[4:5], v[10:13]
	ds_read2_b64 v[20:23], v1 offset0:64 offset1:68
	s_waitcnt lgkmcnt(0)
	v_mfma_f32_16x16x16_f16 v[24:27], v[20:21], v[6:7], 0
	v_mfma_f32_16x16x16_f16 v[20:23], v[22:23], v[8:9], v[24:27]
	s_nop 6
	ds_read2_b64 v[24:27], v1 offset0:72 offset1:76
	s_waitcnt lgkmcnt(0)
	v_mfma_f32_16x16x16_f16 v[20:23], v[24:25], v[2:3], v[20:23]
	v_add_u32_e32 v1, 0x1800, v59
	v_mfma_f32_16x16x16_f16 v[20:23], v[26:27], v[4:5], v[20:23]
	ds_read2_b64 v[24:27], v1 offset0:96 offset1:100
	s_waitcnt lgkmcnt(0)
	v_mfma_f32_16x16x16_f16 v[44:47], v[24:25], v[6:7], 0
	v_mfma_f32_16x16x16_f16 v[24:27], v[26:27], v[8:9], v[44:47]
	s_nop 6
	ds_read2_b64 v[44:47], v1 offset0:104 offset1:108
	s_waitcnt lgkmcnt(0)
	v_mfma_f32_16x16x16_f16 v[24:27], v[44:45], v[2:3], v[24:27]
	s_barrier
	v_mfma_f32_16x16x16_f16 v[24:27], v[46:47], v[4:5], v[24:27]
	s_cbranch_vccnz .LBB0_189
; %bb.188:                              ;   in Loop: Header=BB0_187 Depth=2
	ds_read_b32 v1, v0 offset:9216
	v_mov_b32_e32 v61, v60
	s_waitcnt lgkmcnt(0)
	v_cvt_f32_f16_sdwa v11, v1 dst_sel:DWORD dst_unused:UNUSED_PAD src0_sel:WORD_1
	v_cvt_f32_f16_e32 v10, v1
	ds_read_b32 v1, v119 offset:9216
	v_pk_fma_f32 v[16:17], v[64:65], v[10:11], v[16:17]
	s_waitcnt lgkmcnt(0)
	v_cvt_f32_f16_sdwa v45, v1 dst_sel:DWORD dst_unused:UNUSED_PAD src0_sel:WORD_1
	v_cvt_f32_f16_e32 v44, v1
	v_add_u32_e32 v1, 0x2400, v55
	ds_read2_b32 v[10:11], v1 offset1:1
	v_add_u32_e32 v1, 0x2400, v123
	v_pk_fma_f32 v[18:19], v[60:61], v[44:45], v[18:19]
	s_waitcnt lgkmcnt(0)
	v_cvt_f32_f16_e32 v44, v10
	v_cvt_f32_f16_sdwa v45, v10 dst_sel:DWORD dst_unused:UNUSED_PAD src0_sel:WORD_1
	v_cvt_f32_f16_e32 v10, v11
	v_cvt_f32_f16_sdwa v11, v11 dst_sel:DWORD dst_unused:UNUSED_PAD src0_sel:WORD_1
	v_pk_fma_f32 v[12:13], v[64:65], v[44:45], v[12:13]
	v_pk_fma_f32 v[14:15], v[60:61], v[10:11], v[14:15]
	ds_read2_b32 v[10:11], v1 offset1:1
	v_add_u32_e32 v1, 0x2400, v30
	s_waitcnt lgkmcnt(0)
	v_cvt_f32_f16_e32 v44, v10
	v_cvt_f32_f16_sdwa v45, v10 dst_sel:DWORD dst_unused:UNUSED_PAD src0_sel:WORD_1
	v_cvt_f32_f16_e32 v10, v11
	v_cvt_f32_f16_sdwa v11, v11 dst_sel:DWORD dst_unused:UNUSED_PAD src0_sel:WORD_1
	v_pk_fma_f32 v[20:21], v[64:65], v[44:45], v[20:21]
	v_pk_fma_f32 v[22:23], v[60:61], v[10:11], v[22:23]
	ds_read2_b32 v[10:11], v1 offset1:1
	s_waitcnt lgkmcnt(0)
	v_cvt_f32_f16_e32 v44, v10
	v_cvt_f32_f16_sdwa v45, v10 dst_sel:DWORD dst_unused:UNUSED_PAD src0_sel:WORD_1
	v_cvt_f32_f16_e32 v10, v11
	v_cvt_f32_f16_sdwa v11, v11 dst_sel:DWORD dst_unused:UNUSED_PAD src0_sel:WORD_1
	v_pk_fma_f32 v[24:25], v[64:65], v[44:45], v[24:25]
	v_pk_fma_f32 v[26:27], v[60:61], v[10:11], v[26:27]
.LBB0_189:                              ;   in Loop: Header=BB0_187 Depth=2
	v_add_f32_e32 v1, 0x40051340, v16
	v_max_f32_e32 v10, v52, v52
	v_max_f32_e32 v1, v10, v1
	v_cndmask_b32_e64 v1, v52, v1, s[8:9]
	v_add_f32_e32 v10, 0x40051340, v17
	v_max_f32_e32 v1, v1, v1
	v_max_f32_e32 v1, v1, v10
	v_cndmask_b32_e64 v1, v52, v1, s[8:9]
	;; [unrolled: 4-line block ×16, first 2 shown]
	ds_bpermute_b32 v10, v32, v1
	v_max_f32_e32 v1, v1, v1
	v_mov_b32_e32 v44, s43
	scratch_store_dwordx4 off, v[40:43], off
	s_add_i32 s48, s48, -1
	s_waitcnt lgkmcnt(0)
	v_max_f32_e32 v10, v10, v10
	v_max_f32_e32 v1, v1, v10
	ds_bpermute_b32 v10, v49, v1
	v_lshl_add_u64 v[66:67], v[66:67], 0, s[46:47]
	v_lshl_add_u64 v[68:69], v[68:69], 0, s[46:47]
	;; [unrolled: 1-line block ×4, first 2 shown]
	s_waitcnt lgkmcnt(0)
	v_max_f32_e32 v10, v10, v10
	v_max_f32_e32 v61, v1, v10
	v_sub_f32_e32 v1, v16, v61
	v_mul_f32_e32 v10, 0x3fb8aa3b, v1
	v_fma_f32 v11, v1, s98, -v10
	v_rndne_f32_e32 v16, v10
	v_fmac_f32_e32 v11, 0x32a5705f, v1
	v_sub_f32_e32 v10, v10, v16
	v_add_f32_e32 v10, v10, v11
	v_exp_f32_e32 v10, v10
	v_cvt_i32_f32_e32 v11, v16
	v_cmp_ngt_f32_e32 vcc, s93, v1
	v_sub_f32_e32 v12, v12, v61
	v_sub_f32_e32 v14, v14, v61
	v_ldexp_f32 v10, v10, v11
	v_sub_f32_e32 v11, v17, v61
	v_mul_f32_e32 v16, 0x3fb8aa3b, v11
	v_fma_f32 v17, v11, s98, -v16
	v_rndne_f32_e32 v36, v16
	v_fmac_f32_e32 v17, 0x32a5705f, v11
	v_sub_f32_e32 v16, v16, v36
	v_add_f32_e32 v16, v16, v17
	v_exp_f32_e32 v16, v16
	v_cvt_i32_f32_e32 v17, v36
	v_cndmask_b32_e32 v10, 0, v10, vcc
	v_cmp_nlt_f32_e32 vcc, s41, v1
	v_lshl_add_u64 v[74:75], v[74:75], 0, s[46:47]
	v_ldexp_f32 v16, v16, v17
	v_cndmask_b32_e32 v1, v113, v10, vcc
	v_cmp_ngt_f32_e32 vcc, s93, v11
	v_cndmask_b32_e64 v10, 0, v1, s[8:9]
	v_lshl_add_u64 v[76:77], v[76:77], 0, s[46:47]
	v_cndmask_b32_e32 v16, 0, v16, vcc
	v_cmp_nlt_f32_e32 vcc, s41, v11
	v_lshl_add_u64 v[78:79], v[78:79], 0, s[46:47]
	v_lshl_add_u64 v[80:81], v[80:81], 0, s[46:47]
	v_cndmask_b32_e32 v11, v113, v16, vcc
	v_add_f32_e32 v16, v1, v11
	v_mov_b32_e32 v1, s49
	v_cndmask_b32_e64 v1, v1, v11, s[8:9]
	v_sub_f32_e32 v11, v18, v61
	v_mul_f32_e32 v17, 0x3fb8aa3b, v11
	v_fma_f32 v18, v11, s98, -v17
	v_rndne_f32_e32 v36, v17
	v_fmac_f32_e32 v18, 0x32a5705f, v11
	v_sub_f32_e32 v17, v17, v36
	v_add_f32_e32 v17, v17, v18
	v_exp_f32_e32 v17, v17
	v_cvt_i32_f32_e32 v18, v36
	v_cmp_ngt_f32_e32 vcc, s93, v11
	v_lshl_add_u64 v[82:83], v[82:83], 0, s[46:47]
	v_lshl_add_u64 v[84:85], v[84:85], 0, s[46:47]
	v_ldexp_f32 v17, v17, v18
	v_cndmask_b32_e32 v17, 0, v17, vcc
	v_cmp_nlt_f32_e32 vcc, s41, v11
	v_lshl_add_u64 v[86:87], v[86:87], 0, s[46:47]
	v_lshl_add_u64 v[88:89], v[88:89], 0, s[46:47]
	v_cndmask_b32_e32 v11, v113, v17, vcc
	v_add_f32_e32 v17, v16, v11
	v_mov_b32_e32 v16, s49
	v_cndmask_b32_e64 v18, v16, v11, s[8:9]
	v_sub_f32_e32 v11, v19, v61
	v_mul_f32_e32 v16, 0x3fb8aa3b, v11
	v_fma_f32 v19, v11, s98, -v16
	v_rndne_f32_e32 v36, v16
	v_fmac_f32_e32 v19, 0x32a5705f, v11
	v_sub_f32_e32 v16, v16, v36
	v_add_f32_e32 v16, v16, v19
	v_exp_f32_e32 v16, v16
	v_cvt_i32_f32_e32 v19, v36
	v_cmp_ngt_f32_e32 vcc, s93, v11
	v_lshl_add_u64 v[90:91], v[90:91], 0, s[46:47]
	v_lshl_add_u64 v[92:93], v[92:93], 0, s[46:47]
	v_ldexp_f32 v16, v16, v19
	v_cndmask_b32_e32 v16, 0, v16, vcc
	v_cmp_nlt_f32_e32 vcc, s41, v11
	v_mov_b32_e32 v11, s49
	v_lshl_add_u64 v[94:95], v[94:95], 0, s[46:47]
	v_cndmask_b32_e32 v16, v113, v16, vcc
	v_add_f32_e32 v17, v17, v16
	v_cndmask_b32_e64 v122, v11, v16, s[8:9]
	v_mul_f32_e32 v16, 0x3fb8aa3b, v12
	v_cndmask_b32_e64 v11, 0, v17, s[8:9]
	v_fma_f32 v17, v12, s98, -v16
	v_rndne_f32_e32 v19, v16
	v_fmac_f32_e32 v17, 0x32a5705f, v12
	v_sub_f32_e32 v16, v16, v19
	v_add_f32_e32 v16, v16, v17
	v_exp_f32_e32 v16, v16
	v_cvt_i32_f32_e32 v17, v19
	v_cmp_ngt_f32_e32 vcc, s93, v12
	v_lshl_add_u64 v[96:97], v[96:97], 0, s[46:47]
	v_lshl_add_u64 v[102:103], v[102:103], 0, s[34:35]
	v_ldexp_f32 v16, v16, v17
	v_cndmask_b32_e32 v16, 0, v16, vcc
	v_cmp_nlt_f32_e32 vcc, s41, v12
	v_mov_b32_e32 v12, s49
	v_lshl_add_u64 v[104:105], v[104:105], 0, s[34:35]
	v_cndmask_b32_e32 v16, v113, v16, vcc
	v_add_f32_e32 v17, v16, v11
	v_cndmask_b32_e64 v12, v12, v16, s[10:11]
	v_cndmask_b32_e64 v16, v11, v17, s[10:11]
	v_sub_f32_e32 v11, v13, v61
	v_mul_f32_e32 v13, 0x3fb8aa3b, v11
	v_fma_f32 v17, v11, s98, -v13
	v_rndne_f32_e32 v19, v13
	v_fmac_f32_e32 v17, 0x32a5705f, v11
	v_sub_f32_e32 v13, v13, v19
	v_add_f32_e32 v13, v13, v17
	v_exp_f32_e32 v13, v13
	v_cvt_i32_f32_e32 v17, v19
	v_cmp_ngt_f32_e32 vcc, s93, v11
	s_cmp_lg_u32 s48, 0
	v_ldexp_f32 v13, v13, v17
	v_cndmask_b32_e32 v13, 0, v13, vcc
	v_cmp_nlt_f32_e32 vcc, s41, v11
	v_mov_b32_e32 v11, s49
	s_nop 0
	v_cndmask_b32_e32 v13, v113, v13, vcc
	v_add_f32_e32 v17, v13, v16
	v_cndmask_b32_e64 v11, v11, v13, s[12:13]
	v_cndmask_b32_e64 v13, v16, v17, s[12:13]
	v_mul_f32_e32 v16, 0x3fb8aa3b, v14
	v_fma_f32 v17, v14, s98, -v16
	v_rndne_f32_e32 v19, v16
	v_fmac_f32_e32 v17, 0x32a5705f, v14
	v_sub_f32_e32 v16, v16, v19
	v_add_f32_e32 v16, v16, v17
	v_exp_f32_e32 v16, v16
	v_cvt_i32_f32_e32 v17, v19
	v_cmp_ngt_f32_e32 vcc, s93, v14
	v_ldexp_f32 v16, v16, v17
	s_nop 0
	v_cndmask_b32_e32 v16, 0, v16, vcc
	v_cmp_nlt_f32_e32 vcc, s41, v14
	v_mov_b32_e32 v14, s49
	s_nop 0
	v_cndmask_b32_e32 v16, v113, v16, vcc
	v_add_f32_e32 v17, v16, v13
	v_cndmask_b32_e64 v14, v14, v16, s[14:15]
	v_cndmask_b32_e64 v16, v13, v17, s[14:15]
	v_sub_f32_e32 v13, v15, v61
	v_mul_f32_e32 v15, 0x3fb8aa3b, v13
	v_fma_f32 v17, v13, s98, -v15
	v_rndne_f32_e32 v19, v15
	v_fmac_f32_e32 v17, 0x32a5705f, v13
	v_sub_f32_e32 v15, v15, v19
	v_add_f32_e32 v15, v15, v17
	v_exp_f32_e32 v15, v15
	v_cvt_i32_f32_e32 v17, v19
	v_cmp_ngt_f32_e32 vcc, s93, v13
	v_ldexp_f32 v15, v15, v17
	s_nop 0
	v_cndmask_b32_e32 v15, 0, v15, vcc
	v_cmp_nlt_f32_e32 vcc, s41, v13
	v_mov_b32_e32 v13, s49
	s_nop 0
	v_cndmask_b32_e32 v15, v113, v15, vcc
	v_add_f32_e32 v19, v15, v16
	v_cndmask_b32_e64 v17, v13, v15, s[16:17]
	v_sub_f32_e32 v15, v20, v61
	v_cndmask_b32_e64 v13, v16, v19, s[16:17]
	v_mul_f32_e32 v16, 0x3fb8aa3b, v15
	v_fma_f32 v19, v15, s98, -v16
	v_rndne_f32_e32 v20, v16
	v_fmac_f32_e32 v19, 0x32a5705f, v15
	v_sub_f32_e32 v16, v16, v20
	v_add_f32_e32 v16, v16, v19
	v_exp_f32_e32 v16, v16
	v_cvt_i32_f32_e32 v19, v20
	v_cmp_ngt_f32_e32 vcc, s93, v15
	v_ldexp_f32 v16, v16, v19
	s_nop 0
	v_cndmask_b32_e32 v16, 0, v16, vcc
	v_cmp_nlt_f32_e32 vcc, s41, v15
	s_nop 1
	v_cndmask_b32_e32 v15, v113, v16, vcc
	v_add_f32_e32 v19, v15, v13
	v_mov_b32_e32 v16, s49
	v_cndmask_b32_e64 v16, v16, v15, s[18:19]
	v_cndmask_b32_e64 v15, v13, v19, s[18:19]
	v_sub_f32_e32 v13, v21, v61
	v_mul_f32_e32 v19, 0x3fb8aa3b, v13
	v_fma_f32 v20, v13, s98, -v19
	v_rndne_f32_e32 v21, v19
	v_fmac_f32_e32 v20, 0x32a5705f, v13
	v_sub_f32_e32 v19, v19, v21
	v_add_f32_e32 v19, v19, v20
	v_exp_f32_e32 v19, v19
	v_cvt_i32_f32_e32 v20, v21
	v_cmp_ngt_f32_e32 vcc, s93, v13
	v_ldexp_f32 v19, v19, v20
	s_nop 0
	v_cndmask_b32_e32 v19, 0, v19, vcc
	v_cmp_nlt_f32_e32 vcc, s41, v13
	v_mov_b32_e32 v13, s49
	s_nop 0
	v_cndmask_b32_e32 v19, v113, v19, vcc
	v_add_f32_e32 v20, v19, v15
	v_cndmask_b32_e64 v13, v13, v19, s[20:21]
	v_sub_f32_e32 v19, v22, v61
	v_cndmask_b32_e64 v15, v15, v20, s[20:21]
	v_mul_f32_e32 v20, 0x3fb8aa3b, v19
	v_fma_f32 v21, v19, s98, -v20
	v_rndne_f32_e32 v22, v20
	v_fmac_f32_e32 v21, 0x32a5705f, v19
	v_sub_f32_e32 v20, v20, v22
	v_add_f32_e32 v20, v20, v21
	v_exp_f32_e32 v20, v20
	v_cvt_i32_f32_e32 v21, v22
	v_cmp_ngt_f32_e32 vcc, s93, v19
	v_ldexp_f32 v20, v20, v21
	s_nop 0
	v_cndmask_b32_e32 v20, 0, v20, vcc
	v_cmp_nlt_f32_e32 vcc, s41, v19
	s_nop 1
	v_cndmask_b32_e32 v19, v113, v20, vcc
	v_add_f32_e32 v21, v19, v15
	v_mov_b32_e32 v20, s49
	v_cndmask_b32_e64 v20, v20, v19, s[22:23]
	v_cndmask_b32_e64 v19, v15, v21, s[22:23]
	v_sub_f32_e32 v15, v23, v61
	v_mul_f32_e32 v21, 0x3fb8aa3b, v15
	v_fma_f32 v22, v15, s98, -v21
	v_rndne_f32_e32 v23, v21
	v_fmac_f32_e32 v22, 0x32a5705f, v15
	v_sub_f32_e32 v21, v21, v23
	v_add_f32_e32 v21, v21, v22
	v_exp_f32_e32 v21, v21
	v_cvt_i32_f32_e32 v22, v23
	v_cmp_ngt_f32_e32 vcc, s93, v15
	v_ldexp_f32 v21, v21, v22
	s_nop 0
	v_cndmask_b32_e32 v21, 0, v21, vcc
	v_cmp_nlt_f32_e32 vcc, s41, v15
	v_mov_b32_e32 v15, s49
	s_nop 0
	v_cndmask_b32_e32 v21, v113, v21, vcc
	v_add_f32_e32 v22, v21, v19
	v_cndmask_b32_e64 v23, v15, v21, s[24:25]
	v_cndmask_b32_e64 v15, v19, v22, s[24:25]
	v_sub_f32_e32 v19, v24, v61
	v_mul_f32_e32 v21, 0x3fb8aa3b, v19
	v_fma_f32 v22, v19, s98, -v21
	v_rndne_f32_e32 v24, v21
	v_fmac_f32_e32 v22, 0x32a5705f, v19
	v_sub_f32_e32 v21, v21, v24
	v_add_f32_e32 v21, v21, v22
	v_exp_f32_e32 v21, v21
	v_cvt_i32_f32_e32 v22, v24
	v_cmp_ngt_f32_e32 vcc, s93, v19
	v_ldexp_f32 v21, v21, v22
	s_nop 0
	v_cndmask_b32_e32 v21, 0, v21, vcc
	v_cmp_nlt_f32_e32 vcc, s41, v19
	v_mov_b32_e32 v22, s49
	s_nop 0
	v_cndmask_b32_e32 v19, v113, v21, vcc
	v_add_f32_e32 v21, v19, v15
	v_cndmask_b32_e64 v22, v22, v19, s[0:1]
	v_cndmask_b32_e64 v19, v15, v21, s[0:1]
	v_sub_f32_e32 v15, v25, v61
	v_mul_f32_e32 v21, 0x3fb8aa3b, v15
	v_fma_f32 v24, v15, s98, -v21
	v_rndne_f32_e32 v25, v21
	v_fmac_f32_e32 v24, 0x32a5705f, v15
	v_sub_f32_e32 v21, v21, v25
	v_add_f32_e32 v21, v21, v24
	v_exp_f32_e32 v21, v21
	v_cvt_i32_f32_e32 v24, v25
	v_cmp_ngt_f32_e32 vcc, s93, v15
	v_ldexp_f32 v21, v21, v24
	s_nop 0
	v_cndmask_b32_e32 v21, 0, v21, vcc
	v_cmp_nlt_f32_e32 vcc, s41, v15
	v_mov_b32_e32 v15, s49
	s_nop 0
	v_cndmask_b32_e32 v21, v113, v21, vcc
	v_add_f32_e32 v24, v21, v19
	v_cndmask_b32_e64 v15, v15, v21, s[26:27]
	v_sub_f32_e32 v21, v26, v61
	v_cndmask_b32_e64 v19, v19, v24, s[26:27]
	v_mul_f32_e32 v24, 0x3fb8aa3b, v21
	v_fma_f32 v25, v21, s98, -v24
	v_rndne_f32_e32 v26, v24
	v_fmac_f32_e32 v25, 0x32a5705f, v21
	v_sub_f32_e32 v24, v24, v26
	v_add_f32_e32 v24, v24, v25
	v_exp_f32_e32 v24, v24
	v_cvt_i32_f32_e32 v25, v26
	v_cmp_ngt_f32_e32 vcc, s93, v21
	v_cvt_pk_f16_f32 v22, v22, v15
	v_ldexp_f32 v24, v24, v25
	v_cndmask_b32_e32 v24, 0, v24, vcc
	v_cmp_nlt_f32_e32 vcc, s41, v21
	s_nop 1
	v_cndmask_b32_e32 v21, v113, v24, vcc
	v_add_f32_e32 v25, v21, v19
	v_mov_b32_e32 v24, s49
	v_cndmask_b32_e64 v24, v24, v21, s[28:29]
	v_cndmask_b32_e64 v21, v19, v25, s[28:29]
	v_sub_f32_e32 v19, v27, v61
	v_mul_f32_e32 v25, 0x3fb8aa3b, v19
	v_fma_f32 v26, v19, s98, -v25
	v_rndne_f32_e32 v27, v25
	v_fmac_f32_e32 v26, 0x32a5705f, v19
	v_sub_f32_e32 v25, v25, v27
	v_add_f32_e32 v25, v25, v26
	v_exp_f32_e32 v25, v25
	v_cvt_i32_f32_e32 v26, v27
	v_cmp_ngt_f32_e32 vcc, s93, v19
	v_ldexp_f32 v25, v25, v26
	s_nop 0
	v_cndmask_b32_e32 v25, 0, v25, vcc
	v_cmp_nlt_f32_e32 vcc, s41, v19
	v_mov_b32_e32 v19, s49
	s_nop 0
	v_cndmask_b32_e32 v25, v113, v25, vcc
	v_add_f32_e32 v26, v25, v21
	v_cndmask_b32_e64 v124, v19, v25, s[30:31]
	v_sub_f32_e32 v19, v52, v61
	v_cndmask_b32_e64 v36, v21, v26, s[30:31]
	v_mul_f32_e32 v21, 0x3fb8aa3b, v19
	v_fma_f32 v25, v19, s98, -v21
	v_rndne_f32_e32 v26, v21
	v_fmac_f32_e32 v25, 0x32a5705f, v19
	v_sub_f32_e32 v21, v21, v26
	v_add_f32_e32 v21, v21, v25
	v_exp_f32_e32 v21, v21
	v_cvt_i32_f32_e32 v25, v26
	v_cmp_ngt_f32_e32 vcc, s93, v19
	v_lshl_add_u64 v[26:27], v[98:99], 0, v[50:51]
	v_cndmask_b32_e64 v27, v44, v27, s[4:5]
	v_ldexp_f32 v21, v21, v25
	v_cndmask_b32_e32 v21, 0, v21, vcc
	v_cmp_nlt_f32_e32 vcc, s41, v19
	v_cndmask_b32_e64 v26, v39, v26, s[4:5]
	v_lshl_add_u64 v[98:99], v[98:99], 0, s[50:51]
	v_cndmask_b32_e32 v21, v113, v21, vcc
	v_cmp_le_f32_e32 vcc, s42, v19
	s_nop 1
	v_cndmask_b32_e32 v19, 0, v21, vcc
	v_fmac_f32_e32 v36, v28, v19
	v_cvt_f16_f32_e32 v19, v19
	v_mul_u32_u24_e32 v25, 0x10001, v19
	v_pk_mul_f16 v52, v29, v25
	v_lshl_add_u64 v[28:29], v[100:101], 0, v[50:51]
	v_pk_mul_f16 v111, v120, v25
	v_pk_mul_f16 v120, v118, v25
	;; [unrolled: 1-line block ×7, first 2 shown]
	v_cndmask_b32_e64 v107, v44, v29, s[6:7]
	v_cndmask_b32_e64 v106, v39, v28, s[6:7]
	flat_load_dwordx4 v[26:29], v[26:27]
	v_cvt_f32_f16_sdwa v15, v120 dst_sel:DWORD dst_unused:UNUSED_PAD src0_sel:WORD_1
	v_lshl_add_u64 v[100:101], v[100:101], 0, s[50:51]
	s_waitcnt vmcnt(0) lgkmcnt(0)
	ds_write_b128 v53, v[26:29]
	flat_load_dwordx4 v[26:29], v[106:107]
	v_cvt_pk_f16_f32 v107, v18, v122
	v_cvt_pk_f16_f32 v106, v10, v1
	s_waitcnt vmcnt(0) lgkmcnt(0)
	ds_write_b128 v57, v[26:29]
	s_waitcnt lgkmcnt(0)
	s_barrier
	ds_read_u16 v44, v31 offset:144
	v_cvt_f32_f16_e32 v26, v52
	v_cvt_f32_f16_sdwa v27, v52 dst_sel:DWORD dst_unused:UNUSED_PAD src0_sel:WORD_1
	v_cvt_f32_f16_e32 v28, v111
	v_cvt_f32_f16_sdwa v29, v111 dst_sel:DWORD dst_unused:UNUSED_PAD src0_sel:WORD_1
	ds_read_u16 v45, v37
	ds_read_u16 v52, v37 offset:32
	ds_read_u16 v46, v110
	ds_read_u16 v111, v110 offset:32
	s_waitcnt lgkmcnt(1)
	v_perm_b32 v109, v46, v45, s99
	ds_read_u16 v45, v31
	ds_read_u16 v54, v31 offset:32
	s_waitcnt lgkmcnt(1)
	v_perm_b32 v108, v44, v45, s99
	s_nop 1
	v_mfma_f32_16x16x16_f16 v[26:29], v[108:109], v[106:107], v[26:29]
	s_nop 7
	v_cvt_f16_f32_e32 v1, v26
	v_cvt_f16_f32_e32 v10, v27
	;; [unrolled: 1-line block ×4, first 2 shown]
	ds_read_u16 v27, v31 offset:2304
	ds_read_u16 v28, v31 offset:2448
	;; [unrolled: 1-line block ×4, first 2 shown]
	v_cvt_f32_f16_e32 v44, v1
	v_cvt_f32_f16_e32 v45, v10
	s_waitcnt lgkmcnt(2)
	v_perm_b32 v28, v28, v27, s99
	v_cvt_f32_f16_e32 v46, v18
	s_waitcnt lgkmcnt(0)
	v_perm_b32 v29, v108, v29, s99
	v_cvt_f32_f16_e32 v47, v26
	v_cvt_pk_f16_f32 v27, v14, v17
	v_cvt_pk_f16_f32 v26, v12, v11
	s_nop 1
	v_mfma_f32_16x16x16_f16 v[44:47], v[28:29], v[26:27], v[44:47]
	ds_read_u16 v14, v31 offset:4608
	ds_read_u16 v17, v31 offset:4752
	;; [unrolled: 1-line block ×4, first 2 shown]
	v_cvt_pk_f16_f32 v29, v20, v23
	v_cvt_pk_f16_f32 v23, v24, v124
	s_nop 1
	v_cvt_f16_f32_e32 v10, v45
	v_cvt_f16_f32_e32 v11, v46
	;; [unrolled: 1-line block ×4, first 2 shown]
	v_cvt_f32_f16_e32 v45, v10
	v_cvt_f32_f16_e32 v46, v11
	s_waitcnt lgkmcnt(0)
	v_perm_b32 v11, v28, v18, s99
	v_perm_b32 v10, v17, v14, s99
	v_cvt_f32_f16_e32 v44, v1
	v_cvt_f32_f16_e32 v47, v12
	v_cvt_pk_f16_f32 v28, v16, v13
	ds_read_u16 v14, v31 offset:6912
	ds_read_u16 v16, v31 offset:7056
	;; [unrolled: 1-line block ×4, first 2 shown]
	v_mfma_f32_16x16x16_f16 v[10:13], v[10:11], v[28:29], v[44:47]
	s_waitcnt lgkmcnt(2)
	v_perm_b32 v16, v16, v14, s99
	v_cvt_f32_f16_e32 v14, v120
	s_waitcnt lgkmcnt(0)
	v_perm_b32 v17, v18, v17, s99
	v_perm_b32 v45, v111, v52, s99
	s_nop 1
	v_cvt_f16_f32_e32 v1, v10
	v_cvt_f16_f32_e32 v11, v11
	;; [unrolled: 1-line block ×4, first 2 shown]
	v_cvt_f32_f16_e32 v10, v1
	ds_read_u16 v1, v31 offset:176
	v_cvt_f32_f16_e32 v11, v11
	v_cvt_f32_f16_e32 v12, v12
	;; [unrolled: 1-line block ×4, first 2 shown]
	s_waitcnt lgkmcnt(0)
	v_perm_b32 v44, v1, v54, s99
	v_mfma_f32_16x16x16_f16 v[10:13], v[16:17], v[22:23], v[10:13]
	v_cvt_f32_f16_e32 v16, v118
	v_cvt_f32_f16_sdwa v17, v118 dst_sel:DWORD dst_unused:UNUSED_PAD src0_sel:WORD_1
	ds_read_u16 v1, v31 offset:2336
	ds_read_u16 v18, v31 offset:2480
	;; [unrolled: 1-line block ×4, first 2 shown]
	v_mfma_f32_16x16x16_f16 v[14:17], v[44:45], v[106:107], v[14:17]
	s_waitcnt lgkmcnt(2)
	v_perm_b32 v44, v18, v1, s99
	s_waitcnt lgkmcnt(0)
	v_perm_b32 v45, v24, v20, s99
	v_cvt_f32_f16_sdwa v47, v19 dst_sel:DWORD dst_unused:UNUSED_PAD src0_sel:WORD_1
	s_nop 2
	v_cvt_f16_f32_e32 v14, v14
	v_cvt_f16_f32_e32 v15, v15
	;; [unrolled: 1-line block ×4, first 2 shown]
	v_cvt_f32_f16_e32 v14, v14
	v_cvt_f32_f16_e32 v15, v15
	;; [unrolled: 1-line block ×4, first 2 shown]
	v_cvt_pk_f16_f32 v120, v12, v13
	s_nop 0
	v_mfma_f32_16x16x16_f16 v[14:17], v[44:45], v[26:27], v[14:17]
	ds_read_u16 v18, v31 offset:4640
	ds_read_u16 v20, v31 offset:4784
	;; [unrolled: 1-line block ×4, first 2 shown]
	s_nop 3
	v_cvt_f16_f32_e32 v1, v14
	v_cvt_f16_f32_e32 v15, v15
	;; [unrolled: 1-line block ×4, first 2 shown]
	s_waitcnt lgkmcnt(0)
	v_perm_b32 v45, v44, v24, s99
	v_perm_b32 v44, v20, v18, s99
	v_cvt_f32_f16_e32 v14, v1
	v_cvt_f32_f16_e32 v15, v15
	;; [unrolled: 1-line block ×4, first 2 shown]
	s_nop 1
	v_mfma_f32_16x16x16_f16 v[14:17], v[44:45], v[28:29], v[14:17]
	ds_read_u16 v18, v31 offset:6944
	ds_read_u16 v20, v31 offset:7088
	;; [unrolled: 1-line block ×4, first 2 shown]
	s_nop 3
	v_cvt_f16_f32_e32 v1, v14
	v_cvt_f16_f32_e32 v15, v15
	;; [unrolled: 1-line block ×4, first 2 shown]
	v_cvt_f32_f16_e32 v14, v1
	s_waitcnt lgkmcnt(0)
	v_perm_b32 v45, v44, v24, s99
	v_perm_b32 v44, v20, v18, s99
	ds_read_u16 v1, v31 offset:64
	ds_read_u16 v18, v31 offset:208
	;; [unrolled: 1-line block ×4, first 2 shown]
	v_cvt_f32_f16_e32 v15, v15
	v_cvt_f32_f16_e32 v16, v16
	;; [unrolled: 1-line block ×3, first 2 shown]
	s_waitcnt lgkmcnt(2)
	v_perm_b32 v18, v18, v1, s99
	s_waitcnt lgkmcnt(0)
	v_perm_b32 v19, v24, v20, s99
	v_mfma_f32_16x16x16_f16 v[14:17], v[44:45], v[22:23], v[14:17]
	v_cvt_f32_f16_e32 v44, v21
	v_cvt_f32_f16_sdwa v45, v21 dst_sel:DWORD dst_unused:UNUSED_PAD src0_sel:WORD_1
	s_nop 1
	v_mfma_f32_16x16x16_f16 v[18:21], v[18:19], v[106:107], v[44:47]
	ds_read_u16 v24, v31 offset:2368
	s_nop 1
	ds_read_u16 v44, v31 offset:2512
	ds_read_u16 v45, v37 offset:2368
	;; [unrolled: 1-line block ×3, first 2 shown]
	v_cvt_f32_f16_sdwa v47, v25 dst_sel:DWORD dst_unused:UNUSED_PAD src0_sel:WORD_1
	v_cvt_pk_f16_f32 v118, v14, v15
	v_cvt_f16_f32_e32 v1, v18
	v_cvt_f16_f32_e32 v19, v19
	;; [unrolled: 1-line block ×4, first 2 shown]
	s_waitcnt lgkmcnt(0)
	v_perm_b32 v45, v46, v45, s99
	v_perm_b32 v44, v44, v24, s99
	v_cvt_f32_f16_e32 v18, v1
	v_cvt_f32_f16_e32 v19, v19
	;; [unrolled: 1-line block ×4, first 2 shown]
	s_nop 1
	v_mfma_f32_16x16x16_f16 v[18:21], v[44:45], v[26:27], v[18:21]
	ds_read_u16 v24, v31 offset:4672
	ds_read_u16 v44, v31 offset:4816
	;; [unrolled: 1-line block ×4, first 2 shown]
	s_nop 3
	v_cvt_f16_f32_e32 v1, v18
	v_cvt_f16_f32_e32 v19, v19
	;; [unrolled: 1-line block ×4, first 2 shown]
	s_waitcnt lgkmcnt(0)
	v_perm_b32 v45, v46, v45, s99
	v_perm_b32 v44, v44, v24, s99
	v_cvt_f32_f16_e32 v18, v1
	v_cvt_f32_f16_e32 v19, v19
	;; [unrolled: 1-line block ×4, first 2 shown]
	s_nop 1
	v_mfma_f32_16x16x16_f16 v[18:21], v[44:45], v[28:29], v[18:21]
	ds_read_u16 v24, v31 offset:6976
	ds_read_u16 v44, v31 offset:7120
	;; [unrolled: 1-line block ×4, first 2 shown]
	s_nop 3
	v_cvt_f16_f32_e32 v1, v18
	v_cvt_f16_f32_e32 v19, v19
	v_cvt_f16_f32_e32 v20, v20
	v_cvt_f16_f32_e32 v21, v21
	v_cvt_f32_f16_e32 v18, v1
	s_waitcnt lgkmcnt(2)
	v_perm_b32 v44, v44, v24, s99
	ds_read_u16 v1, v31 offset:96
	ds_read_u16 v24, v31 offset:240
	;; [unrolled: 1-line block ×4, first 2 shown]
	s_waitcnt lgkmcnt(4)
	v_perm_b32 v45, v46, v45, s99
	v_cvt_f32_f16_e32 v19, v19
	v_cvt_f32_f16_e32 v20, v20
	;; [unrolled: 1-line block ×4, first 2 shown]
	s_waitcnt lgkmcnt(0)
	v_perm_b32 v25, v54, v52, s99
	v_perm_b32 v24, v24, v1, s99
	v_mfma_f32_16x16x16_f16 v[18:21], v[44:45], v[22:23], v[18:21]
	v_cvt_f32_f16_e32 v44, v116
	v_cvt_f32_f16_sdwa v45, v116 dst_sel:DWORD dst_unused:UNUSED_PAD src0_sel:WORD_1
	v_cvt_pk_f16_f32 v116, v16, v17
	s_nop 0
	v_mfma_f32_16x16x16_f16 v[44:47], v[24:25], v[106:107], v[44:47]
	ds_read_u16 v52, v31 offset:2400
	ds_read_u16 v54, v31 offset:2544
	;; [unrolled: 1-line block ×4, first 2 shown]
	v_cvt_pk_f16_f32 v109, v18, v19
	v_cvt_pk_f16_f32 v108, v20, v21
	s_nop 1
	v_cvt_f16_f32_e32 v24, v45
	v_cvt_f16_f32_e32 v25, v46
	;; [unrolled: 1-line block ×4, first 2 shown]
	v_cvt_f32_f16_e32 v45, v24
	v_cvt_f32_f16_e32 v46, v25
	s_waitcnt lgkmcnt(0)
	v_perm_b32 v25, v107, v106, s99
	v_perm_b32 v24, v54, v52, s99
	v_cvt_f32_f16_e32 v44, v1
	v_cvt_f32_f16_e32 v47, v47
	s_nop 1
	v_mfma_f32_16x16x16_f16 v[24:27], v[24:25], v[26:27], v[44:47]
	s_nop 2
	ds_read_u16 v44, v31 offset:4704
	ds_read_u16 v46, v31 offset:4848
	;; [unrolled: 1-line block ×4, first 2 shown]
	s_nop 0
	v_cvt_f16_f32_e32 v1, v24
	v_cvt_f16_f32_e32 v25, v25
	;; [unrolled: 1-line block ×4, first 2 shown]
	s_waitcnt lgkmcnt(0)
	v_perm_b32 v45, v47, v45, s99
	v_perm_b32 v44, v46, v44, s99
	v_cvt_f32_f16_e32 v24, v1
	v_cvt_f32_f16_e32 v25, v25
	;; [unrolled: 1-line block ×4, first 2 shown]
	s_nop 1
	v_mfma_f32_16x16x16_f16 v[26:29], v[44:45], v[28:29], v[24:27]
	s_nop 7
	v_cvt_f16_f32_e32 v25, v26
	v_cvt_f16_f32_e32 v26, v27
	v_cvt_f16_f32_e32 v27, v28
	v_cvt_f16_f32_e32 v28, v29
	ds_read_u16 v1, v31 offset:7008
	ds_read_u16 v24, v31 offset:7152
	;; [unrolled: 1-line block ×4, first 2 shown]
	v_cvt_f32_f16_e32 v44, v25
	v_cvt_f32_f16_e32 v45, v26
	s_waitcnt lgkmcnt(2)
	v_perm_b32 v24, v24, v1, s99
	v_cvt_f32_f16_e32 v46, v27
	s_waitcnt lgkmcnt(0)
	v_perm_b32 v25, v52, v29, s99
	v_cvt_f32_f16_e32 v47, v28
	v_cvt_pk_f16_f32 v29, v10, v11
	s_nop 0
	v_mfma_f32_16x16x16_f16 v[22:25], v[24:25], v[22:23], v[44:47]
	s_barrier
	s_nop 6
	v_cvt_pk_f16_f32 v107, v22, v23
	v_cvt_pk_f16_f32 v106, v24, v25
	s_cbranch_scc0 .LBB0_192
; %bb.190:                              ;   in Loop: Header=BB0_187 Depth=2
	v_mov_b32_e32 v28, v36
	v_mov_b32_e32 v52, v61
	v_cndmask_b32_e64 v1, 0, 1, s[52:53]
	v_cmp_ne_u32_e64 s[54:55], 1, v1
	s_andn2_b64 vcc, exec, s[52:53]
	s_cbranch_vccz .LBB0_178
	s_branch .LBB0_187
.LBB0_191:                              ;   in Loop: Header=BB0_13 Depth=1
	v_mov_b32_e32 v61, 0xfeffffff
	s_mov_b32 s48, 0
	v_mov_b32_e32 v36, 0
	v_mov_b32_e32 v106, 0
	;; [unrolled: 1-line block ×9, first 2 shown]
	s_branch .LBB0_193
.LBB0_192:                              ;   in Loop: Header=BB0_13 Depth=1
	scratch_load_dword v67, off, off offset:120 ; 4-byte Folded Reload
	scratch_load_dword v70, off, off offset:140 ; 4-byte Folded Reload
	;; [unrolled: 1-line block ×5, first 2 shown]
	scratch_load_dwordx2 v[74:75], off, off offset:156 ; 8-byte Folded Reload
	scratch_load_dword v75, off, off offset:164 ; 4-byte Folded Reload
	scratch_load_dword v76, off, off offset:168 ; 4-byte Folded Reload
	;; [unrolled: 1-line block ×32, first 2 shown]
	s_lshl_b32 s48, s44, 6
	s_waitcnt vmcnt(36)
	v_and_b32_e32 v68, 31, v70
	v_bfe_u32 v69, v70, 10, 10
.LBB0_193:                              ;   in Loop: Header=BB0_13 Depth=1
	v_readlane_b32 s52, v126, 4
	v_cmp_eq_u64_e32 vcc, 0, v[62:63]
	s_sub_i32 s44, s52, s48
	v_cmp_ne_u64_e64 s[56:57], 0, v[62:63]
	v_readlane_b32 s53, v126, 5
	s_cbranch_vccnz .LBB0_211
; %bb.194:                              ;   in Loop: Header=BB0_13 Depth=1
	s_waitcnt vmcnt(32)
	v_cmp_le_i32_e32 vcc, s44, v74
	s_and_saveexec_b64 s[52:53], vcc
	s_xor_b64 s[52:53], exec, s[52:53]
	s_cbranch_execz .LBB0_196
; %bb.195:                              ;   in Loop: Header=BB0_13 Depth=1
	v_add_u32_e32 v1, 0x240, v114
	ds_write_b16 v114, v33 offset:9216
	ds_write_b16 v1, v33 offset:9216
.LBB0_196:                              ;   in Loop: Header=BB0_13 Depth=1
	s_or_saveexec_b64 s[52:53], s[52:53]
	s_lshl_b64 s[54:55], s[48:49], 1
	v_lshl_add_u64 v[10:11], v[62:63], 0, s[54:55]
	v_lshlrev_b32_e32 v32, 1, v74
	v_lshl_add_u64 v[10:11], v[10:11], 0, v[32:33]
	v_mov_b32_e32 v1, 0
	v_mov_b32_e32 v12, 0
	s_xor_b64 exec, exec, s[52:53]
	s_cbranch_execz .LBB0_198
; %bb.197:                              ;   in Loop: Header=BB0_13 Depth=1
	v_add_u32_e32 v1, s58, v69
	v_mul_hi_u32 v12, s2, v1
	v_add_u32_e32 v12, v1, v12
	v_lshrrev_b32_e32 v12, s3, v12
	v_mul_lo_u32 v12, v12, s92
	v_sub_u32_e32 v1, v1, v12
	v_mad_i64_i32 v[12:13], s[54:55], v1, s80, 0
	v_lshl_add_u64 v[12:13], v[12:13], 1, v[10:11]
	global_load_ushort v1, v[12:13], off
	s_nop 0
	scratch_load_dword v12, off, off offset:60 ; 4-byte Folded Reload
	s_waitcnt vmcnt(1)
	ds_write_b16 v114, v1 offset:9216
	s_waitcnt vmcnt(0)
	v_add_u32_e32 v12, s58, v12
	v_mul_hi_u32 v13, s2, v12
	v_add_u32_e32 v13, v12, v13
	v_lshrrev_b32_e32 v13, s3, v13
	v_mul_lo_u32 v13, v13, s92
	v_sub_u32_e32 v12, v12, v13
	v_mad_i64_i32 v[12:13], s[54:55], v12, s80, 0
	v_lshl_add_u64 v[12:13], v[12:13], 1, v[10:11]
	global_load_ushort v12, v[12:13], off
	v_add_u32_e32 v1, 0x240, v114
	s_waitcnt vmcnt(0)
	ds_write_b16 v1, v12 offset:9216
	scratch_load_dword v1, off, off offset:64 ; 4-byte Folded Reload
	s_waitcnt vmcnt(0)
	v_add_u32_e32 v1, s58, v1
	v_mul_hi_u32 v12, s2, v1
	v_add_u32_e32 v12, v1, v12
	v_lshrrev_b32_e32 v12, s3, v12
	v_mul_lo_u32 v12, v12, s92
	v_sub_u32_e32 v1, v1, v12
	v_mad_i64_i32 v[12:13], s[54:55], v1, s80, 0
	v_lshl_add_u64 v[12:13], v[12:13], 1, v[10:11]
	global_load_ushort v1, v[12:13], off
	s_nop 0
	scratch_load_dword v12, off, off offset:68 ; 4-byte Folded Reload
	s_waitcnt vmcnt(0)
	v_add_u32_e32 v12, s58, v12
	v_mul_hi_u32 v13, s2, v12
	v_add_u32_e32 v13, v12, v13
	v_lshrrev_b32_e32 v13, s3, v13
	v_mul_lo_u32 v13, v13, s92
	v_sub_u32_e32 v12, v12, v13
	v_mad_i64_i32 v[12:13], s[54:55], v12, s80, 0
	v_lshl_add_u64 v[12:13], v[12:13], 1, v[10:11]
	global_load_ushort v12, v[12:13], off
.LBB0_198:                              ;   in Loop: Header=BB0_13 Depth=1
	s_or_b64 exec, exec, s[52:53]
	v_add_u32_e32 v13, 0x480, v114
	ds_write_b16 v13, v1 offset:9216
	v_add_u32_e32 v1, 0x6c0, v114
	s_waitcnt vmcnt(0)
	ds_write_b16 v1, v12 offset:9216
	s_and_saveexec_b64 s[52:53], vcc
	s_xor_b64 s[52:53], exec, s[52:53]
	s_cbranch_execz .LBB0_200
; %bb.199:                              ;   in Loop: Header=BB0_13 Depth=1
	v_add_u32_e32 v1, 0x900, v114
	ds_write_b16 v1, v33 offset:9216
	v_add_u32_e32 v1, 0xb40, v114
	ds_write_b16 v1, v33 offset:9216
.LBB0_200:                              ;   in Loop: Header=BB0_13 Depth=1
	s_or_saveexec_b64 s[52:53], s[52:53]
	v_mov_b32_e32 v1, 0
	v_mov_b32_e32 v12, 0
	s_xor_b64 exec, exec, s[52:53]
	s_cbranch_execz .LBB0_202
; %bb.201:                              ;   in Loop: Header=BB0_13 Depth=1
	scratch_load_dword v1, off, off offset:72 ; 4-byte Folded Reload
	s_waitcnt vmcnt(0)
	v_add_u32_e32 v1, s58, v1
	v_mul_hi_u32 v12, s2, v1
	v_add_u32_e32 v12, v1, v12
	v_lshrrev_b32_e32 v12, s3, v12
	v_mul_lo_u32 v12, v12, s92
	v_sub_u32_e32 v1, v1, v12
	v_mad_i64_i32 v[12:13], s[54:55], v1, s80, 0
	v_lshl_add_u64 v[12:13], v[12:13], 1, v[10:11]
	global_load_ushort v1, v[12:13], off
	s_nop 0
	scratch_load_dword v12, off, off offset:76 ; 4-byte Folded Reload
	s_waitcnt vmcnt(0)
	v_add_u32_e32 v12, s58, v12
	v_mul_hi_u32 v13, s2, v12
	v_add_u32_e32 v13, v12, v13
	v_lshrrev_b32_e32 v13, s3, v13
	v_mul_lo_u32 v13, v13, s92
	v_sub_u32_e32 v12, v12, v13
	v_mad_i64_i32 v[12:13], s[54:55], v12, s80, 0
	v_lshl_add_u64 v[12:13], v[12:13], 1, v[10:11]
	global_load_ushort v12, v[12:13], off
	v_add_u32_e32 v13, 0x900, v114
	ds_write_b16 v13, v1 offset:9216
	v_add_u32_e32 v1, 0xb40, v114
	s_waitcnt vmcnt(0)
	ds_write_b16 v1, v12 offset:9216
	scratch_load_dword v1, off, off offset:80 ; 4-byte Folded Reload
	s_waitcnt vmcnt(0)
	v_add_u32_e32 v1, s58, v1
	v_mul_hi_u32 v12, s2, v1
	v_add_u32_e32 v12, v1, v12
	v_lshrrev_b32_e32 v12, s3, v12
	v_mul_lo_u32 v12, v12, s92
	v_sub_u32_e32 v1, v1, v12
	v_mad_i64_i32 v[12:13], s[54:55], v1, s80, 0
	v_lshl_add_u64 v[12:13], v[12:13], 1, v[10:11]
	global_load_ushort v1, v[12:13], off
	s_nop 0
	scratch_load_dword v12, off, off offset:84 ; 4-byte Folded Reload
	s_waitcnt vmcnt(0)
	v_add_u32_e32 v12, s58, v12
	v_mul_hi_u32 v13, s2, v12
	v_add_u32_e32 v13, v12, v13
	v_lshrrev_b32_e32 v13, s3, v13
	v_mul_lo_u32 v13, v13, s92
	v_sub_u32_e32 v12, v12, v13
	v_mad_i64_i32 v[12:13], s[54:55], v12, s80, 0
	v_lshl_add_u64 v[12:13], v[12:13], 1, v[10:11]
	global_load_ushort v12, v[12:13], off
.LBB0_202:                              ;   in Loop: Header=BB0_13 Depth=1
	s_or_b64 exec, exec, s[52:53]
	v_add_u32_e32 v13, 0xd80, v114
	ds_write_b16 v13, v1 offset:9216
	v_add_u32_e32 v1, 0xfc0, v114
	s_waitcnt vmcnt(0)
	ds_write_b16 v1, v12 offset:9216
	s_and_saveexec_b64 s[52:53], vcc
	s_xor_b64 s[52:53], exec, s[52:53]
	s_cbranch_execz .LBB0_204
; %bb.203:                              ;   in Loop: Header=BB0_13 Depth=1
	v_add_u32_e32 v1, 0x1200, v114
	ds_write_b16 v1, v33 offset:9216
	ds_write_b16 v56, v33 offset:9216
.LBB0_204:                              ;   in Loop: Header=BB0_13 Depth=1
	s_or_saveexec_b64 s[52:53], s[52:53]
	v_mov_b32_e32 v1, 0
	v_mov_b32_e32 v12, 0
	s_xor_b64 exec, exec, s[52:53]
	s_cbranch_execz .LBB0_206
; %bb.205:                              ;   in Loop: Header=BB0_13 Depth=1
	scratch_load_dword v1, off, off offset:88 ; 4-byte Folded Reload
	s_waitcnt vmcnt(0)
	v_add_u32_e32 v1, s58, v1
	v_mul_hi_u32 v12, s2, v1
	v_add_u32_e32 v12, v1, v12
	v_lshrrev_b32_e32 v12, s3, v12
	v_mul_lo_u32 v12, v12, s92
	v_sub_u32_e32 v1, v1, v12
	v_mad_i64_i32 v[12:13], s[54:55], v1, s80, 0
	v_lshl_add_u64 v[12:13], v[12:13], 1, v[10:11]
	global_load_ushort v1, v[12:13], off
	s_nop 0
	scratch_load_dword v12, off, off offset:92 ; 4-byte Folded Reload
	s_waitcnt vmcnt(0)
	v_add_u32_e32 v12, s58, v12
	v_mul_hi_u32 v13, s2, v12
	v_add_u32_e32 v13, v12, v13
	v_lshrrev_b32_e32 v13, s3, v13
	v_mul_lo_u32 v13, v13, s92
	v_sub_u32_e32 v12, v12, v13
	v_mad_i64_i32 v[12:13], s[54:55], v12, s80, 0
	v_lshl_add_u64 v[12:13], v[12:13], 1, v[10:11]
	global_load_ushort v12, v[12:13], off
	v_add_u32_e32 v13, 0x1200, v114
	ds_write_b16 v13, v1 offset:9216
	s_waitcnt vmcnt(0)
	ds_write_b16 v56, v12 offset:9216
	scratch_load_dword v1, off, off offset:96 ; 4-byte Folded Reload
	s_waitcnt vmcnt(0)
	v_add_u32_e32 v1, s58, v1
	v_mul_hi_u32 v12, s2, v1
	v_add_u32_e32 v12, v1, v12
	v_lshrrev_b32_e32 v12, s3, v12
	v_mul_lo_u32 v12, v12, s92
	v_sub_u32_e32 v1, v1, v12
	v_mad_i64_i32 v[12:13], s[54:55], v1, s80, 0
	v_lshl_add_u64 v[12:13], v[12:13], 1, v[10:11]
	global_load_ushort v1, v[12:13], off
	s_nop 0
	scratch_load_dword v12, off, off offset:100 ; 4-byte Folded Reload
	s_waitcnt vmcnt(0)
	v_add_u32_e32 v12, s58, v12
	v_mul_hi_u32 v13, s2, v12
	v_add_u32_e32 v13, v12, v13
	v_lshrrev_b32_e32 v13, s3, v13
	v_mul_lo_u32 v13, v13, s92
	v_sub_u32_e32 v12, v12, v13
	v_mad_i64_i32 v[12:13], s[54:55], v12, s80, 0
	v_lshl_add_u64 v[12:13], v[12:13], 1, v[10:11]
	global_load_ushort v12, v[12:13], off
.LBB0_206:                              ;   in Loop: Header=BB0_13 Depth=1
	s_or_b64 exec, exec, s[52:53]
	ds_write_b16 v58, v1 offset:9216
	s_waitcnt vmcnt(0)
	ds_write_b16 v48, v12 offset:9216
	s_and_saveexec_b64 s[52:53], vcc
	s_xor_b64 s[52:53], exec, s[52:53]
	s_cbranch_execz .LBB0_208
; %bb.207:                              ;   in Loop: Header=BB0_13 Depth=1
	ds_write_b16 v115, v33 offset:9216
	ds_write_b16 v117, v33 offset:9216
                                        ; implicit-def: $vgpr10_vgpr11
.LBB0_208:                              ;   in Loop: Header=BB0_13 Depth=1
	s_or_saveexec_b64 s[52:53], s[52:53]
	v_mov_b32_e32 v1, 0
	v_mov_b32_e32 v12, 0
	s_xor_b64 exec, exec, s[52:53]
	s_cbranch_execz .LBB0_210
; %bb.209:                              ;   in Loop: Header=BB0_13 Depth=1
	scratch_load_dword v1, off, off offset:104 ; 4-byte Folded Reload
	s_waitcnt vmcnt(0)
	v_add_u32_e32 v1, s58, v1
	v_mul_hi_u32 v12, s2, v1
	v_add_u32_e32 v12, v1, v12
	v_lshrrev_b32_e32 v12, s3, v12
	v_mul_lo_u32 v12, v12, s92
	v_sub_u32_e32 v1, v1, v12
	v_mad_i64_i32 v[12:13], s[54:55], v1, s80, 0
	v_lshl_add_u64 v[12:13], v[12:13], 1, v[10:11]
	global_load_ushort v1, v[12:13], off
	s_nop 0
	scratch_load_dword v12, off, off offset:108 ; 4-byte Folded Reload
	s_waitcnt vmcnt(0)
	v_add_u32_e32 v12, s58, v12
	v_mul_hi_u32 v13, s2, v12
	v_add_u32_e32 v13, v12, v13
	v_lshrrev_b32_e32 v13, s3, v13
	v_mul_lo_u32 v13, v13, s92
	v_sub_u32_e32 v12, v12, v13
	v_mad_i64_i32 v[12:13], s[54:55], v12, s80, 0
	v_lshl_add_u64 v[12:13], v[12:13], 1, v[10:11]
	global_load_ushort v12, v[12:13], off
	ds_write_b16 v115, v1 offset:9216
	s_waitcnt vmcnt(0)
	ds_write_b16 v117, v12 offset:9216
	scratch_load_dword v1, off, off offset:112 ; 4-byte Folded Reload
	s_waitcnt vmcnt(0)
	v_add_u32_e32 v1, s58, v1
	v_mul_hi_u32 v12, s2, v1
	v_add_u32_e32 v12, v1, v12
	v_lshrrev_b32_e32 v12, s3, v12
	v_mul_lo_u32 v12, v12, s92
	v_sub_u32_e32 v1, v1, v12
	v_mad_i64_i32 v[12:13], s[54:55], v1, s80, 0
	v_lshl_add_u64 v[12:13], v[12:13], 1, v[10:11]
	global_load_ushort v1, v[12:13], off
	s_nop 0
	scratch_load_dword v12, off, off offset:116 ; 4-byte Folded Reload
	s_waitcnt vmcnt(0)
	v_add_u32_e32 v12, s58, v12
	v_mul_hi_u32 v13, s2, v12
	v_add_u32_e32 v13, v12, v13
	v_lshrrev_b32_e32 v13, s3, v13
	v_mul_lo_u32 v13, v13, s92
	v_sub_u32_e32 v12, v12, v13
	v_mad_i64_i32 v[12:13], s[54:55], v12, s80, 0
	v_lshl_add_u64 v[10:11], v[12:13], 1, v[10:11]
	global_load_ushort v12, v[10:11], off
.LBB0_210:                              ;   in Loop: Header=BB0_13 Depth=1
	s_or_b64 exec, exec, s[52:53]
	ds_write_b16 v121, v1 offset:9216
	s_waitcnt vmcnt(0)
	ds_write_b16 v125, v12 offset:9216
.LBB0_211:                              ;   in Loop: Header=BB0_13 Depth=1
	scratch_load_dwordx2 v[10:11], off, off offset:16 ; 8-byte Folded Reload
	scratch_load_dwordx2 v[12:13], off, off offset:24 ; 8-byte Folded Reload
	s_mul_i32 s52, s48, s91
	s_mul_hi_u32 s53, s48, s90
	s_add_i32 s53, s53, s52
	s_mul_i32 s52, s48, s90
	s_lshl_b64 s[52:53], s[52:53], 2
	s_add_u32 s58, s39, s52
	s_addc_u32 s59, s40, s53
	v_lshlrev_b32_e32 v32, 2, v38
	s_waitcnt vmcnt(33)
	v_cmp_gt_i32_e64 s[52:53], s44, v75
	v_mov_b32_e32 v1, s43
	s_waitcnt vmcnt(32)
	v_cmp_gt_i32_e64 s[54:55], s44, v76
	scratch_store_dwordx4 off, v[40:43], off
	s_mov_b64 s[96:97], s[74:75]
	s_andn2_b64 vcc, exec, s[56:57]
	s_waitcnt vmcnt(2)
	v_lshl_add_u64 v[10:11], v[10:11], 2, s[58:59]
	v_lshl_add_u64 v[10:11], v[10:11], 0, v[32:33]
	s_waitcnt vmcnt(1)
	v_lshl_add_u64 v[12:13], v[12:13], 2, s[58:59]
	v_cndmask_b32_e64 v11, v1, v11, s[52:53]
	v_cndmask_b32_e64 v10, v39, v10, s[52:53]
	v_lshl_add_u64 v[12:13], v[12:13], 0, v[32:33]
	v_cndmask_b32_e64 v15, v1, v13, s[54:55]
	v_cndmask_b32_e64 v14, v39, v12, s[54:55]
	flat_load_dwordx4 v[10:13], v[10:11]
	v_add_u32_e32 v1, 0x800, v59
	s_waitcnt vmcnt(0) lgkmcnt(0)
	ds_write_b128 v53, v[10:13]
	flat_load_dwordx4 v[10:13], v[14:15]
	s_waitcnt vmcnt(0) lgkmcnt(0)
	ds_write_b128 v57, v[10:13]
	s_waitcnt lgkmcnt(0)
	s_barrier
	ds_read2_b64 v[10:13], v59 offset1:4
	s_waitcnt lgkmcnt(0)
	v_mfma_f32_16x16x16_f16 v[14:17], v[10:11], v[6:7], 0
	v_mfma_f32_16x16x16_f16 v[10:13], v[12:13], v[8:9], v[14:17]
	s_nop 6
	ds_read2_b64 v[14:17], v59 offset0:8 offset1:12
	s_waitcnt lgkmcnt(0)
	v_mfma_f32_16x16x16_f16 v[10:13], v[14:15], v[2:3], v[10:13]
	v_mfma_f32_16x16x16_f16 v[22:25], v[16:17], v[4:5], v[10:13]
	s_nop 6
	ds_read2_b64 v[10:13], v1 offset0:32 offset1:36
	;; [unrolled: 5-line block ×3, first 2 shown]
	s_waitcnt lgkmcnt(0)
	v_mfma_f32_16x16x16_f16 v[10:13], v[14:15], v[2:3], v[10:13]
	v_add_u32_e32 v1, 0x1000, v59
	v_mfma_f32_16x16x16_f16 v[18:21], v[16:17], v[4:5], v[10:13]
	s_nop 5
	ds_read2_b64 v[10:13], v1 offset0:64 offset1:68
	s_waitcnt lgkmcnt(0)
	v_mfma_f32_16x16x16_f16 v[14:17], v[10:11], v[6:7], 0
	v_mfma_f32_16x16x16_f16 v[10:13], v[12:13], v[8:9], v[14:17]
	s_nop 6
	ds_read2_b64 v[14:17], v1 offset0:72 offset1:76
	s_waitcnt lgkmcnt(0)
	v_mfma_f32_16x16x16_f16 v[10:13], v[14:15], v[2:3], v[10:13]
	v_add_u32_e32 v1, 0x1800, v59
	v_mfma_f32_16x16x16_f16 v[10:13], v[16:17], v[4:5], v[10:13]
	ds_read2_b64 v[14:17], v1 offset0:96 offset1:100
	s_waitcnt lgkmcnt(0)
	v_mfma_f32_16x16x16_f16 v[44:47], v[14:15], v[6:7], 0
	v_mfma_f32_16x16x16_f16 v[6:9], v[16:17], v[8:9], v[44:47]
	ds_read2_b64 v[14:17], v1 offset0:104 offset1:108
	s_waitcnt lgkmcnt(0)
	s_barrier
	v_mfma_f32_16x16x16_f16 v[6:9], v[14:15], v[2:3], v[6:9]
	v_mfma_f32_16x16x16_f16 v[14:17], v[16:17], v[4:5], v[6:9]
	s_cbranch_vccnz .LBB0_213
; %bb.212:                              ;   in Loop: Header=BB0_13 Depth=1
	ds_read_b32 v1, v0 offset:9216
	s_waitcnt lgkmcnt(0)
	v_cvt_f32_f16_sdwa v3, v1 dst_sel:DWORD dst_unused:UNUSED_PAD src0_sel:WORD_1
	v_cvt_f32_f16_e32 v2, v1
	ds_read_b32 v1, v119 offset:9216
	v_pk_fma_f32 v[22:23], v[60:61], v[2:3], v[22:23] op_sel_hi:[0,1,1]
	s_waitcnt lgkmcnt(0)
	v_cvt_f32_f16_sdwa v5, v1 dst_sel:DWORD dst_unused:UNUSED_PAD src0_sel:WORD_1
	v_cvt_f32_f16_e32 v4, v1
	v_add_u32_e32 v1, 0x2400, v55
	ds_read2_b32 v[2:3], v1 offset1:1
	v_add_u32_e32 v1, 0x2400, v123
	v_pk_fma_f32 v[24:25], v[60:61], v[4:5], v[24:25] op_sel_hi:[0,1,1]
	s_waitcnt lgkmcnt(0)
	v_cvt_f32_f16_e32 v4, v2
	v_cvt_f32_f16_sdwa v5, v2 dst_sel:DWORD dst_unused:UNUSED_PAD src0_sel:WORD_1
	v_cvt_f32_f16_e32 v2, v3
	v_cvt_f32_f16_sdwa v3, v3 dst_sel:DWORD dst_unused:UNUSED_PAD src0_sel:WORD_1
	v_pk_fma_f32 v[18:19], v[60:61], v[4:5], v[18:19] op_sel_hi:[0,1,1]
	v_pk_fma_f32 v[20:21], v[60:61], v[2:3], v[20:21] op_sel_hi:[0,1,1]
	ds_read2_b32 v[2:3], v1 offset1:1
	v_add_u32_e32 v1, 0x2400, v30
	s_waitcnt lgkmcnt(0)
	v_cvt_f32_f16_e32 v4, v2
	v_cvt_f32_f16_sdwa v5, v2 dst_sel:DWORD dst_unused:UNUSED_PAD src0_sel:WORD_1
	v_cvt_f32_f16_e32 v2, v3
	v_cvt_f32_f16_sdwa v3, v3 dst_sel:DWORD dst_unused:UNUSED_PAD src0_sel:WORD_1
	v_pk_fma_f32 v[10:11], v[60:61], v[4:5], v[10:11] op_sel_hi:[0,1,1]
	v_pk_fma_f32 v[12:13], v[60:61], v[2:3], v[12:13] op_sel_hi:[0,1,1]
	ds_read2_b32 v[2:3], v1 offset1:1
	s_waitcnt lgkmcnt(0)
	v_cvt_f32_f16_e32 v4, v2
	v_cvt_f32_f16_sdwa v5, v2 dst_sel:DWORD dst_unused:UNUSED_PAD src0_sel:WORD_1
	v_cvt_f32_f16_e32 v2, v3
	v_cvt_f32_f16_sdwa v3, v3 dst_sel:DWORD dst_unused:UNUSED_PAD src0_sel:WORD_1
	v_pk_fma_f32 v[14:15], v[60:61], v[4:5], v[14:15] op_sel_hi:[0,1,1]
	v_pk_fma_f32 v[16:17], v[60:61], v[2:3], v[16:17] op_sel_hi:[0,1,1]
.LBB0_213:                              ;   in Loop: Header=BB0_13 Depth=1
	scratch_load_dword v4, off, off offset:48 ; 4-byte Folded Reload
	v_add_f32_e32 v1, 0x40051340, v22
	v_max_f32_e32 v2, v61, v61
	v_cmp_gt_u32_e64 s[84:85], s44, v77
	v_max_f32_e32 v1, v2, v1
	v_add_f32_e32 v2, 0x40051340, v23
	v_cndmask_b32_e64 v1, v61, v1, s[84:85]
	v_max_f32_e32 v3, v1, v1
	v_cmp_gt_u32_e64 s[82:83], s44, v84
	v_max_f32_e32 v2, v3, v2
	v_cmp_gt_u32_e64 s[80:81], s44, v85
	v_cndmask_b32_e64 v1, v1, v2, s[82:83]
	v_add_f32_e32 v2, 0x40051340, v24
	v_max_f32_e32 v3, v1, v1
	v_max_f32_e32 v2, v3, v2
	v_cndmask_b32_e64 v1, v1, v2, s[80:81]
	v_add_f32_e32 v2, 0x40051340, v25
	v_max_f32_e32 v3, v1, v1
	v_cmp_gt_u32_e64 s[78:79], s44, v86
	v_max_f32_e32 v2, v3, v2
	v_cmp_gt_u32_e64 s[76:77], s44, v78
	v_cndmask_b32_e64 v1, v1, v2, s[78:79]
	v_add_f32_e32 v2, 0x40051340, v18
	v_max_f32_e32 v3, v1, v1
	v_max_f32_e32 v2, v3, v2
	v_cndmask_b32_e64 v1, v1, v2, s[76:77]
	v_add_f32_e32 v2, 0x40051340, v19
	;; [unrolled: 10-line block ×7, first 2 shown]
	v_max_f32_e32 v3, v1, v1
	v_cmp_gt_u32_e32 vcc, s44, v92
	v_max_f32_e32 v2, v3, v2
	s_waitcnt vmcnt(0)
	v_xor_b32_e32 v3, 32, v4
	v_cndmask_b32_e32 v1, v1, v2, vcc
	v_and_b32_e32 v2, 64, v4
	v_add_u32_e32 v2, 64, v2
	v_cmp_lt_i32_e64 s[88:89], v3, v2
	s_mul_i32 s39, s48, s95
	s_mul_hi_u32 s40, s48, s94
	v_cndmask_b32_e64 v3, v4, v3, s[88:89]
	v_lshlrev_b32_e32 v28, 2, v3
	ds_bpermute_b32 v3, v28, v1
	v_max_f32_e32 v1, v1, v1
	scratch_store_dwordx4 off, v[40:43], off
	s_waitcnt lgkmcnt(0)
	v_max_f32_e32 v3, v3, v3
	v_max_f32_e32 v1, v1, v3
	v_xor_b32_e32 v3, 16, v4
	v_cmp_lt_i32_e64 s[88:89], v3, v2
	s_nop 1
	v_cndmask_b32_e64 v2, v4, v3, s[88:89]
	v_lshlrev_b32_e32 v27, 2, v2
	ds_bpermute_b32 v2, v27, v1
	s_waitcnt lgkmcnt(0)
	v_max_f32_e32 v2, v2, v2
	v_max_f32_e32 v26, v1, v2
	v_sub_f32_e32 v1, v22, v26
	v_mul_f32_e32 v2, 0x3fb8aa3b, v1
	v_fma_f32 v3, v1, s98, -v2
	v_rndne_f32_e32 v4, v2
	v_fmac_f32_e32 v3, 0x32a5705f, v1
	v_sub_f32_e32 v2, v2, v4
	v_add_f32_e32 v2, v2, v3
	v_exp_f32_e32 v2, v2
	v_cvt_i32_f32_e32 v3, v4
	v_cmp_ngt_f32_e64 s[88:89], s93, v1
	v_mov_b32_e32 v22, s43
	v_ldexp_f32 v2, v2, v3
	v_cndmask_b32_e64 v2, 0, v2, s[88:89]
	v_cmp_nlt_f32_e64 s[88:89], s41, v1
	s_nop 1
	v_cndmask_b32_e64 v1, v113, v2, s[88:89]
	v_cndmask_b32_e64 v2, 0, v1, s[84:85]
	v_sub_f32_e32 v1, v23, v26
	v_mul_f32_e32 v3, 0x3fb8aa3b, v1
	v_fma_f32 v4, v1, s98, -v3
	v_rndne_f32_e32 v5, v3
	v_fmac_f32_e32 v4, 0x32a5705f, v1
	v_sub_f32_e32 v3, v3, v5
	v_add_f32_e32 v3, v3, v4
	v_exp_f32_e32 v3, v3
	v_cvt_i32_f32_e32 v4, v5
	v_cmp_ngt_f32_e64 s[84:85], s93, v1
	v_ldexp_f32 v3, v3, v4
	s_nop 0
	v_cndmask_b32_e64 v3, 0, v3, s[84:85]
	v_cmp_nlt_f32_e64 s[84:85], s41, v1
	v_mov_b32_e32 v1, s49
	s_nop 0
	v_cndmask_b32_e64 v3, v113, v3, s[84:85]
	v_add_f32_e32 v4, v3, v2
	v_cndmask_b32_e64 v1, v1, v3, s[82:83]
	v_cndmask_b32_e64 v3, v2, v4, s[82:83]
	v_sub_f32_e32 v4, v24, v26
	v_mul_f32_e32 v5, 0x3fb8aa3b, v4
	v_fma_f32 v6, v4, s98, -v5
	v_rndne_f32_e32 v7, v5
	v_fmac_f32_e32 v6, 0x32a5705f, v4
	v_sub_f32_e32 v5, v5, v7
	v_add_f32_e32 v5, v5, v6
	v_exp_f32_e32 v5, v5
	v_cvt_i32_f32_e32 v6, v7
	v_cmp_ngt_f32_e64 s[82:83], s93, v4
	v_ldexp_f32 v5, v5, v6
	s_nop 0
	v_cndmask_b32_e64 v5, 0, v5, s[82:83]
	v_cmp_nlt_f32_e64 s[82:83], s41, v4
	v_mov_b32_e32 v4, s49
	s_nop 0
	v_cndmask_b32_e64 v5, v113, v5, s[82:83]
	v_add_f32_e32 v6, v3, v5
	;; [unrolled: 20-line block ×3, first 2 shown]
	v_cndmask_b32_e64 v49, v3, v6, s[78:79]
	v_cndmask_b32_e64 v3, v5, v7, s[78:79]
	v_sub_f32_e32 v5, v18, v26
	v_mul_f32_e32 v6, 0x3fb8aa3b, v5
	v_fma_f32 v7, v5, s98, -v6
	v_rndne_f32_e32 v8, v6
	v_fmac_f32_e32 v7, 0x32a5705f, v5
	v_sub_f32_e32 v6, v6, v8
	v_add_f32_e32 v6, v6, v7
	v_exp_f32_e32 v6, v6
	v_cvt_i32_f32_e32 v7, v8
	v_cmp_ngt_f32_e64 s[78:79], s93, v5
	v_ldexp_f32 v6, v6, v7
	s_nop 0
	v_cndmask_b32_e64 v6, 0, v6, s[78:79]
	v_cmp_nlt_f32_e64 s[78:79], s41, v5
	s_nop 1
	v_cndmask_b32_e64 v5, v113, v6, s[78:79]
	v_add_f32_e32 v7, v5, v3
	v_mov_b32_e32 v6, s49
	v_cndmask_b32_e64 v6, v6, v5, s[76:77]
	v_cndmask_b32_e64 v5, v3, v7, s[76:77]
	v_sub_f32_e32 v3, v19, v26
	v_mul_f32_e32 v7, 0x3fb8aa3b, v3
	v_fma_f32 v8, v3, s98, -v7
	v_rndne_f32_e32 v9, v7
	v_fmac_f32_e32 v8, 0x32a5705f, v3
	v_sub_f32_e32 v7, v7, v9
	v_add_f32_e32 v7, v7, v8
	v_exp_f32_e32 v7, v7
	v_cvt_i32_f32_e32 v8, v9
	v_cmp_ngt_f32_e64 s[76:77], s93, v3
	v_ldexp_f32 v7, v7, v8
	s_nop 0
	v_cndmask_b32_e64 v7, 0, v7, s[76:77]
	v_cmp_nlt_f32_e64 s[76:77], s41, v3
	v_mov_b32_e32 v3, s49
	s_nop 0
	v_cndmask_b32_e64 v7, v113, v7, s[76:77]
	v_add_f32_e32 v8, v7, v5
	v_cndmask_b32_e64 v3, v3, v7, s[74:75]
	v_sub_f32_e32 v7, v20, v26
	v_cndmask_b32_e64 v5, v5, v8, s[74:75]
	v_mul_f32_e32 v8, 0x3fb8aa3b, v7
	v_fma_f32 v9, v7, s98, -v8
	v_rndne_f32_e32 v18, v8
	v_fmac_f32_e32 v9, 0x32a5705f, v7
	v_sub_f32_e32 v8, v8, v18
	v_add_f32_e32 v8, v8, v9
	v_exp_f32_e32 v8, v8
	v_cvt_i32_f32_e32 v9, v18
	v_cmp_ngt_f32_e64 s[74:75], s93, v7
	v_ldexp_f32 v8, v8, v9
	s_nop 0
	v_cndmask_b32_e64 v8, 0, v8, s[74:75]
	v_cmp_nlt_f32_e64 s[74:75], s41, v7
	s_nop 1
	v_cndmask_b32_e64 v7, v113, v8, s[74:75]
	v_add_f32_e32 v9, v7, v5
	v_mov_b32_e32 v8, s49
	v_cndmask_b32_e64 v8, v8, v7, s[72:73]
	v_cndmask_b32_e64 v7, v5, v9, s[72:73]
	v_sub_f32_e32 v5, v21, v26
	v_mul_f32_e32 v9, 0x3fb8aa3b, v5
	v_fma_f32 v18, v5, s98, -v9
	v_rndne_f32_e32 v19, v9
	v_fmac_f32_e32 v18, 0x32a5705f, v5
	v_sub_f32_e32 v9, v9, v19
	v_add_f32_e32 v9, v9, v18
	v_exp_f32_e32 v9, v9
	v_cvt_i32_f32_e32 v18, v19
	v_cmp_ngt_f32_e64 s[72:73], s93, v5
	scratch_load_dwordx2 v[20:21], off, off offset:40 ; 8-byte Folded Reload
	v_ldexp_f32 v9, v9, v18
	v_cndmask_b32_e64 v9, 0, v9, s[72:73]
	v_cmp_nlt_f32_e64 s[72:73], s41, v5
	v_mov_b32_e32 v5, s49
	s_nop 0
	v_cndmask_b32_e64 v9, v113, v9, s[72:73]
	v_add_f32_e32 v18, v9, v7
	v_cndmask_b32_e64 v60, v5, v9, s[70:71]
	v_cndmask_b32_e64 v5, v7, v18, s[70:71]
	v_sub_f32_e32 v7, v10, v26
	v_mul_f32_e32 v9, 0x3fb8aa3b, v7
	v_fma_f32 v10, v7, s98, -v9
	v_rndne_f32_e32 v18, v9
	v_fmac_f32_e32 v10, 0x32a5705f, v7
	v_sub_f32_e32 v9, v9, v18
	v_add_f32_e32 v9, v9, v10
	v_exp_f32_e32 v9, v9
	v_cvt_i32_f32_e32 v10, v18
	v_cmp_ngt_f32_e64 s[70:71], s93, v7
	v_ldexp_f32 v9, v9, v10
	s_nop 0
	v_cndmask_b32_e64 v9, 0, v9, s[70:71]
	v_cmp_nlt_f32_e64 s[70:71], s41, v7
	v_mov_b32_e32 v10, s49
	s_nop 0
	v_cndmask_b32_e64 v7, v113, v9, s[70:71]
	v_add_f32_e32 v9, v7, v5
	v_cndmask_b32_e64 v10, v10, v7, s[68:69]
	v_cndmask_b32_e64 v7, v5, v9, s[68:69]
	v_sub_f32_e32 v5, v11, v26
	v_mul_f32_e32 v9, 0x3fb8aa3b, v5
	v_fma_f32 v11, v5, s98, -v9
	v_rndne_f32_e32 v18, v9
	v_fmac_f32_e32 v11, 0x32a5705f, v5
	v_sub_f32_e32 v9, v9, v18
	v_add_f32_e32 v9, v9, v11
	v_exp_f32_e32 v9, v9
	v_cvt_i32_f32_e32 v11, v18
	v_cmp_ngt_f32_e64 s[68:69], s93, v5
	v_ldexp_f32 v9, v9, v11
	s_nop 0
	v_cndmask_b32_e64 v9, 0, v9, s[68:69]
	v_cmp_nlt_f32_e64 s[68:69], s41, v5
	v_mov_b32_e32 v5, s49
	s_nop 0
	v_cndmask_b32_e64 v9, v113, v9, s[68:69]
	v_add_f32_e32 v11, v9, v7
	v_cndmask_b32_e64 v5, v5, v9, s[66:67]
	v_sub_f32_e32 v9, v12, v26
	v_cndmask_b32_e64 v7, v7, v11, s[66:67]
	v_mul_f32_e32 v11, 0x3fb8aa3b, v9
	v_fma_f32 v12, v9, s98, -v11
	v_rndne_f32_e32 v18, v11
	v_fmac_f32_e32 v12, 0x32a5705f, v9
	v_sub_f32_e32 v11, v11, v18
	v_add_f32_e32 v11, v11, v12
	v_exp_f32_e32 v11, v11
	v_cvt_i32_f32_e32 v12, v18
	v_cmp_ngt_f32_e64 s[66:67], s93, v9
	v_ldexp_f32 v11, v11, v12
	s_nop 0
	v_cndmask_b32_e64 v11, 0, v11, s[66:67]
	v_cmp_nlt_f32_e64 s[66:67], s41, v9
	v_mov_b32_e32 v12, s49
	s_nop 0
	v_cndmask_b32_e64 v9, v113, v11, s[66:67]
	v_add_f32_e32 v11, v9, v7
	v_cndmask_b32_e64 v12, v12, v9, s[64:65]
	v_cndmask_b32_e64 v9, v7, v11, s[64:65]
	v_sub_f32_e32 v7, v13, v26
	v_mul_f32_e32 v11, 0x3fb8aa3b, v7
	v_fma_f32 v13, v7, s98, -v11
	v_rndne_f32_e32 v18, v11
	v_fmac_f32_e32 v13, 0x32a5705f, v7
	v_sub_f32_e32 v11, v11, v18
	v_add_f32_e32 v11, v11, v13
	v_exp_f32_e32 v11, v11
	v_cvt_i32_f32_e32 v13, v18
	v_cmp_ngt_f32_e64 s[64:65], s93, v7
	v_ldexp_f32 v11, v11, v13
	s_nop 0
	v_cndmask_b32_e64 v11, 0, v11, s[64:65]
	v_cmp_nlt_f32_e64 s[64:65], s41, v7
	v_mov_b32_e32 v7, s49
	s_nop 0
	v_cndmask_b32_e64 v11, v113, v11, s[64:65]
	v_add_f32_e32 v13, v11, v9
	v_cndmask_b32_e64 v11, v7, v11, s[62:63]
	v_cndmask_b32_e64 v7, v9, v13, s[62:63]
	v_sub_f32_e32 v9, v14, v26
	;; [unrolled: 20-line block ×3, first 2 shown]
	v_mul_f32_e32 v13, 0x3fb8aa3b, v7
	v_fma_f32 v15, v7, s98, -v13
	v_rndne_f32_e32 v18, v13
	v_fmac_f32_e32 v15, 0x32a5705f, v7
	v_sub_f32_e32 v13, v13, v18
	v_add_f32_e32 v13, v13, v15
	v_exp_f32_e32 v13, v13
	v_cvt_i32_f32_e32 v15, v18
	v_cmp_ngt_f32_e64 s[60:61], s93, v7
	v_ldexp_f32 v13, v13, v15
	s_nop 0
	v_cndmask_b32_e64 v13, 0, v13, s[60:61]
	v_cmp_nlt_f32_e64 s[60:61], s41, v7
	v_mov_b32_e32 v7, s49
	s_nop 0
	v_cndmask_b32_e64 v13, v113, v13, s[60:61]
	v_add_f32_e32 v15, v13, v9
	v_cndmask_b32_e64 v7, v7, v13, s[58:59]
	v_sub_f32_e32 v13, v16, v26
	v_cndmask_b32_e64 v9, v9, v15, s[58:59]
	v_mul_f32_e32 v15, 0x3fb8aa3b, v13
	v_fma_f32 v16, v13, s98, -v15
	v_rndne_f32_e32 v18, v15
	v_fmac_f32_e32 v16, 0x32a5705f, v13
	v_sub_f32_e32 v15, v15, v18
	v_add_f32_e32 v15, v15, v16
	v_exp_f32_e32 v15, v15
	v_cvt_i32_f32_e32 v16, v18
	v_cmp_ngt_f32_e64 s[58:59], s93, v13
	v_ldexp_f32 v15, v15, v16
	s_nop 0
	v_cndmask_b32_e64 v15, 0, v15, s[58:59]
	v_cmp_nlt_f32_e64 s[58:59], s41, v13
	v_mov_b32_e32 v16, s49
	s_nop 0
	v_cndmask_b32_e64 v13, v113, v15, s[58:59]
	v_add_f32_e32 v15, v13, v9
	v_cndmask_b32_e64 v16, v16, v13, s[56:57]
	v_cndmask_b32_e64 v13, v9, v15, s[56:57]
	v_sub_f32_e32 v9, v17, v26
	v_mul_f32_e32 v15, 0x3fb8aa3b, v9
	v_fma_f32 v17, v9, s98, -v15
	v_rndne_f32_e32 v18, v15
	v_fmac_f32_e32 v17, 0x32a5705f, v9
	v_sub_f32_e32 v15, v15, v18
	v_add_f32_e32 v15, v15, v17
	v_exp_f32_e32 v15, v15
	v_cvt_i32_f32_e32 v17, v18
	v_cmp_ngt_f32_e64 s[56:57], s93, v9
	v_ldexp_f32 v15, v15, v17
	s_nop 0
	v_cndmask_b32_e64 v15, 0, v15, s[56:57]
	v_cmp_nlt_f32_e64 s[56:57], s41, v9
	v_mov_b32_e32 v9, s49
	s_nop 0
	v_cndmask_b32_e64 v15, v113, v15, s[56:57]
	v_add_f32_e32 v17, v15, v13
	v_cndmask_b32_e32 v62, v9, v15, vcc
	v_sub_f32_e32 v9, v61, v26
	v_cndmask_b32_e32 v15, v13, v17, vcc
	v_mul_f32_e32 v13, 0x3fb8aa3b, v9
	v_fma_f32 v17, v9, s98, -v13
	v_rndne_f32_e32 v18, v13
	v_fmac_f32_e32 v17, 0x32a5705f, v9
	v_sub_f32_e32 v13, v13, v18
	v_add_f32_e32 v13, v13, v17
	v_cvt_i32_f32_e32 v17, v18
	scratch_load_dwordx2 v[18:19], off, off offset:32 ; 8-byte Folded Reload
	s_add_i32 s57, s40, s39
	s_mul_i32 s56, s48, s94
	s_lshl_b64 s[56:57], s[56:57], 2
	s_add_u32 s44, s45, s56
	s_addc_u32 s45, s38, s57
	s_waitcnt vmcnt(1)
	v_lshl_add_u64 v[20:21], v[20:21], 2, s[44:45]
	v_lshl_add_u64 v[20:21], v[20:21], 0, v[32:33]
	v_cndmask_b32_e64 v23, v22, v21, s[54:55]
	v_exp_f32_e32 v13, v13
	v_cmp_ngt_f32_e32 vcc, s93, v9
	s_cmp_eq_u64 s[96:97], 0
	v_ldexp_f32 v13, v13, v17
	v_cndmask_b32_e32 v13, 0, v13, vcc
	v_cmp_nlt_f32_e32 vcc, s41, v9
	s_waitcnt vmcnt(0)
	v_lshl_add_u64 v[18:19], v[18:19], 2, s[44:45]
	v_lshl_add_u64 v[18:19], v[18:19], 0, v[32:33]
	v_cndmask_b32_e64 v19, v22, v19, s[52:53]
	v_cndmask_b32_e64 v18, v39, v18, s[52:53]
	;; [unrolled: 1-line block ×3, first 2 shown]
	flat_load_dwordx4 v[18:21], v[18:19]
	v_cndmask_b32_e32 v13, v113, v13, vcc
	v_cmp_le_f32_e32 vcc, s42, v9
	s_waitcnt vmcnt(0) lgkmcnt(0)
	ds_write_b128 v53, v[18:21]
	flat_load_dwordx4 v[18:21], v[22:23]
	v_cndmask_b32_e32 v9, 0, v13, vcc
	v_fmac_f32_e32 v15, v36, v9
	v_cvt_f16_f32_e32 v9, v9
	v_mul_u32_u24_e32 v17, 0x10001, v9
	v_pk_mul_f16 v13, v120, v17
	v_pk_mul_f16 v61, v29, v17
	v_cvt_f32_f16_e32 v46, v13
	v_cvt_f32_f16_sdwa v47, v13 dst_sel:DWORD dst_unused:UNUSED_PAD src0_sel:WORD_1
	v_cvt_f32_f16_e32 v44, v61
	v_cvt_f32_f16_sdwa v45, v61 dst_sel:DWORD dst_unused:UNUSED_PAD src0_sel:WORD_1
	v_pk_mul_f16 v36, v118, v17
	v_pk_mul_f16 v29, v116, v17
	;; [unrolled: 1-line block ×6, first 2 shown]
	s_waitcnt vmcnt(0) lgkmcnt(0)
	ds_write_b128 v57, v[18:21]
	s_waitcnt lgkmcnt(0)
	s_barrier
	ds_read_u16 v18, v31 offset:144
	ds_read_u16 v13, v37
	ds_read_u16 v32, v37 offset:32
	ds_read_u16 v19, v110
	ds_read_u16 v52, v110 offset:32
	v_cvt_pk_f16_f32 v21, v4, v49
	v_cvt_pk_f16_f32 v20, v2, v1
	s_waitcnt lgkmcnt(1)
	v_perm_b32 v19, v19, v13, s99
	ds_read_u16 v13, v31
	ds_read_u16 v54, v31 offset:32
	s_waitcnt lgkmcnt(1)
	v_perm_b32 v18, v18, v13, s99
	s_nop 1
	v_mfma_f32_16x16x16_f16 v[44:47], v[18:19], v[20:21], v[44:47]
	ds_read_u16 v18, v31 offset:2304
	ds_read_u16 v19, v31 offset:2448
	;; [unrolled: 1-line block ×4, first 2 shown]
	s_nop 3
	v_cvt_f16_f32_e32 v1, v44
	v_cvt_f16_f32_e32 v2, v45
	;; [unrolled: 1-line block ×4, first 2 shown]
	s_waitcnt lgkmcnt(0)
	v_perm_b32 v23, v23, v22, s99
	v_perm_b32 v22, v19, v18, s99
	v_cvt_f32_f16_e32 v44, v1
	v_cvt_f32_f16_e32 v45, v2
	;; [unrolled: 1-line block ×4, first 2 shown]
	v_cvt_pk_f16_f32 v19, v8, v60
	v_cvt_pk_f16_f32 v18, v6, v3
	s_nop 1
	v_mfma_f32_16x16x16_f16 v[44:47], v[22:23], v[18:19], v[44:47]
	ds_read_u16 v6, v31 offset:4608
	ds_read_u16 v8, v31 offset:4752
	;; [unrolled: 1-line block ×4, first 2 shown]
	s_nop 3
	v_cvt_f16_f32_e32 v2, v45
	v_cvt_f16_f32_e32 v3, v46
	;; [unrolled: 1-line block ×4, first 2 shown]
	v_cvt_f32_f16_e32 v45, v2
	v_cvt_f32_f16_e32 v46, v3
	s_waitcnt lgkmcnt(0)
	v_perm_b32 v3, v22, v13, s99
	v_perm_b32 v2, v8, v6, s99
	v_cvt_f32_f16_e32 v44, v1
	v_cvt_f32_f16_e32 v47, v4
	v_cvt_pk_f16_f32 v13, v12, v11
	v_cvt_pk_f16_f32 v12, v10, v5
	ds_read_u16 v6, v31 offset:6912
	ds_read_u16 v8, v31 offset:7056
	;; [unrolled: 1-line block ×4, first 2 shown]
	v_mfma_f32_16x16x16_f16 v[2:5], v[2:3], v[12:13], v[44:47]
	s_waitcnt lgkmcnt(2)
	v_perm_b32 v22, v8, v6, s99
	ds_read_u16 v8, v31 offset:176
	s_waitcnt lgkmcnt(1)
	v_perm_b32 v23, v11, v10, s99
	v_cvt_pk_f16_f32 v11, v16, v62
	s_nop 1
	v_cvt_f16_f32_e32 v1, v2
	v_cvt_f16_f32_e32 v3, v3
	;; [unrolled: 1-line block ×4, first 2 shown]
	v_cvt_f32_f16_e32 v2, v1
	v_cvt_f32_f16_e32 v3, v3
	;; [unrolled: 1-line block ×4, first 2 shown]
	v_cvt_pk_f16_f32 v10, v14, v7
	v_cvt_f32_f16_e32 v6, v29
	v_cvt_f32_f16_sdwa v7, v29 dst_sel:DWORD dst_unused:UNUSED_PAD src0_sel:WORD_1
	v_mfma_f32_16x16x16_f16 v[2:5], v[22:23], v[10:11], v[2:5]
	v_perm_b32 v23, v52, v32, s99
	s_waitcnt lgkmcnt(0)
	v_perm_b32 v22, v8, v54, s99
	s_nop 4
	v_cvt_f16_f32_e32 v1, v4
	v_cvt_f16_f32_e32 v4, v5
	v_cvt_f32_f16_sdwa v5, v36 dst_sel:DWORD dst_unused:UNUSED_PAD src0_sel:WORD_1
	v_perm_b32 v1, v4, v1, s99
	v_cvt_f32_f16_e32 v4, v36
	s_nop 1
	v_mfma_f32_16x16x16_f16 v[4:7], v[22:23], v[20:21], v[4:7]
	ds_read_u16 v8, v31 offset:2336
	ds_read_u16 v14, v31 offset:2480
	ds_read_u16 v16, v37 offset:2336
	ds_read_u16 v22, v110 offset:2336
	s_nop 3
	v_cvt_f16_f32_e32 v4, v4
	v_cvt_f16_f32_e32 v5, v5
	v_cvt_f16_f32_e32 v6, v6
	v_cvt_f16_f32_e32 v7, v7
	s_waitcnt lgkmcnt(0)
	v_perm_b32 v23, v22, v16, s99
	v_perm_b32 v22, v14, v8, s99
	v_cvt_f32_f16_e32 v4, v4
	v_cvt_f32_f16_e32 v5, v5
	v_cvt_f32_f16_e32 v6, v6
	v_cvt_f32_f16_e32 v7, v7
	s_nop 1
	v_mfma_f32_16x16x16_f16 v[4:7], v[22:23], v[18:19], v[4:7]
	ds_read_u16 v8, v31 offset:4640
	ds_read_u16 v14, v31 offset:4784
	ds_read_u16 v16, v37 offset:4640
	ds_read_u16 v22, v110 offset:4640
	s_nop 3
	v_cvt_f16_f32_e32 v4, v4
	v_cvt_f16_f32_e32 v5, v5
	v_cvt_f16_f32_e32 v6, v6
	v_cvt_f16_f32_e32 v7, v7
	s_waitcnt lgkmcnt(0)
	v_perm_b32 v23, v22, v16, s99
	v_perm_b32 v22, v14, v8, s99
	v_cvt_f32_f16_e32 v4, v4
	v_cvt_f32_f16_e32 v5, v5
	v_cvt_f32_f16_e32 v6, v6
	;; [unrolled: 18-line block ×3, first 2 shown]
	v_cvt_f32_f16_e32 v7, v7
	v_cvt_f32_f16_e32 v8, v9
	v_cvt_f32_f16_sdwa v9, v9 dst_sel:DWORD dst_unused:UNUSED_PAD src0_sel:WORD_1
	v_mfma_f32_16x16x16_f16 v[4:7], v[22:23], v[10:11], v[4:7]
	ds_read_u16 v16, v31 offset:64
	ds_read_u16 v22, v31 offset:208
	ds_read_u16 v23, v37 offset:64
	ds_read_u16 v29, v110 offset:64
	s_nop 3
	v_cvt_f16_f32_e32 v6, v6
	v_cvt_f16_f32_e32 v7, v7
	s_waitcnt lgkmcnt(0)
	v_perm_b32 v23, v29, v23, s99
	v_perm_b32 v22, v22, v16, s99
	;; [unrolled: 1-line block ×3, first 2 shown]
	v_cvt_f32_f16_e32 v6, v25
	v_cvt_f32_f16_sdwa v7, v25 dst_sel:DWORD dst_unused:UNUSED_PAD src0_sel:WORD_1
	s_nop 1
	v_mfma_f32_16x16x16_f16 v[6:9], v[22:23], v[20:21], v[6:9]
	ds_read_u16 v16, v31 offset:2368
	ds_read_u16 v22, v31 offset:2512
	ds_read_u16 v23, v37 offset:2368
	ds_read_u16 v25, v110 offset:2368
	s_nop 3
	v_cvt_f16_f32_e32 v6, v6
	v_cvt_f16_f32_e32 v7, v7
	v_cvt_f16_f32_e32 v8, v8
	v_cvt_f16_f32_e32 v9, v9
	s_waitcnt lgkmcnt(0)
	v_perm_b32 v23, v25, v23, s99
	v_perm_b32 v22, v22, v16, s99
	v_cvt_f32_f16_e32 v6, v6
	v_cvt_f32_f16_e32 v7, v7
	v_cvt_f32_f16_e32 v8, v8
	v_cvt_f32_f16_e32 v9, v9
	s_nop 1
	v_mfma_f32_16x16x16_f16 v[6:9], v[22:23], v[18:19], v[6:9]
	ds_read_u16 v16, v31 offset:4672
	ds_read_u16 v22, v31 offset:4816
	ds_read_u16 v23, v37 offset:4672
	ds_read_u16 v25, v110 offset:4672
	s_nop 3
	v_cvt_f16_f32_e32 v6, v6
	v_cvt_f16_f32_e32 v7, v7
	v_cvt_f16_f32_e32 v8, v8
	v_cvt_f16_f32_e32 v9, v9
	s_waitcnt lgkmcnt(0)
	v_perm_b32 v23, v25, v23, s99
	v_perm_b32 v22, v22, v16, s99
	v_cvt_f32_f16_e32 v6, v6
	v_cvt_f32_f16_e32 v7, v7
	v_cvt_f32_f16_e32 v8, v8
	v_cvt_f32_f16_e32 v9, v9
	;; [unrolled: 18-line block ×3, first 2 shown]
	v_cvt_f32_f16_sdwa v25, v17 dst_sel:DWORD dst_unused:UNUSED_PAD src0_sel:WORD_1
	s_nop 0
	v_mfma_f32_16x16x16_f16 v[6:9], v[22:23], v[10:11], v[6:9]
	v_cvt_f32_f16_e32 v22, v24
	v_cvt_f32_f16_sdwa v23, v24 dst_sel:DWORD dst_unused:UNUSED_PAD src0_sel:WORD_1
	v_cvt_f32_f16_e32 v24, v17
	s_nop 4
	v_cvt_f16_f32_e32 v8, v8
	v_cvt_f16_f32_e32 v9, v9
	v_perm_b32 v16, v9, v8, s99
	ds_read_u16 v8, v31 offset:96
	ds_read_u16 v29, v31 offset:240
	;; [unrolled: 1-line block ×4, first 2 shown]
	s_waitcnt lgkmcnt(2)
	v_perm_b32 v8, v29, v8, s99
	s_waitcnt lgkmcnt(0)
	v_perm_b32 v9, v32, v9, s99
	s_nop 1
	v_mfma_f32_16x16x16_f16 v[20:23], v[8:9], v[20:21], v[22:25]
	s_nop 7
	v_cvt_f16_f32_e32 v9, v20
	v_cvt_f16_f32_e32 v17, v21
	v_cvt_f16_f32_e32 v20, v22
	v_cvt_f16_f32_e32 v21, v23
	ds_read_u16 v8, v31 offset:2400
	ds_read_u16 v22, v31 offset:2544
	;; [unrolled: 1-line block ×4, first 2 shown]
	v_cvt_f32_f16_e32 v44, v9
	v_cvt_f32_f16_e32 v45, v17
	s_waitcnt lgkmcnt(2)
	v_perm_b32 v8, v22, v8, s99
	v_cvt_f32_f16_e32 v46, v20
	s_waitcnt lgkmcnt(0)
	v_perm_b32 v9, v24, v23, s99
	v_cvt_f32_f16_e32 v47, v21
	ds_read_u16 v22, v31 offset:4704
	ds_read_u16 v23, v31 offset:4848
	;; [unrolled: 1-line block ×4, first 2 shown]
	v_mfma_f32_16x16x16_f16 v[18:21], v[8:9], v[18:19], v[44:47]
	s_nop 7
	v_cvt_f16_f32_e32 v8, v18
	v_cvt_f16_f32_e32 v9, v19
	;; [unrolled: 1-line block ×4, first 2 shown]
	v_cvt_f32_f16_e32 v18, v8
	v_cvt_f32_f16_e32 v19, v9
	s_waitcnt lgkmcnt(0)
	v_perm_b32 v9, v25, v24, s99
	v_perm_b32 v8, v23, v22, s99
	v_cvt_f32_f16_e32 v20, v17
	v_cvt_f32_f16_e32 v21, v21
	s_nop 1
	v_mfma_f32_16x16x16_f16 v[18:21], v[8:9], v[12:13], v[18:21]
	s_nop 7
	v_cvt_f16_f32_e32 v13, v19
	v_cvt_f16_f32_e32 v17, v20
	ds_read_u16 v8, v31 offset:7008
	ds_read_u16 v9, v31 offset:7152
	ds_read_u16 v19, v37 offset:7008
	ds_read_u16 v20, v110 offset:7008
	v_cvt_f16_f32_e32 v12, v18
	v_cvt_f16_f32_e32 v18, v21
	v_cvt_f32_f16_e32 v23, v13
	v_cvt_f32_f16_e32 v24, v17
	;; [unrolled: 1-line block ×3, first 2 shown]
	s_waitcnt lgkmcnt(0)
	v_perm_b32 v13, v20, v19, s99
	v_perm_b32 v12, v9, v8, s99
	v_cvt_f32_f16_e32 v25, v18
	s_barrier
	s_nop 0
	v_mfma_f32_16x16x16_f16 v[8:11], v[12:13], v[10:11], v[22:25]
	s_nop 7
	v_cvt_f16_f32_e32 v10, v10
	v_cvt_f16_f32_e32 v11, v11
	v_perm_b32 v10, v11, v10, s99
	ds_bpermute_b32 v11, v28, v15
	s_waitcnt lgkmcnt(0)
	v_add_f32_e32 v11, v15, v11
	ds_bpermute_b32 v12, v27, v11
	s_waitcnt lgkmcnt(0)
	v_add_f32_e32 v27, v11, v12
	s_cbranch_scc1 .LBB0_215
; %bb.214:                              ;   in Loop: Header=BB0_13 Depth=1
	v_cvt_pk_f16_f32 v5, v4, v5
	global_load_dword v4, v33, s[96:97]
	v_cvt_pk_f16_f32 v3, v2, v3
	v_cvt_pk_f16_f32 v6, v6, v7
	;; [unrolled: 1-line block ×3, first 2 shown]
	v_max_f32_e32 v8, v26, v26
	s_waitcnt vmcnt(0)
	v_max_f32_e32 v2, v4, v4
	v_max_f32_e32 v2, v8, v2
	v_sub_f32_e32 v8, v26, v2
	v_mul_f32_e32 v9, 0x3fb8aa3b, v8
	v_fma_f32 v11, v8, s98, -v9
	v_rndne_f32_e32 v12, v9
	v_fmac_f32_e32 v11, 0x32a5705f, v8
	v_sub_f32_e32 v9, v9, v12
	v_add_f32_e32 v9, v9, v11
	v_exp_f32_e32 v9, v9
	v_cvt_i32_f32_e32 v11, v12
	v_cmp_ngt_f32_e32 vcc, s93, v8
	v_ldexp_f32 v9, v9, v11
	s_nop 0
	v_cndmask_b32_e32 v9, 0, v9, vcc
	v_cmp_nlt_f32_e32 vcc, s41, v8
	s_nop 1
	v_cndmask_b32_e32 v9, v113, v9, vcc
	v_cmp_le_f32_e32 vcc, s42, v8
	s_nop 1
	v_cndmask_b32_e32 v8, 0, v9, vcc
	v_sub_f32_e32 v9, v4, v2
	v_cvt_f16_f32_e32 v4, v8
	v_cmp_ngt_f32_e32 vcc, s93, v9
	v_mul_u32_u24_e32 v11, 0x10001, v4
	v_pk_mul_f16 v4, v3, v11
	v_mul_f32_e32 v3, 0x3fb8aa3b, v9
	v_pk_mul_f16 v1, v1, v11
	v_pk_mul_f16 v5, v5, v11
	;; [unrolled: 1-line block ×7, first 2 shown]
	v_fma_f32 v11, v9, s98, -v3
	v_rndne_f32_e32 v12, v3
	v_fmac_f32_e32 v11, 0x32a5705f, v9
	v_sub_f32_e32 v3, v3, v12
	v_add_f32_e32 v3, v3, v11
	v_exp_f32_e32 v3, v3
	v_cvt_i32_f32_e32 v11, v12
	v_ldexp_f32 v3, v3, v11
	v_cndmask_b32_e32 v3, 0, v3, vcc
	v_cmp_nlt_f32_e32 vcc, s41, v9
	s_nop 1
	v_cndmask_b32_e32 v3, v113, v3, vcc
	v_fmac_f32_e32 v3, v27, v8
	v_mov_b64_e32 v[26:27], v[2:3]
	s_branch .LBB0_216
.LBB0_215:                              ;   in Loop: Header=BB0_13 Depth=1
	v_cvt_f16_f32_e32 v2, v2
	v_cvt_f16_f32_e32 v3, v3
	;; [unrolled: 1-line block ×8, first 2 shown]
	v_perm_b32 v4, v3, v2, s99
	v_perm_b32 v5, v5, v11, s99
	;; [unrolled: 1-line block ×4, first 2 shown]
.LBB0_216:                              ;   in Loop: Header=BB0_13 Depth=1
	scratch_load_dword v54, off, off offset:56 ; 4-byte Folded Reload
	v_readlane_b32 s76, v127, 7
	v_readlane_b32 s72, v127, 23
	v_readlane_b32 s84, v127, 21
	v_readlane_b32 s77, v127, 8
	v_readlane_b32 s78, v127, 9
	v_readlane_b32 s79, v127, 10
	v_readlane_b32 s73, v127, 24
	v_readlane_b32 s85, v127, 22
	s_mov_b64 s[38:39], exec
	v_readlane_b32 s44, v126, 53
	v_readlane_b32 s45, v126, 54
	s_and_b64 s[44:45], s[38:39], s[44:45]
	v_readlane_b32 s80, v127, 4
	v_readlane_b32 s82, v127, 6
	;; [unrolled: 1-line block ×6, first 2 shown]
	s_mov_b64 exec, s[44:45]
	s_cbranch_execz .LBB0_218
; %bb.217:                              ;   in Loop: Header=BB0_13 Depth=1
	scratch_load_dword v2, off, off offset:336 ; 4-byte Folded Reload
	s_waitcnt vmcnt(0)
	ds_write2_b32 v2, v26, v27 offset0:32 offset1:33
.LBB0_218:                              ;   in Loop: Header=BB0_13 Depth=1
	s_or_b64 exec, exec, s[38:39]
	s_waitcnt lgkmcnt(0)
	s_barrier
	scratch_load_dword v2, off, off offset:264 ; 4-byte Folded Reload
	s_waitcnt vmcnt(0)
	ds_write2_b32 v2, v4, v1 offset1:1
	ds_write2_b32 v2, v5, v14 offset0:8 offset1:9
	ds_write2_b32 v2, v6, v16 offset0:16 offset1:17
	ds_write2_b32 v2, v7, v10 offset0:24 offset1:25
	v_mov_b32_e32 v1, 50
	s_waitcnt lgkmcnt(0)
	s_barrier
	s_mov_b64 s[38:39], exec
	v_readlane_b32 s44, v127, 25
	v_readlane_b32 s45, v127, 26
	s_and_b64 s[44:45], s[38:39], s[44:45]
	s_mov_b64 exec, s[44:45]
	s_cbranch_execz .LBB0_220
; %bb.219:                              ;   in Loop: Header=BB0_13 Depth=1
	scratch_load_dword v2, off, off offset:296 ; 4-byte Folded Reload
	v_readlane_b32 s40, v126, 55
	s_waitcnt vmcnt(0)
	ds_read_b32 v6, v2 offset:132
	scratch_load_dword v2, off, off offset:300 ; 4-byte Folded Reload
	v_mul_lo_u32 v1, s40, v103
	s_waitcnt vmcnt(0)
	ds_read_b32 v4, v2
	v_or_b32_e32 v2, v1, v68
	v_ashrrev_i32_e32 v3, 31, v2
	v_lshl_add_u64 v[2:3], v[2:3], 3, s[72:73]
	s_waitcnt lgkmcnt(0)
	v_cvt_f32_f16_sdwa v5, v4 dst_sel:DWORD dst_unused:UNUSED_PAD src0_sel:WORD_1
	v_cvt_f32_f16_e32 v4, v4
	v_pk_add_f32 v[4:5], v[4:5], 0 op_sel_hi:[1,0]
	s_nop 0
	v_div_scale_f32 v1, s[44:45], v6, v6, v5
	v_rcp_f32_e32 v7, v1
	s_nop 0
	v_fma_f32 v8, -v1, v7, 1.0
	v_fmac_f32_e32 v7, v8, v7
	v_div_scale_f32 v8, vcc, v5, v6, v5
	v_mul_f32_e32 v9, v8, v7
	v_fma_f32 v10, -v1, v9, v8
	v_fmac_f32_e32 v9, v10, v7
	v_fma_f32 v1, -v1, v9, v8
	v_div_fmas_f32 v1, v1, v7, v9
	v_div_fixup_f32 v5, v1, v6, v5
	v_div_scale_f32 v1, s[44:45], v6, v6, v4
	v_rcp_f32_e32 v7, v1
	s_nop 0
	v_fma_f32 v8, -v1, v7, 1.0
	v_fmac_f32_e32 v7, v8, v7
	v_div_scale_f32 v8, vcc, v4, v6, v4
	v_mul_f32_e32 v9, v8, v7
	v_fma_f32 v10, -v1, v9, v8
	v_fmac_f32_e32 v9, v10, v7
	v_fma_f32 v1, -v1, v9, v8
	v_div_fmas_f32 v1, v1, v7, v9
	v_div_fixup_f32 v4, v1, v6, v4
	v_mov_b32_e32 v1, 0
	global_store_dwordx2 v[2:3], v[4:5], off
.LBB0_220:                              ;   in Loop: Header=BB0_13 Depth=1
	s_or_b64 exec, exec, s[38:39]
	v_cmp_gt_i32_e32 vcc, 50, v1
	s_mov_b64 s[52:53], -1
	s_and_saveexec_b64 s[38:39], vcc
; %bb.221:                              ;   in Loop: Header=BB0_13 Depth=1
	v_cmp_eq_u32_e32 vcc, 0, v1
	s_orn2_b64 s[52:53], vcc, exec
; %bb.222:                              ;   in Loop: Header=BB0_13 Depth=1
	s_or_b64 exec, exec, s[38:39]
                                        ; implicit-def: $vgpr2_vgpr3
	s_and_saveexec_b64 s[38:39], s[52:53]
	s_cbranch_execz .LBB0_262
; %bb.223:                              ;   in Loop: Header=BB0_13 Depth=1
	v_mov_b32_e32 v1, 50
	s_mov_b64 s[52:53], exec
	v_readlane_b32 s44, v127, 27
	v_readlane_b32 s45, v127, 28
	s_and_b64 s[44:45], s[52:53], s[44:45]
	s_mov_b64 exec, s[44:45]
	s_cbranch_execz .LBB0_225
; %bb.224:                              ;   in Loop: Header=BB0_13 Depth=1
	scratch_load_dword v2, off, off offset:340 ; 4-byte Folded Reload
	v_readlane_b32 s40, v126, 55
	s_waitcnt vmcnt(0)
	ds_read_b32 v6, v2 offset:132
	scratch_load_dword v2, off, off offset:344 ; 4-byte Folded Reload
	v_mul_lo_u32 v1, s40, v102
	s_waitcnt vmcnt(0)
	ds_read_b32 v4, v2
	v_or_b32_e32 v2, v1, v68
	v_ashrrev_i32_e32 v3, 31, v2
	v_lshl_add_u64 v[2:3], v[2:3], 3, s[72:73]
	s_waitcnt lgkmcnt(0)
	v_cvt_f32_f16_sdwa v5, v4 dst_sel:DWORD dst_unused:UNUSED_PAD src0_sel:WORD_1
	v_cvt_f32_f16_e32 v4, v4
	v_pk_add_f32 v[4:5], v[4:5], 0 op_sel_hi:[1,0]
	s_nop 0
	v_div_scale_f32 v1, s[44:45], v6, v6, v5
	v_rcp_f32_e32 v7, v1
	s_nop 0
	v_fma_f32 v8, -v1, v7, 1.0
	v_fmac_f32_e32 v7, v8, v7
	v_div_scale_f32 v8, vcc, v5, v6, v5
	v_mul_f32_e32 v9, v8, v7
	v_fma_f32 v10, -v1, v9, v8
	v_fmac_f32_e32 v9, v10, v7
	v_fma_f32 v1, -v1, v9, v8
	v_div_fmas_f32 v1, v1, v7, v9
	v_div_fixup_f32 v5, v1, v6, v5
	v_div_scale_f32 v1, s[44:45], v6, v6, v4
	v_rcp_f32_e32 v7, v1
	s_nop 0
	v_fma_f32 v8, -v1, v7, 1.0
	v_fmac_f32_e32 v7, v8, v7
	v_div_scale_f32 v8, vcc, v4, v6, v4
	v_mul_f32_e32 v9, v8, v7
	v_fma_f32 v10, -v1, v9, v8
	v_fmac_f32_e32 v9, v10, v7
	v_fma_f32 v1, -v1, v9, v8
	v_div_fmas_f32 v1, v1, v7, v9
	v_div_fixup_f32 v4, v1, v6, v4
	v_mov_b32_e32 v1, 0
	global_store_dwordx2 v[2:3], v[4:5], off
.LBB0_225:                              ;   in Loop: Header=BB0_13 Depth=1
	s_or_b64 exec, exec, s[52:53]
	v_cmp_gt_i32_e32 vcc, 50, v1
	s_mov_b64 s[56:57], -1
	s_and_saveexec_b64 s[52:53], vcc
; %bb.226:                              ;   in Loop: Header=BB0_13 Depth=1
	v_cmp_eq_u32_e32 vcc, 0, v1
	s_orn2_b64 s[56:57], vcc, exec
; %bb.227:                              ;   in Loop: Header=BB0_13 Depth=1
	s_or_b64 exec, exec, s[52:53]
	s_mov_b64 s[54:55], s[36:37]
                                        ; implicit-def: $vgpr2_vgpr3
	s_and_saveexec_b64 s[52:53], s[56:57]
	s_cbranch_execz .LBB0_261
; %bb.228:                              ;   in Loop: Header=BB0_13 Depth=1
	v_mov_b32_e32 v1, 50
	s_mov_b64 s[54:55], exec
	v_readlane_b32 s44, v127, 29
	v_readlane_b32 s45, v127, 30
	s_and_b64 s[44:45], s[54:55], s[44:45]
	s_mov_b64 exec, s[44:45]
	s_cbranch_execz .LBB0_230
; %bb.229:                              ;   in Loop: Header=BB0_13 Depth=1
	scratch_load_dword v2, off, off offset:364 ; 4-byte Folded Reload
	v_readlane_b32 s40, v126, 55
	s_waitcnt vmcnt(0)
	ds_read_b32 v6, v2 offset:132
	scratch_load_dword v2, off, off offset:368 ; 4-byte Folded Reload
	v_mul_lo_u32 v1, s40, v101
	s_waitcnt vmcnt(0)
	ds_read_b32 v4, v2
	v_or_b32_e32 v2, v1, v68
	v_ashrrev_i32_e32 v3, 31, v2
	v_lshl_add_u64 v[2:3], v[2:3], 3, s[72:73]
	s_waitcnt lgkmcnt(0)
	v_cvt_f32_f16_sdwa v5, v4 dst_sel:DWORD dst_unused:UNUSED_PAD src0_sel:WORD_1
	v_cvt_f32_f16_e32 v4, v4
	v_pk_add_f32 v[4:5], v[4:5], 0 op_sel_hi:[1,0]
	s_nop 0
	v_div_scale_f32 v1, s[44:45], v6, v6, v5
	v_rcp_f32_e32 v7, v1
	s_nop 0
	v_fma_f32 v8, -v1, v7, 1.0
	v_fmac_f32_e32 v7, v8, v7
	v_div_scale_f32 v8, vcc, v5, v6, v5
	v_mul_f32_e32 v9, v8, v7
	v_fma_f32 v10, -v1, v9, v8
	v_fmac_f32_e32 v9, v10, v7
	v_fma_f32 v1, -v1, v9, v8
	v_div_fmas_f32 v1, v1, v7, v9
	v_div_fixup_f32 v5, v1, v6, v5
	v_div_scale_f32 v1, s[44:45], v6, v6, v4
	v_rcp_f32_e32 v7, v1
	s_nop 0
	v_fma_f32 v8, -v1, v7, 1.0
	v_fmac_f32_e32 v7, v8, v7
	v_div_scale_f32 v8, vcc, v4, v6, v4
	v_mul_f32_e32 v9, v8, v7
	v_fma_f32 v10, -v1, v9, v8
	v_fmac_f32_e32 v9, v10, v7
	v_fma_f32 v1, -v1, v9, v8
	v_div_fmas_f32 v1, v1, v7, v9
	v_div_fixup_f32 v4, v1, v6, v4
	v_mov_b32_e32 v1, 0
	global_store_dwordx2 v[2:3], v[4:5], off
.LBB0_230:                              ;   in Loop: Header=BB0_13 Depth=1
	s_or_b64 exec, exec, s[54:55]
	v_cmp_gt_i32_e32 vcc, 50, v1
	s_mov_b64 s[58:59], -1
	s_and_saveexec_b64 s[54:55], vcc
; %bb.231:                              ;   in Loop: Header=BB0_13 Depth=1
	v_cmp_eq_u32_e32 vcc, 0, v1
	s_orn2_b64 s[58:59], vcc, exec
; %bb.232:                              ;   in Loop: Header=BB0_13 Depth=1
	s_or_b64 exec, exec, s[54:55]
	s_mov_b64 s[56:57], s[36:37]
                                        ; implicit-def: $vgpr2_vgpr3
	s_and_saveexec_b64 s[54:55], s[58:59]
	s_cbranch_execz .LBB0_260
; %bb.233:                              ;   in Loop: Header=BB0_13 Depth=1
	v_mov_b32_e32 v1, 50
	s_mov_b64 s[56:57], exec
	v_readlane_b32 s44, v127, 31
	v_readlane_b32 s45, v127, 32
	s_and_b64 s[44:45], s[56:57], s[44:45]
	s_mov_b64 exec, s[44:45]
	s_cbranch_execz .LBB0_235
; %bb.234:                              ;   in Loop: Header=BB0_13 Depth=1
	scratch_load_dword v2, off, off offset:372 ; 4-byte Folded Reload
	v_readlane_b32 s40, v126, 55
	s_waitcnt vmcnt(0)
	ds_read_b32 v6, v2 offset:132
	scratch_load_dword v2, off, off offset:376 ; 4-byte Folded Reload
	v_mul_lo_u32 v1, s40, v100
	s_waitcnt vmcnt(0)
	ds_read_b32 v4, v2
	v_or_b32_e32 v2, v1, v68
	v_ashrrev_i32_e32 v3, 31, v2
	v_lshl_add_u64 v[2:3], v[2:3], 3, s[72:73]
	s_waitcnt lgkmcnt(0)
	v_cvt_f32_f16_sdwa v5, v4 dst_sel:DWORD dst_unused:UNUSED_PAD src0_sel:WORD_1
	v_cvt_f32_f16_e32 v4, v4
	v_pk_add_f32 v[4:5], v[4:5], 0 op_sel_hi:[1,0]
	s_nop 0
	v_div_scale_f32 v1, s[44:45], v6, v6, v5
	v_rcp_f32_e32 v7, v1
	s_nop 0
	v_fma_f32 v8, -v1, v7, 1.0
	v_fmac_f32_e32 v7, v8, v7
	v_div_scale_f32 v8, vcc, v5, v6, v5
	v_mul_f32_e32 v9, v8, v7
	v_fma_f32 v10, -v1, v9, v8
	v_fmac_f32_e32 v9, v10, v7
	v_fma_f32 v1, -v1, v9, v8
	v_div_fmas_f32 v1, v1, v7, v9
	v_div_fixup_f32 v5, v1, v6, v5
	v_div_scale_f32 v1, s[44:45], v6, v6, v4
	v_rcp_f32_e32 v7, v1
	s_nop 0
	v_fma_f32 v8, -v1, v7, 1.0
	v_fmac_f32_e32 v7, v8, v7
	v_div_scale_f32 v8, vcc, v4, v6, v4
	v_mul_f32_e32 v9, v8, v7
	v_fma_f32 v10, -v1, v9, v8
	v_fmac_f32_e32 v9, v10, v7
	v_fma_f32 v1, -v1, v9, v8
	v_div_fmas_f32 v1, v1, v7, v9
	v_div_fixup_f32 v4, v1, v6, v4
	v_mov_b32_e32 v1, 0
	global_store_dwordx2 v[2:3], v[4:5], off
.LBB0_235:                              ;   in Loop: Header=BB0_13 Depth=1
	s_or_b64 exec, exec, s[56:57]
	v_cmp_gt_i32_e32 vcc, 50, v1
	s_mov_b64 s[60:61], -1
	s_and_saveexec_b64 s[56:57], vcc
; %bb.236:                              ;   in Loop: Header=BB0_13 Depth=1
	v_cmp_eq_u32_e32 vcc, 0, v1
	s_orn2_b64 s[60:61], vcc, exec
; %bb.237:                              ;   in Loop: Header=BB0_13 Depth=1
	s_or_b64 exec, exec, s[56:57]
	s_mov_b64 s[58:59], s[36:37]
                                        ; implicit-def: $vgpr2_vgpr3
	s_and_saveexec_b64 s[56:57], s[60:61]
	s_cbranch_execz .LBB0_259
; %bb.238:                              ;   in Loop: Header=BB0_13 Depth=1
	v_mov_b32_e32 v1, 50
	s_mov_b64 s[58:59], exec
	v_readlane_b32 s44, v127, 33
	v_readlane_b32 s45, v127, 34
	s_and_b64 s[44:45], s[58:59], s[44:45]
	s_mov_b64 exec, s[44:45]
	s_cbranch_execz .LBB0_240
; %bb.239:                              ;   in Loop: Header=BB0_13 Depth=1
	scratch_load_dword v2, off, off offset:384 ; 4-byte Folded Reload
	v_readlane_b32 s40, v126, 55
	s_waitcnt vmcnt(0)
	ds_read_b32 v6, v2 offset:132
	scratch_load_dword v2, off, off offset:388 ; 4-byte Folded Reload
	v_mul_lo_u32 v1, s40, v66
	s_waitcnt vmcnt(0)
	ds_read_b32 v4, v2
	v_or_b32_e32 v2, v1, v68
	v_ashrrev_i32_e32 v3, 31, v2
	v_lshl_add_u64 v[2:3], v[2:3], 3, s[72:73]
	s_waitcnt lgkmcnt(0)
	v_cvt_f32_f16_sdwa v5, v4 dst_sel:DWORD dst_unused:UNUSED_PAD src0_sel:WORD_1
	v_cvt_f32_f16_e32 v4, v4
	v_pk_add_f32 v[4:5], v[4:5], 0 op_sel_hi:[1,0]
	s_nop 0
	v_div_scale_f32 v1, s[44:45], v6, v6, v5
	v_rcp_f32_e32 v7, v1
	s_nop 0
	v_fma_f32 v8, -v1, v7, 1.0
	v_fmac_f32_e32 v7, v8, v7
	v_div_scale_f32 v8, vcc, v5, v6, v5
	v_mul_f32_e32 v9, v8, v7
	v_fma_f32 v10, -v1, v9, v8
	v_fmac_f32_e32 v9, v10, v7
	v_fma_f32 v1, -v1, v9, v8
	v_div_fmas_f32 v1, v1, v7, v9
	v_div_fixup_f32 v5, v1, v6, v5
	v_div_scale_f32 v1, s[44:45], v6, v6, v4
	v_rcp_f32_e32 v7, v1
	s_nop 0
	v_fma_f32 v8, -v1, v7, 1.0
	v_fmac_f32_e32 v7, v8, v7
	v_div_scale_f32 v8, vcc, v4, v6, v4
	v_mul_f32_e32 v9, v8, v7
	v_fma_f32 v10, -v1, v9, v8
	v_fmac_f32_e32 v9, v10, v7
	v_fma_f32 v1, -v1, v9, v8
	v_div_fmas_f32 v1, v1, v7, v9
	v_div_fixup_f32 v4, v1, v6, v4
	v_mov_b32_e32 v1, 0
	global_store_dwordx2 v[2:3], v[4:5], off
.LBB0_240:                              ;   in Loop: Header=BB0_13 Depth=1
	s_or_b64 exec, exec, s[58:59]
	v_cmp_gt_i32_e32 vcc, 50, v1
	s_mov_b64 s[62:63], -1
	s_and_saveexec_b64 s[58:59], vcc
; %bb.241:                              ;   in Loop: Header=BB0_13 Depth=1
	v_cmp_eq_u32_e32 vcc, 0, v1
	s_orn2_b64 s[62:63], vcc, exec
; %bb.242:                              ;   in Loop: Header=BB0_13 Depth=1
	s_or_b64 exec, exec, s[58:59]
	s_mov_b64 s[60:61], s[36:37]
                                        ; implicit-def: $vgpr2_vgpr3
	s_and_saveexec_b64 s[58:59], s[62:63]
	s_cbranch_execz .LBB0_258
; %bb.243:                              ;   in Loop: Header=BB0_13 Depth=1
	v_mov_b32_e32 v1, 50
	s_mov_b64 s[60:61], exec
	v_readlane_b32 s44, v127, 35
	v_readlane_b32 s45, v127, 36
	s_and_b64 s[44:45], s[60:61], s[44:45]
	s_mov_b64 exec, s[44:45]
	s_cbranch_execz .LBB0_245
; %bb.244:                              ;   in Loop: Header=BB0_13 Depth=1
	scratch_load_dword v2, off, off offset:392 ; 4-byte Folded Reload
	v_readlane_b32 s40, v126, 55
	s_waitcnt vmcnt(0)
	ds_read_b32 v6, v2 offset:132
	scratch_load_dword v2, off, off offset:396 ; 4-byte Folded Reload
	v_mul_lo_u32 v1, s40, v65
	s_waitcnt vmcnt(0)
	ds_read_b32 v4, v2
	v_or_b32_e32 v2, v1, v68
	v_ashrrev_i32_e32 v3, 31, v2
	v_lshl_add_u64 v[2:3], v[2:3], 3, s[72:73]
	s_waitcnt lgkmcnt(0)
	v_cvt_f32_f16_sdwa v5, v4 dst_sel:DWORD dst_unused:UNUSED_PAD src0_sel:WORD_1
	v_cvt_f32_f16_e32 v4, v4
	v_pk_add_f32 v[4:5], v[4:5], 0 op_sel_hi:[1,0]
	s_nop 0
	v_div_scale_f32 v1, s[44:45], v6, v6, v5
	v_rcp_f32_e32 v7, v1
	s_nop 0
	v_fma_f32 v8, -v1, v7, 1.0
	v_fmac_f32_e32 v7, v8, v7
	v_div_scale_f32 v8, vcc, v5, v6, v5
	v_mul_f32_e32 v9, v8, v7
	v_fma_f32 v10, -v1, v9, v8
	v_fmac_f32_e32 v9, v10, v7
	v_fma_f32 v1, -v1, v9, v8
	v_div_fmas_f32 v1, v1, v7, v9
	v_div_fixup_f32 v5, v1, v6, v5
	v_div_scale_f32 v1, s[44:45], v6, v6, v4
	v_rcp_f32_e32 v7, v1
	s_nop 0
	v_fma_f32 v8, -v1, v7, 1.0
	v_fmac_f32_e32 v7, v8, v7
	v_div_scale_f32 v8, vcc, v4, v6, v4
	v_mul_f32_e32 v9, v8, v7
	v_fma_f32 v10, -v1, v9, v8
	v_fmac_f32_e32 v9, v10, v7
	v_fma_f32 v1, -v1, v9, v8
	v_div_fmas_f32 v1, v1, v7, v9
	v_div_fixup_f32 v4, v1, v6, v4
	v_mov_b32_e32 v1, 0
	global_store_dwordx2 v[2:3], v[4:5], off
.LBB0_245:                              ;   in Loop: Header=BB0_13 Depth=1
	s_or_b64 exec, exec, s[60:61]
	v_cmp_gt_i32_e32 vcc, 50, v1
	s_mov_b64 s[64:65], -1
	s_and_saveexec_b64 s[60:61], vcc
; %bb.246:                              ;   in Loop: Header=BB0_13 Depth=1
	v_cmp_eq_u32_e32 vcc, 0, v1
	s_orn2_b64 s[64:65], vcc, exec
; %bb.247:                              ;   in Loop: Header=BB0_13 Depth=1
	s_or_b64 exec, exec, s[60:61]
	s_mov_b64 s[62:63], s[36:37]
                                        ; implicit-def: $vgpr2_vgpr3
	s_and_saveexec_b64 s[60:61], s[64:65]
	s_cbranch_execz .LBB0_257
; %bb.248:                              ;   in Loop: Header=BB0_13 Depth=1
	v_mov_b32_e32 v1, 50
	s_mov_b64 s[62:63], exec
	v_readlane_b32 s44, v127, 37
	v_readlane_b32 s45, v127, 38
	s_and_b64 s[44:45], s[62:63], s[44:45]
	s_mov_b64 exec, s[44:45]
	s_cbranch_execz .LBB0_250
; %bb.249:                              ;   in Loop: Header=BB0_13 Depth=1
	scratch_load_dword v2, off, off offset:404 ; 4-byte Folded Reload
	v_readlane_b32 s40, v126, 55
	s_waitcnt vmcnt(0)
	ds_read_b32 v6, v2 offset:132
	scratch_load_dword v2, off, off offset:408 ; 4-byte Folded Reload
	v_mul_lo_u32 v1, s40, v64
	s_waitcnt vmcnt(0)
	ds_read_b32 v4, v2
	v_or_b32_e32 v2, v1, v68
	v_ashrrev_i32_e32 v3, 31, v2
	v_lshl_add_u64 v[2:3], v[2:3], 3, s[72:73]
	s_waitcnt lgkmcnt(0)
	v_cvt_f32_f16_sdwa v5, v4 dst_sel:DWORD dst_unused:UNUSED_PAD src0_sel:WORD_1
	v_cvt_f32_f16_e32 v4, v4
	v_pk_add_f32 v[4:5], v[4:5], 0 op_sel_hi:[1,0]
	s_nop 0
	v_div_scale_f32 v1, s[44:45], v6, v6, v5
	v_rcp_f32_e32 v7, v1
	s_nop 0
	v_fma_f32 v8, -v1, v7, 1.0
	v_fmac_f32_e32 v7, v8, v7
	v_div_scale_f32 v8, vcc, v5, v6, v5
	v_mul_f32_e32 v9, v8, v7
	v_fma_f32 v10, -v1, v9, v8
	v_fmac_f32_e32 v9, v10, v7
	v_fma_f32 v1, -v1, v9, v8
	v_div_fmas_f32 v1, v1, v7, v9
	v_div_fixup_f32 v5, v1, v6, v5
	v_div_scale_f32 v1, s[44:45], v6, v6, v4
	v_rcp_f32_e32 v7, v1
	s_nop 0
	v_fma_f32 v8, -v1, v7, 1.0
	v_fmac_f32_e32 v7, v8, v7
	v_div_scale_f32 v8, vcc, v4, v6, v4
	v_mul_f32_e32 v9, v8, v7
	v_fma_f32 v10, -v1, v9, v8
	v_fmac_f32_e32 v9, v10, v7
	v_fma_f32 v1, -v1, v9, v8
	v_div_fmas_f32 v1, v1, v7, v9
	v_div_fixup_f32 v4, v1, v6, v4
	v_mov_b32_e32 v1, 0
	global_store_dwordx2 v[2:3], v[4:5], off
.LBB0_250:                              ;   in Loop: Header=BB0_13 Depth=1
	s_or_b64 exec, exec, s[62:63]
	v_cmp_gt_i32_e32 vcc, 50, v1
	s_mov_b64 s[66:67], -1
	s_and_saveexec_b64 s[62:63], vcc
; %bb.251:                              ;   in Loop: Header=BB0_13 Depth=1
	v_cmp_eq_u32_e32 vcc, 0, v1
	s_orn2_b64 s[66:67], vcc, exec
; %bb.252:                              ;   in Loop: Header=BB0_13 Depth=1
	s_or_b64 exec, exec, s[62:63]
	s_mov_b64 s[64:65], s[36:37]
                                        ; implicit-def: $vgpr2_vgpr3
	s_and_saveexec_b64 s[62:63], s[66:67]
	s_cbranch_execz .LBB0_256
; %bb.253:                              ;   in Loop: Header=BB0_13 Depth=1
	s_mov_b64 s[66:67], s[36:37]
                                        ; implicit-def: $vgpr2_vgpr3
	s_mov_b64 s[64:65], exec
	v_readlane_b32 s44, v127, 39
	v_readlane_b32 s45, v127, 40
	s_and_b64 s[44:45], s[64:65], s[44:45]
	s_mov_b64 exec, s[44:45]
	s_cbranch_execz .LBB0_255
; %bb.254:                              ;   in Loop: Header=BB0_13 Depth=1
	scratch_load_dword v1, off, off offset:412 ; 4-byte Folded Reload
	scratch_load_dword v2, off, off offset:416 ; 4-byte Folded Reload
	s_or_b64 s[66:67], s[36:37], exec
	s_waitcnt vmcnt(1)
	ds_read_b32 v1, v1 offset:132
	s_waitcnt vmcnt(0)
	ds_read_b32 v2, v2
	s_waitcnt lgkmcnt(0)
	v_cvt_f32_f16_sdwa v3, v2 dst_sel:DWORD dst_unused:UNUSED_PAD src0_sel:WORD_1
	v_cvt_f32_f16_e32 v2, v2
	v_pk_add_f32 v[2:3], v[2:3], 0 op_sel_hi:[1,0]
	s_nop 0
	v_div_scale_f32 v4, s[44:45], v1, v1, v3
	v_rcp_f32_e32 v5, v4
	s_nop 0
	v_fma_f32 v6, -v4, v5, 1.0
	v_fmac_f32_e32 v5, v6, v5
	v_div_scale_f32 v6, vcc, v3, v1, v3
	v_mul_f32_e32 v7, v6, v5
	v_fma_f32 v8, -v4, v7, v6
	v_fmac_f32_e32 v7, v8, v5
	v_fma_f32 v4, -v4, v7, v6
	v_div_fmas_f32 v4, v4, v5, v7
	v_div_fixup_f32 v3, v4, v1, v3
	v_div_scale_f32 v4, s[44:45], v1, v1, v2
	v_rcp_f32_e32 v5, v4
	s_nop 0
	v_fma_f32 v6, -v4, v5, 1.0
	v_fmac_f32_e32 v5, v6, v5
	v_div_scale_f32 v6, vcc, v2, v1, v2
	v_mul_f32_e32 v7, v6, v5
	v_fma_f32 v8, -v4, v7, v6
	v_fmac_f32_e32 v7, v8, v5
	v_fma_f32 v4, -v4, v7, v6
	v_div_fmas_f32 v4, v4, v5, v7
	v_div_fixup_f32 v2, v4, v1, v2
.LBB0_255:                              ;   in Loop: Header=BB0_13 Depth=1
	s_or_b64 exec, exec, s[64:65]
	s_andn2_b64 s[44:45], s[36:37], exec
	s_and_b64 s[64:65], s[66:67], exec
	s_or_b64 s[64:65], s[44:45], s[64:65]
.LBB0_256:                              ;   in Loop: Header=BB0_13 Depth=1
	s_or_b64 exec, exec, s[62:63]
	s_andn2_b64 s[44:45], s[36:37], exec
	s_and_b64 s[62:63], s[64:65], exec
	s_or_b64 s[62:63], s[44:45], s[62:63]
.LBB0_257:                              ;   in Loop: Header=BB0_13 Depth=1
	s_or_b64 exec, exec, s[60:61]
	s_andn2_b64 s[44:45], s[36:37], exec
	s_and_b64 s[60:61], s[62:63], exec
	s_or_b64 s[60:61], s[44:45], s[60:61]
.LBB0_258:                              ;   in Loop: Header=BB0_13 Depth=1
	s_or_b64 exec, exec, s[58:59]
	s_andn2_b64 s[44:45], s[36:37], exec
	s_and_b64 s[58:59], s[60:61], exec
	s_or_b64 s[58:59], s[44:45], s[58:59]
.LBB0_259:                              ;   in Loop: Header=BB0_13 Depth=1
	s_or_b64 exec, exec, s[56:57]
	s_andn2_b64 s[44:45], s[36:37], exec
	s_and_b64 s[56:57], s[58:59], exec
	s_or_b64 s[56:57], s[44:45], s[56:57]
.LBB0_260:                              ;   in Loop: Header=BB0_13 Depth=1
	s_or_b64 exec, exec, s[54:55]
	s_andn2_b64 s[44:45], s[36:37], exec
	s_and_b64 s[54:55], s[56:57], exec
	s_or_b64 s[54:55], s[44:45], s[54:55]
.LBB0_261:                              ;   in Loop: Header=BB0_13 Depth=1
	s_or_b64 exec, exec, s[52:53]
	s_andn2_b64 s[36:37], s[36:37], exec
	s_and_b64 s[44:45], s[54:55], exec
	s_or_b64 s[36:37], s[36:37], s[44:45]
.LBB0_262:                              ;   in Loop: Header=BB0_13 Depth=1
	s_or_b64 exec, exec, s[38:39]
	s_and_saveexec_b64 s[38:39], s[36:37]
	s_cbranch_execz .LBB0_12
.LBB0_263:                              ;   in Loop: Header=BB0_13 Depth=1
	v_readlane_b32 s36, v126, 55
	s_nop 1
	v_mul_lo_u32 v1, s36, v54
	v_or_b32_e32 v4, v1, v68
	v_ashrrev_i32_e32 v5, 31, v4
	v_lshl_add_u64 v[4:5], v[4:5], 3, s[72:73]
	global_store_dwordx2 v[4:5], v[2:3], off
	s_branch .LBB0_12
.LBB0_264:
	s_mov_b64 s[78:79], s[54:55]
	s_mov_b32 s77, s53
	s_andn2_b64 vcc, exec, s[36:37]
	s_cbranch_vccz .LBB0_267
.LBB0_265:
	s_endpgm
.LBB0_266:
	v_readlane_b32 s62, v126, 42
	v_readlane_b32 s63, v126, 43
	s_andn2_b64 vcc, exec, s[36:37]
	s_cbranch_vccnz .LBB0_265
.LBB0_267:
	v_readlane_b32 s8, v126, 7
	s_abs_i32 s0, s8
	v_cvt_f32_u32_e32 v0, s0
	s_sub_i32 s5, 0, s0
	s_abs_i32 s4, s84
	s_xor_b32 s1, s84, s8
	v_rcp_iflag_f32_e32 v0, v0
	s_ashr_i32 s1, s1, 31
	v_readlane_b32 s10, v126, 6
	v_readlane_b32 s11, v126, 3
	v_mul_f32_e32 v0, 0x4f7ffffe, v0
	v_cvt_u32_f32_e32 v0, v0
	v_readlane_b32 s12, v126, 26
	v_readlane_b32 s18, v126, 32
	v_readlane_b32 s19, v126, 33
	v_readfirstlane_b32 s6, v0
	s_mul_i32 s5, s5, s6
	s_mul_hi_u32 s5, s6, s5
	s_add_i32 s6, s6, s5
	s_mul_hi_u32 s5, s4, s6
	s_mul_i32 s6, s5, s0
	s_sub_i32 s4, s4, s6
	s_add_i32 s7, s5, 1
	s_sub_i32 s6, s4, s0
	s_cmp_ge_u32 s4, s0
	s_cselect_b32 s5, s7, s5
	s_cselect_b32 s4, s6, s4
	s_add_i32 s6, s5, 1
	s_cmp_ge_u32 s4, s0
	s_cselect_b32 s0, s6, s5
	s_abs_i32 s4, s10
	v_cvt_f32_u32_e32 v0, s4
	s_xor_b32 s0, s0, s1
	s_sub_i32 s6, s0, s1
	s_sub_i32 s5, 0, s4
	v_rcp_iflag_f32_e32 v0, v0
	s_mul_i32 s0, s6, s8
	s_sub_i32 s0, s84, s0
	s_abs_i32 s7, s0
	v_mul_f32_e32 v0, 0x4f7ffffe, v0
	v_cvt_u32_f32_e32 v0, v0
	s_xor_b32 s1, s0, s10
	s_ashr_i32 s1, s1, 31
	s_mov_b64 s[38:39], 0
	v_readfirstlane_b32 s8, v0
	s_mul_i32 s5, s5, s8
	s_mul_hi_u32 s5, s8, s5
	s_add_i32 s8, s8, s5
	s_mul_hi_u32 s5, s7, s8
	s_mul_i32 s8, s5, s4
	s_sub_i32 s7, s7, s8
	s_add_i32 s9, s5, 1
	s_sub_i32 s8, s7, s4
	s_cmp_ge_u32 s7, s4
	s_cselect_b32 s5, s9, s5
	s_cselect_b32 s7, s8, s7
	s_add_i32 s8, s5, 1
	s_cmp_ge_u32 s7, s4
	s_cselect_b32 s4, s8, s5
	s_abs_i32 s5, s11
	v_cvt_f32_u32_e32 v0, s5
	s_xor_b32 s4, s4, s1
	s_sub_i32 s8, 0, s5
	s_sub_i32 s7, s4, s1
	v_rcp_iflag_f32_e32 v0, v0
	s_mul_i32 s1, s7, s10
	s_sub_i32 s1, s0, s1
	s_abs_i32 s4, s1
	v_mul_f32_e32 v0, 0x4f7ffffe, v0
	v_cvt_u32_f32_e32 v0, v0
	s_xor_b32 s0, s1, s11
	s_ashr_i32 s0, s0, 31
	v_readlane_b32 s13, v126, 27
	v_readfirstlane_b32 s9, v0
	s_mul_i32 s8, s8, s9
	s_mul_hi_u32 s8, s9, s8
	s_add_i32 s9, s9, s8
	s_mul_hi_u32 s8, s4, s9
	s_mul_i32 s9, s8, s5
	s_sub_i32 s4, s4, s9
	s_add_i32 s10, s8, 1
	s_sub_i32 s9, s4, s5
	s_cmp_ge_u32 s4, s5
	s_cselect_b32 s8, s10, s8
	s_cselect_b32 s4, s9, s4
	s_add_i32 s9, s8, 1
	s_cmp_ge_u32 s4, s5
	s_cselect_b32 s4, s9, s8
	s_xor_b32 s4, s4, s0
	s_sub_i32 s0, s4, s0
	s_mul_i32 s4, s0, s11
	s_sub_i32 s1, s1, s4
	s_abs_i32 s10, s1
	s_ashr_i32 s8, s6, 31
	s_mul_hi_u32 s9, s10, s83
	s_cmp_eq_u64 s[18:19], 0
	v_readlane_b32 s14, v126, 28
	v_readlane_b32 s15, v126, 29
	;; [unrolled: 1-line block ×12, first 2 shown]
	s_cbranch_scc1 .LBB0_269
; %bb.268:
	s_abs_i32 s4, s88
	v_cvt_f32_u32_e32 v0, s4
	s_sub_i32 s11, 0, s4
	s_abs_i32 s5, s6
	v_readlane_b32 s14, v126, 17
	v_rcp_iflag_f32_e32 v0, v0
	v_readlane_b32 s15, v126, 18
	v_mul_f32_e32 v0, 0x4f7ffffe, v0
	v_cvt_u32_f32_e32 v0, v0
	s_nop 0
	v_readfirstlane_b32 s12, v0
	s_mul_i32 s11, s11, s12
	s_mul_hi_u32 s11, s12, s11
	s_add_i32 s12, s12, s11
	s_mul_hi_u32 s11, s5, s12
	s_mul_i32 s11, s11, s4
	s_sub_i32 s5, s5, s11
	s_sub_i32 s11, s5, s4
	s_cmp_ge_u32 s5, s4
	s_cselect_b32 s5, s11, s5
	s_sub_i32 s11, s5, s4
	s_cmp_ge_u32 s5, s4
	s_cselect_b32 s4, s11, s5
	s_xor_b32 s4, s4, s8
	s_sub_i32 s4, s4, s8
	s_ashr_i32 s5, s4, 31
	s_mul_hi_u32 s11, s14, s4
	s_mul_i32 s5, s14, s5
	s_mul_i32 s12, s15, s4
	s_add_i32 s5, s11, s5
	s_add_i32 s5, s5, s12
	s_mul_i32 s4, s14, s4
	s_add_u32 s38, s18, s4
	s_addc_u32 s39, s19, s5
.LBB0_269:
	s_ashr_i32 s12, s1, 31
	v_readlane_b32 s1, v126, 2
	s_mul_i32 s11, s7, s1
	s_add_i32 s11, s11, s0
	v_cmp_le_f32_e64 s[0:1], s77, 0
	s_and_b64 vcc, exec, s[0:1]
	v_mov_b32_e32 v38, 1.0
	s_cbranch_vccnz .LBB0_271
; %bb.270:
	v_readlane_b32 s0, v126, 14
	v_mov_b32_e32 v1, s79
	v_mov_b32_e32 v2, s78
	;; [unrolled: 1-line block ×3, first 2 shown]
	v_sub_co_u32_e32 v0, vcc, s11, v0
	s_add_i32 s0, s11, 1
	v_lshlrev_b32_e32 v0, 1, v0
	v_cndmask_b32_e32 v1, v1, v2, vcc
	v_or_b32_e32 v0, 1, v0
	v_mov_b32_e32 v2, s0
	v_cndmask_b32_e32 v0, v0, v2, vcc
	v_cvt_f32_i32_e32 v0, v0
	v_cmp_neq_f32_e32 vcc, 1.0, v1
	s_mov_b32 s0, 0x3f2aaaab
	s_movk_i32 s4, 0x204
	v_cndmask_b32_e32 v16, 1.0, v0, vcc
	v_cmp_neq_f32_e32 vcc, 0, v16
	s_mov_b32 s1, 0x42b17218
	s_mov_b32 s5, 0x3fb8aa3b
	v_cndmask_b32_e32 v17, 1.0, v1, vcc
	v_frexp_mant_f32_e64 v0, |v17|
	v_cmp_gt_f32_e32 vcc, s0, v0
	s_mov_b32 s0, 0x3f317218
	s_brev_b32 s13, -2
	v_cndmask_b32_e64 v1, 1.0, 2.0, vcc
	v_mul_f32_e32 v0, v0, v1
	v_add_f32_e32 v3, 1.0, v0
	v_rcp_f32_e32 v8, v3
	v_add_f32_e32 v1, -1.0, v3
	v_sub_f32_e32 v5, v0, v1
	v_add_f32_e32 v1, -1.0, v0
	v_mul_f32_e32 v9, v1, v8
	v_mul_f32_e32 v2, v3, v9
	v_fma_f32 v4, v9, v3, -v2
	v_fmac_f32_e32 v4, v9, v5
	v_add_f32_e32 v0, v2, v4
	v_sub_f32_e32 v3, v1, v0
	v_pk_add_f32 v[6:7], v[0:1], v[2:3] neg_lo:[0,1] neg_hi:[0,1]
	v_mov_b32_e32 v5, v0
	v_pk_add_f32 v[0:1], v[6:7], v[4:5] neg_lo:[0,1] neg_hi:[0,1]
	v_mov_b32_e32 v4, 0x3e91f4c4
	v_add_f32_e32 v0, v0, v1
	v_add_f32_e32 v0, v3, v0
	v_mul_f32_e32 v1, v8, v0
	v_add_f32_e32 v0, v9, v1
	v_sub_f32_e32 v2, v0, v9
	v_sub_f32_e32 v10, v1, v2
	v_mul_f32_e32 v1, v0, v0
	v_fma_f32 v3, v0, v0, -v1
	v_add_f32_e32 v2, v10, v10
	v_fmac_f32_e32 v3, v0, v2
	v_add_f32_e32 v2, v1, v3
	v_fmac_f32_e32 v4, 0x3e76c4e1, v2
	v_fmaak_f32 v4, v2, v4, 0x3ecccdef
	v_sub_f32_e32 v1, v2, v1
	v_sub_f32_e32 v11, v3, v1
	v_mul_f32_e32 v1, v2, v4
	v_fma_f32 v3, v2, v4, -v1
	v_fmac_f32_e32 v3, v11, v4
	v_add_f32_e32 v4, v1, v3
	v_add_f32_e32 v5, 0x3f2aaaaa, v4
	v_sub_f32_e32 v1, v4, v1
	v_sub_f32_e32 v1, v3, v1
	v_add_f32_e32 v3, 0xbf2aaaaa, v5
	v_add_f32_e32 v1, 0x31739010, v1
	v_sub_f32_e32 v3, v4, v3
	v_pk_mul_f32 v[6:7], v[0:1], v[2:3]
	v_pk_add_f32 v[8:9], v[0:1], v[2:3]
	v_fma_f32 v4, v2, v0, -v6
	v_fmac_f32_e32 v4, v2, v10
	v_mov_b32_e32 v7, v9
	v_fmac_f32_e32 v4, v11, v0
	v_pk_add_f32 v[2:3], v[6:7], v[4:5]
	v_ldexp_f32 v12, v10, 1
	v_sub_f32_e32 v1, v2, v6
	v_sub_f32_e32 v1, v4, v1
	v_sub_f32_e32 v4, v5, v3
	v_add_f32_e32 v7, v9, v4
	v_pk_mul_f32 v[4:5], v[2:3], v[2:3] op_sel:[0,1] op_sel_hi:[1,0]
	v_cvt_f64_f32_e64 v[8:9], |v17|
	v_frexp_exp_i32_f64_e32 v5, v[8:9]
	v_subbrev_co_u32_e32 v5, vcc, 0, v5, vcc
	v_cvt_f32_i32_e32 v5, v5
	v_fma_f32 v6, v2, v3, -v4
	v_fmac_f32_e32 v6, v2, v7
	v_fmac_f32_e32 v6, v1, v3
	v_mul_f32_e32 v2, 0x3f317218, v5
	v_fma_f32 v1, v5, s0, -v2
	v_fmamk_f32 v8, v5, 0xb102e308, v1
	v_ldexp_f32 v9, v0, 1
	v_add_f32_e32 v3, v4, v6
	v_pk_add_f32 v[0:1], v[2:3], v[8:9]
	v_mov_b32_e32 v10, v3
	v_mov_b32_e32 v11, v1
	;; [unrolled: 1-line block ×3, first 2 shown]
	v_pk_add_f32 v[4:5], v[10:11], v[4:5] neg_lo:[0,1] neg_hi:[0,1]
	v_mov_b32_e32 v7, v3
	v_pk_add_f32 v[4:5], v[6:7], v[4:5] neg_lo:[0,1] neg_hi:[0,1]
	v_mov_b32_e32 v9, v0
	v_add_f32_e32 v3, v12, v4
	v_add_f32_e32 v3, v3, v5
	v_pk_add_f32 v[4:5], v[0:1], v[2:3] neg_lo:[0,1] neg_hi:[0,1]
	v_pk_add_f32 v[6:7], v[0:1], v[2:3]
	v_mov_b32_e32 v14, v1
	v_mov_b32_e32 v5, v7
	v_pk_add_f32 v[10:11], v[8:9], v[4:5] neg_lo:[0,1] neg_hi:[0,1]
	v_pk_add_f32 v[4:5], v[8:9], v[4:5]
	v_mov_b32_e32 v2, v3
	v_pk_add_f32 v[8:9], v[4:5], v[0:1] op_sel:[1,0] op_sel_hi:[0,1] neg_lo:[0,1] neg_hi:[0,1]
	v_pk_add_f32 v[12:13], v[6:7], v[8:9] op_sel_hi:[1,0] neg_lo:[0,1] neg_hi:[0,1]
	v_mov_b32_e32 v6, v7
	v_mov_b32_e32 v7, v5
	;; [unrolled: 1-line block ×3, first 2 shown]
	v_pk_add_f32 v[6:7], v[6:7], v[14:15] neg_lo:[0,1] neg_hi:[0,1]
	v_mov_b32_e32 v3, v0
	v_pk_add_f32 v[0:1], v[2:3], v[6:7] neg_lo:[0,1] neg_hi:[0,1]
	v_mov_b32_e32 v12, v10
	v_pk_add_f32 v[2:3], v[12:13], v[0:1]
	v_mov_b32_e32 v11, v5
	v_pk_add_f32 v[6:7], v[2:3], v[2:3] op_sel:[0,1] op_sel_hi:[1,0]
	s_mov_b32 s0, 0x7f800000
	v_pk_add_f32 v[4:5], v[4:5], v[6:7] op_sel:[1,0] op_sel_hi:[0,1]
	v_mov_b32_e32 v3, v4
	v_pk_add_f32 v[8:9], v[2:3], v[10:11] neg_lo:[0,1] neg_hi:[0,1]
	v_mov_b32_e32 v1, v6
	v_sub_f32_e32 v2, v2, v8
	v_pk_add_f32 v[0:1], v[0:1], v[8:9] neg_lo:[0,1] neg_hi:[0,1]
	v_sub_f32_e32 v2, v10, v2
	v_add_f32_e32 v0, v0, v2
	v_add_f32_e32 v0, v0, v1
	;; [unrolled: 1-line block ×3, first 2 shown]
	v_sub_f32_e32 v2, v1, v4
	v_sub_f32_e32 v0, v0, v2
	v_mul_f32_e32 v2, v16, v1
	v_fma_f32 v1, v16, v1, -v2
	v_fmac_f32_e32 v1, v16, v0
	v_add_f32_e32 v0, v2, v1
	v_cmp_class_f32_e64 vcc, v2, s4
	v_sub_f32_e32 v3, v0, v2
	v_sub_f32_e32 v1, v1, v3
	v_cndmask_b32_e32 v0, v0, v2, vcc
	v_mov_b32_e32 v2, 0x37000000
	v_cmp_eq_f32_e32 vcc, s1, v0
	v_cmp_class_f32_e64 s[14:15], v17, s4
	s_nop 0
	v_cndmask_b32_e32 v2, 0, v2, vcc
	v_sub_f32_e32 v3, v0, v2
	v_mul_f32_e32 v4, 0x3fb8aa3b, v3
	v_fma_f32 v5, v3, s5, -v4
	v_rndne_f32_e32 v6, v4
	v_fmamk_f32 v5, v3, 0x32a5705f, v5
	v_sub_f32_e32 v4, v4, v6
	v_add_f32_e32 v4, v4, v5
	v_exp_f32_e32 v4, v4
	v_cvt_i32_f32_e32 v5, v6
	v_cmp_neq_f32_e64 vcc, |v0|, s0
	s_mov_b32 s0, 0xc2ce8ed0
	s_nop 0
	v_cndmask_b32_e32 v0, 0, v1, vcc
	v_ldexp_f32 v1, v4, v5
	v_cmp_ngt_f32_e32 vcc, s0, v3
	v_add_f32_e32 v0, v2, v0
	v_mov_b32_e32 v2, 0x7f800000
	v_cndmask_b32_e32 v1, 0, v1, vcc
	v_cmp_nlt_f32_e32 vcc, s1, v3
	v_mov_b32_e32 v3, 0x7fc00000
	s_nop 0
	v_cndmask_b32_e32 v1, v2, v1, vcc
	v_fma_f32 v0, v1, v0, v1
	v_cmp_class_f32_e64 vcc, v1, s4
	v_cmp_gt_f32_e64 s[4:5], 0, v16
	s_nop 0
	v_cndmask_b32_e32 v0, v0, v1, vcc
	v_trunc_f32_e32 v1, v16
	v_cmp_eq_f32_e32 vcc, v1, v16
	v_mul_f32_e32 v1, 0.5, v16
	v_trunc_f32_e32 v4, v1
	v_cmp_neq_f32_e64 s[0:1], v4, v1
	s_and_b64 s[0:1], vcc, s[0:1]
	s_nop 0
	v_cndmask_b32_e64 v1, 1.0, v17, s[0:1]
	v_bfi_b32 v0, s13, v0, v1
	v_cndmask_b32_e32 v1, v3, v0, vcc
	v_cmp_gt_f32_e32 vcc, 0, v17
	s_nop 1
	v_cndmask_b32_e32 v0, v0, v1, vcc
	v_cmp_eq_f32_e32 vcc, 0, v17
	s_xor_b64 s[4:5], s[4:5], vcc
	v_cndmask_b32_e64 v1, v2, 0, s[4:5]
	v_cndmask_b32_e64 v2, 0, v17, s[0:1]
	v_bfi_b32 v1, s13, v1, v2
	s_or_b64 vcc, vcc, s[14:15]
	v_cndmask_b32_e32 v0, v0, v1, vcc
	v_cmp_o_f32_e32 vcc, v17, v17
	s_nop 1
	v_cndmask_b32_e32 v38, v3, v0, vcc
.LBB0_271:
	s_mul_i32 s1, s9, s33
	v_readlane_b32 s0, v126, 25
	s_sub_i32 s1, s10, s1
	s_xor_b32 s0, s12, s0
	s_add_i32 s4, s9, 1
	s_sub_i32 s5, s1, s33
	s_cmp_ge_u32 s1, s33
	s_cselect_b32 s4, s4, s9
	s_cselect_b32 s1, s5, s1
	s_add_i32 s5, s4, 1
	s_cmp_ge_u32 s1, s33
	s_cselect_b32 s1, s5, s4
	s_xor_b32 s1, s1, s0
	v_readlane_b32 s12, v126, 26
	s_sub_i32 s4, s1, s0
	v_readlane_b32 s22, v126, 36
	v_readlane_b32 s23, v126, 37
	;; [unrolled: 1-line block ×3, first 2 shown]
	s_cmp_eq_u64 s[22:23], 0
	v_mov_b32_e32 v8, s44
	v_readlane_b32 s14, v126, 28
	v_readlane_b32 s15, v126, 29
	;; [unrolled: 1-line block ×12, first 2 shown]
	s_cbranch_scc1 .LBB0_273
; %bb.272:
	v_readlane_b32 s0, v126, 0
	s_mul_i32 s0, s6, s0
	s_add_i32 s0, s4, s0
	s_ashr_i32 s1, s0, 31
	s_lshl_b64 s[0:1], s[0:1], 2
	s_add_u32 s0, s22, s0
	s_addc_u32 s1, s23, s1
	v_mov_b32_e32 v0, 0
	global_load_dword v0, v0, s[0:1]
	s_waitcnt vmcnt(0)
	v_ashrrev_i32_e32 v1, 31, v0
	v_lshrrev_b32_e32 v1, 26, v1
	v_add_u32_e32 v0, v0, v1
	v_ashrrev_i32_e32 v0, 6, v0
	v_min_i32_e32 v8, s44, v0
.LBB0_273:
	v_readlane_b32 s14, v126, 8
	v_readlane_b32 s15, v126, 9
	s_mul_i32 s0, s6, s15
	s_ashr_i32 s1, s0, 31
	s_add_u32 s0, s12, s0
	s_mul_i32 s11, s11, s14
	s_addc_u32 s1, s13, s1
	s_ashr_i32 s5, s11, 31
	s_add_u32 s0, s0, s11
	s_addc_u32 s1, s1, s5
	s_lshl_b32 s41, s4, 6
	v_add_u32_e32 v1, s41, v67
	s_mov_b32 s9, 0x10001
	v_lshl_add_u32 v36, v68, 2, 0
	v_cmp_le_i32_e32 vcc, s92, v1
	s_and_saveexec_b64 s[4:5], vcc
	s_xor_b64 s[4:5], exec, s[4:5]
; %bb.274:
	s_movk_i32 s10, 0x90
	v_mad_u32_u24 v0, v67, s10, v36
	v_mov_b32_e32 v1, 0
	ds_write_b32 v0, v1
                                        ; implicit-def: $vgpr1
; %bb.275:
	s_or_saveexec_b64 s[4:5], s[4:5]
	v_mul_lo_u32 v0, v71, s9
	s_xor_b64 exec, exec, s[4:5]
	s_cbranch_execz .LBB0_277
; %bb.276:
	v_mad_u64_u32 v[2:3], s[10:11], v1, s82, v[68:69]
	v_ashrrev_i32_e32 v3, 31, v2
	v_lshl_add_u64 v[2:3], v[2:3], 3, s[0:1]
	global_load_dwordx2 v[2:3], v[2:3], off
	s_movk_i32 s9, 0x90
	s_waitcnt vmcnt(0)
	v_cvt_pk_f16_f32 v1, v2, v3
	v_pk_mul_f16 v1, v1, v0
	v_mad_u32_u24 v2, v67, s9, v36
	ds_write_b32 v2, v1
.LBB0_277:
	s_or_b64 exec, exec, s[4:5]
	v_add_u32_e32 v95, 8, v67
	v_add_u32_e32 v1, s41, v95
	v_cmp_le_i32_e32 vcc, s92, v1
	s_and_saveexec_b64 s[4:5], vcc
	s_xor_b64 s[4:5], exec, s[4:5]
; %bb.278:
	s_movk_i32 s9, 0x90
	v_mad_u32_u24 v1, v95, s9, v36
	v_mov_b32_e32 v2, 0
	ds_write_b32 v1, v2
                                        ; implicit-def: $vgpr1
; %bb.279:
	s_andn2_saveexec_b64 s[4:5], s[4:5]
	s_cbranch_execz .LBB0_281
; %bb.280:
	v_mad_u64_u32 v[2:3], s[10:11], v1, s82, v[68:69]
	v_ashrrev_i32_e32 v3, 31, v2
	v_lshl_add_u64 v[2:3], v[2:3], 3, s[0:1]
	global_load_dwordx2 v[2:3], v[2:3], off
	s_movk_i32 s9, 0x90
	s_waitcnt vmcnt(0)
	v_cvt_pk_f16_f32 v1, v2, v3
	v_pk_mul_f16 v1, v1, v0
	v_mad_u32_u24 v2, v95, s9, v36
	ds_write_b32 v2, v1
.LBB0_281:
	s_or_b64 exec, exec, s[4:5]
	v_add_u32_e32 v97, 16, v67
	v_add_u32_e32 v1, s41, v97
	v_cmp_le_i32_e32 vcc, s92, v1
	s_and_saveexec_b64 s[4:5], vcc
	s_xor_b64 s[4:5], exec, s[4:5]
; %bb.282:
	s_movk_i32 s9, 0x90
	v_mad_u32_u24 v1, v97, s9, v36
	v_mov_b32_e32 v2, 0
	ds_write_b32 v1, v2
                                        ; implicit-def: $vgpr1
; %bb.283:
	s_andn2_saveexec_b64 s[4:5], s[4:5]
	;; [unrolled: 27-line block ×6, first 2 shown]
	s_cbranch_execz .LBB0_301
; %bb.300:
	v_mad_u64_u32 v[2:3], s[10:11], v1, s82, v[68:69]
	v_ashrrev_i32_e32 v3, 31, v2
	v_lshl_add_u64 v[2:3], v[2:3], 3, s[0:1]
	global_load_dwordx2 v[2:3], v[2:3], off
	s_movk_i32 s9, 0x90
	s_waitcnt vmcnt(0)
	v_cvt_pk_f16_f32 v1, v2, v3
	v_pk_mul_f16 v1, v1, v0
	v_mad_u32_u24 v2, v104, s9, v36
	ds_write_b32 v2, v1
.LBB0_301:
	s_or_b64 exec, exec, s[4:5]
	v_add_u32_e32 v105, 56, v67
	v_add_u32_e32 v1, s41, v105
	v_cmp_le_i32_e32 vcc, s92, v1
	s_and_saveexec_b64 s[4:5], vcc
	s_xor_b64 s[4:5], exec, s[4:5]
; %bb.302:
	s_movk_i32 s9, 0x90
	v_mad_u32_u24 v0, v105, s9, v36
	v_mov_b32_e32 v1, 0
	ds_write_b32 v0, v1
                                        ; implicit-def: $vgpr1
                                        ; implicit-def: $vgpr0
; %bb.303:
	s_or_saveexec_b64 s[4:5], s[4:5]
	v_and_b32_e32 v88, 0x3ff, v70
	s_xor_b64 exec, exec, s[4:5]
	s_cbranch_execz .LBB0_305
; %bb.304:
	v_mad_u64_u32 v[2:3], s[10:11], v1, s82, v[68:69]
	v_ashrrev_i32_e32 v3, 31, v2
	v_lshl_add_u64 v[2:3], v[2:3], 3, s[0:1]
	global_load_dwordx2 v[2:3], v[2:3], off
	s_movk_i32 s0, 0x90
	s_waitcnt vmcnt(0)
	v_cvt_pk_f16_f32 v1, v2, v3
	v_pk_mul_f16 v0, v1, v0
	v_mad_u32_u24 v1, v105, s0, v36
	ds_write_b32 v1, v0
.LBB0_305:
	s_or_b64 exec, exec, s[4:5]
	v_readlane_b32 s4, v126, 15
	v_readlane_b32 s5, v126, 16
	s_mul_i32 s0, s4, s8
	s_mul_hi_u32 s1, s4, s6
	v_readlane_b32 s12, v126, 26
	s_add_i32 s0, s1, s0
	s_mul_i32 s1, s5, s6
	v_readlane_b32 s13, v126, 27
	v_readlane_b32 s16, v126, 30
	;; [unrolled: 1-line block ×3, first 2 shown]
	s_add_i32 s0, s0, s1
	s_mul_i32 s1, s4, s6
	s_mov_b64 s[12:13], s[16:17]
	v_readlane_b32 s14, v126, 28
	v_readlane_b32 s15, v126, 29
	s_add_u32 s1, s12, s1
	s_mov_b64 s[10:11], s[14:15]
	s_addc_u32 s0, s13, s0
	v_readlane_b32 s12, v126, 21
	v_readlane_b32 s15, v126, 24
	s_mul_i32 s4, s7, s15
	s_ashr_i32 s5, s4, 31
	s_add_u32 s33, s1, s4
	v_readlane_b32 s13, v126, 22
	s_addc_u32 s40, s0, s5
	s_mul_i32 s0, s12, s8
	s_mul_hi_u32 s1, s12, s6
	s_add_i32 s0, s1, s0
	s_mul_i32 s1, s13, s6
	v_readlane_b32 s4, v126, 19
	s_add_i32 s0, s0, s1
	s_mul_i32 s1, s12, s6
	v_readlane_b32 s5, v126, 20
	s_add_u32 s1, s10, s1
	s_mul_i32 s7, s7, s5
	s_addc_u32 s0, s11, s0
	s_ashr_i32 s4, s7, 31
	s_add_u32 s50, s1, s7
	v_lshrrev_b32_e32 v10, 3, v88
	s_addc_u32 s51, s0, s4
	s_movk_i32 s0, 0x900
	v_and_b32_e32 v106, 15, v88
	v_and_b32_e32 v0, 0x7e, v10
	v_mad_u32_u24 v9, v69, s0, 0
	v_mul_u32_u24_e32 v22, 0x90, v106
	v_lshlrev_b32_e32 v112, 2, v0
	v_add3_u32 v0, v9, v22, v112
	s_waitcnt lgkmcnt(0)
	s_barrier
	ds_read2_b64 v[4:7], v0 offset1:4
	ds_read2_b64 v[0:3], v0 offset0:8 offset1:12
	v_add_u32_e32 v100, -1, v8
	v_cmp_ge_i32_e32 vcc, s58, v100
	s_movk_i32 s8, 0x90
	s_mov_b32 s52, 0
	s_and_b64 vcc, exec, vcc
	v_lshlrev_b32_e32 v28, 1, v88
	v_lshl_add_u32 v93, v69, 3, v10
	v_lshlrev_b32_e32 v14, 2, v88
	v_lshrrev_b32_e32 v74, 2, v88
	v_lshl_or_b32 v76, v69, 4, v106
	v_lshl_or_b32 v75, v10, 2, 4
	v_lshlrev_b32_e32 v79, 1, v10
	v_lshlrev_b32_e32 v78, 1, v106
	v_readlane_b32 s18, v126, 32
	v_readlane_b32 s19, v126, 33
	;; [unrolled: 1-line block ×11, first 2 shown]
	s_waitcnt lgkmcnt(0)
	s_barrier
	s_cbranch_vccnz .LBB0_321
; %bb.306:
	v_mov_b32_e32 v31, 0
	v_mov_b32_e32 v29, v31
	v_mul_i32_i24_e32 v8, 0xfffff790, v69
	v_lshl_add_u64 v[32:33], s[38:39], 0, v[28:29]
	v_add3_u32 v29, v9, v8, v28
	v_add_u32_e32 v8, s41, v69
	v_mul_hi_u32 v9, s2, v8
	v_add_u32_e32 v9, v8, v9
	v_lshrrev_b32_e32 v9, s3, v9
	v_mul_lo_u32 v9, v9, s92
	v_sub_u32_e32 v9, v8, v9
	v_mad_i64_i32 v[34:35], s[4:5], v9, s80, 0
	v_add_u32_e32 v9, 4, v8
	v_mul_hi_u32 v10, s2, v9
	v_add_u32_e32 v10, v9, v10
	v_lshrrev_b32_e32 v10, s3, v10
	v_mul_lo_u32 v10, v10, s92
	v_sub_u32_e32 v9, v9, v10
	v_mad_i64_i32 v[40:41], s[4:5], v9, s80, 0
	;; [unrolled: 7-line block ×14, first 2 shown]
	v_add_u32_e32 v9, 56, v8
	v_mul_hi_u32 v10, s2, v9
	v_add_u32_e32 v10, v9, v10
	v_lshrrev_b32_e32 v10, s3, v10
	v_mul_lo_u32 v10, v10, s92
	v_sub_u32_e32 v9, v9, v10
	v_add_u32_e32 v8, 60, v8
	v_mad_i64_i32 v[66:67], s[4:5], v9, s80, 0
	v_mul_hi_u32 v9, s2, v8
	v_add_u32_e32 v9, v8, v9
	v_lshrrev_b32_e32 v9, s3, v9
	v_mul_lo_u32 v9, v9, s92
	v_sub_u32_e32 v8, v8, v9
	v_mad_i64_i32 v[68:69], s[4:5], v8, s80, 0
	v_mbcnt_lo_u32_b32 v8, -1, 0
	v_mbcnt_hi_u32_b32 v8, -1, v8
	v_and_b32_e32 v9, 64, v8
	v_add_u32_e32 v9, 64, v9
	v_xor_b32_e32 v10, 32, v8
	v_cmp_lt_i32_e32 vcc, v10, v9
	v_mul_lo_u32 v70, s90, v93
	v_or_b32_e32 v13, 2, v79
	v_cndmask_b32_e32 v10, v8, v10, vcc
	v_lshlrev_b32_e32 v108, 2, v10
	v_xor_b32_e32 v10, 16, v8
	v_cmp_lt_i32_e32 vcc, v10, v9
	v_mul_u32_u24_e32 v9, 0x90, v93
	scratch_store_dword off, v105, off offset:56 ; 4-byte Folded Spill
	scratch_store_dword off, v104, off offset:52 ; 4-byte Folded Spill
	;; [unrolled: 1-line block ×7, first 2 shown]
	v_cndmask_b32_e32 v8, v8, v10, vcc
	v_lshlrev_b32_e32 v109, 2, v8
	v_and_b32_e32 v8, 28, v14
	v_lshlrev_b32_e32 v10, 2, v8
	v_add3_u32 v110, 0, v9, v10
	v_and_b32_e32 v9, 0xfc, v74
	v_mad_u32_u24 v10, v76, s8, 0
	v_lshl_add_u32 v113, v9, 1, v10
	v_cmp_gt_u32_e64 s[12:13], 47, v9
	v_cmp_gt_u32_e64 s[14:15], 46, v9
	;; [unrolled: 1-line block ×9, first 2 shown]
	v_mul_lo_u32 v74, s94, v93
	v_and_b32_e32 v9, 0xfc, v79
	v_or_b32_e32 v14, 3, v79
	s_mov_b64 s[42:43], src_private_base
	s_cmp_lg_u64 s[38:39], 0
	v_lshl_add_u32 v72, s90, 5, v70
	scratch_store_dword off, v112, off offset:60 ; 4-byte Folded Spill
	scratch_store_dword off, v22, off offset:80 ; 4-byte Folded Spill
	;; [unrolled: 1-line block ×3, first 2 shown]
	v_add_u32_e32 v114, v10, v75
	v_add_u32_e32 v10, 32, v113
	;; [unrolled: 1-line block ×4, first 2 shown]
	s_movk_i32 s8, 0x100
	s_movk_i32 s10, 0xc0
	;; [unrolled: 1-line block ×3, first 2 shown]
	v_lshl_add_u32 v76, s94, 5, v74
	v_mul_u32_u24_e32 v9, 0x90, v9
	v_mul_u32_u24_e32 v13, 0x90, v13
	;; [unrolled: 1-line block ×3, first 2 shown]
	s_cselect_b64 s[44:45], -1, 0
	v_cmp_gt_u32_e64 s[0:1], 64, v88
	v_cmp_lt_u32_e64 s[36:37], 63, v88
	v_add_u32_e32 v101, 0x240, v29
	v_add_u32_e32 v89, 0x480, v29
	;; [unrolled: 1-line block ×7, first 2 shown]
	v_cmp_gt_u32_e64 s[4:5], 64, v93
	v_ashrrev_i32_e32 v71, 31, v70
	v_add_u32_e32 v111, 0x1200, v110
	v_cmp_gt_u32_e64 s[6:7], 32, v93
	v_ashrrev_i32_e32 v73, 31, v72
	v_add3_u32 v112, 0, v22, v112
	scratch_store_dword off, v75, off offset:72 ; 4-byte Folded Spill
	v_cmp_gt_u32_e64 s[8:9], s8, v88
	v_cmp_gt_u32_e64 s[10:11], s10, v88
	;; [unrolled: 1-line block ×3, first 2 shown]
	v_ashrrev_i32_e32 v75, 31, v74
	v_ashrrev_i32_e32 v77, 31, v76
	scratch_store_dword off, v79, off offset:68 ; 4-byte Folded Spill
	v_add3_u32 v115, 0, v9, v78
	v_add3_u32 v116, 0, v13, v78
	scratch_store_dword off, v78, off offset:64 ; 4-byte Folded Spill
	v_add3_u32 v117, 0, v14, v78
	v_mov_b32_e32 v78, v38
	v_mov_b32_e32 v79, v38
	s_lshl_b32 s46, s58, 6
	v_mov_b32_e32 v25, 0xfeffffff
	v_lshlrev_b32_e32 v30, 2, v8
	v_add_u32_e32 v118, 0x2400, v10
	v_add_u32_e32 v119, 0x2400, v11
	;; [unrolled: 1-line block ×3, first 2 shown]
	s_mov_b32 s42, 0x3fb8aa3b
	s_mov_b32 s53, 0xc2ce8ed0
	s_mov_b32 s54, 0x42b17218
	s_mov_b32 s55, 0xc1a00000
	s_mov_b32 s56, 0x5040100
	v_mov_b32_e32 v121, 0
	v_mov_b32_e32 v84, v31
	;; [unrolled: 1-line block ×15, first 2 shown]
.LBB0_307:                              ; =>This Inner Loop Header: Depth=1
	v_cndmask_b32_e64 v8, 0, 1, s[44:45]
	v_cmp_ne_u32_e64 s[34:35], 1, v8
	s_andn2_b64 vcc, exec, s[44:45]
	s_ashr_i32 s47, s46, 31
	s_cbranch_vccnz .LBB0_317
; %bb.308:                              ;   in Loop: Header=BB0_307 Depth=1
	s_and_saveexec_b64 s[48:49], s[36:37]
	s_xor_b64 s[48:49], exec, s[48:49]
	s_cbranch_execz .LBB0_310
; %bb.309:                              ;   in Loop: Header=BB0_307 Depth=1
	ds_write_b16 v29, v31 offset:9216
	ds_write_b16 v101, v31 offset:9216
	;; [unrolled: 1-line block ×4, first 2 shown]
.LBB0_310:                              ;   in Loop: Header=BB0_307 Depth=1
	s_or_saveexec_b64 s[48:49], s[48:49]
	v_lshl_add_u64 v[8:9], s[46:47], 1, v[32:33]
	v_mov_b32_e32 v10, 0
	v_mov_b32_e32 v11, 0
	;; [unrolled: 1-line block ×4, first 2 shown]
	s_xor_b64 exec, exec, s[48:49]
	s_cbranch_execz .LBB0_312
; %bb.311:                              ;   in Loop: Header=BB0_307 Depth=1
	v_lshl_add_u64 v[10:11], v[34:35], 1, v[8:9]
	global_load_ushort v12, v[10:11], off
	v_lshl_add_u64 v[10:11], v[40:41], 1, v[8:9]
	global_load_ushort v13, v[10:11], off
	;; [unrolled: 2-line block ×4, first 2 shown]
	s_waitcnt vmcnt(3)
	ds_write_b16 v29, v12 offset:9216
	s_waitcnt vmcnt(2)
	ds_write_b16 v101, v13 offset:9216
	s_waitcnt vmcnt(1)
	ds_write_b16 v89, v14 offset:9216
	s_waitcnt vmcnt(0)
	ds_write_b16 v82, v10 offset:9216
	v_lshl_add_u64 v[10:11], v[46:47], 1, v[8:9]
	v_lshl_add_u64 v[12:13], v[48:49], 1, v[8:9]
	global_load_ushort v10, v[10:11], off
	v_lshl_add_u64 v[14:15], v[52:53], 1, v[8:9]
	global_load_ushort v11, v[12:13], off
	;; [unrolled: 2-line block ×3, first 2 shown]
	s_nop 0
	global_load_ushort v13, v[14:15], off
.LBB0_312:                              ;   in Loop: Header=BB0_307 Depth=1
	s_or_b64 exec, exec, s[48:49]
	v_add_u32_e32 v14, 0x900, v29
	s_waitcnt vmcnt(3)
	ds_write_b16 v14, v10 offset:9216
	v_add_u32_e32 v10, 0xb40, v29
	s_waitcnt vmcnt(2)
	ds_write_b16 v10, v11 offset:9216
	v_add_u32_e32 v10, 0xd80, v29
	s_waitcnt vmcnt(1)
	ds_write_b16 v10, v12 offset:9216
	v_add_u32_e32 v10, 0xfc0, v29
	s_waitcnt vmcnt(0)
	ds_write_b16 v10, v13 offset:9216
	s_and_saveexec_b64 s[48:49], s[36:37]
	s_xor_b64 s[48:49], exec, s[48:49]
	s_cbranch_execz .LBB0_314
; %bb.313:                              ;   in Loop: Header=BB0_307 Depth=1
	ds_write_b16 v90, v31 offset:9216
	ds_write_b16 v92, v31 offset:9216
	;; [unrolled: 1-line block ×4, first 2 shown]
                                        ; implicit-def: $vgpr8_vgpr9
.LBB0_314:                              ;   in Loop: Header=BB0_307 Depth=1
	s_or_saveexec_b64 s[48:49], s[48:49]
	v_mov_b32_e32 v10, 0
	v_mov_b32_e32 v11, 0
	;; [unrolled: 1-line block ×4, first 2 shown]
	s_xor_b64 exec, exec, s[48:49]
	s_cbranch_execz .LBB0_316
; %bb.315:                              ;   in Loop: Header=BB0_307 Depth=1
	v_lshl_add_u64 v[10:11], v[54:55], 1, v[8:9]
	global_load_ushort v12, v[10:11], off
	v_lshl_add_u64 v[10:11], v[56:57], 1, v[8:9]
	global_load_ushort v13, v[10:11], off
	;; [unrolled: 2-line block ×4, first 2 shown]
	s_waitcnt vmcnt(3)
	ds_write_b16 v90, v12 offset:9216
	s_waitcnt vmcnt(2)
	ds_write_b16 v92, v13 offset:9216
	;; [unrolled: 2-line block ×4, first 2 shown]
	v_lshl_add_u64 v[10:11], v[62:63], 1, v[8:9]
	v_lshl_add_u64 v[12:13], v[64:65], 1, v[8:9]
	global_load_ushort v10, v[10:11], off
	s_nop 0
	global_load_ushort v11, v[12:13], off
	v_lshl_add_u64 v[12:13], v[66:67], 1, v[8:9]
	v_lshl_add_u64 v[8:9], v[68:69], 1, v[8:9]
	global_load_ushort v12, v[12:13], off
	s_nop 0
	global_load_ushort v13, v[8:9], off
.LBB0_316:                              ;   in Loop: Header=BB0_307 Depth=1
	s_or_b64 exec, exec, s[48:49]
	v_add_u32_e32 v8, 0x1b00, v29
	s_waitcnt vmcnt(3)
	ds_write_b16 v8, v10 offset:9216
	v_add_u32_e32 v8, 0x1d40, v29
	s_waitcnt vmcnt(2)
	ds_write_b16 v8, v11 offset:9216
	;; [unrolled: 3-line block ×4, first 2 shown]
.LBB0_317:                              ;   in Loop: Header=BB0_307 Depth=1
	s_mul_hi_i32 s49, s46, s90
	s_mul_i32 s48, s46, s90
	s_lshl_b64 s[48:49], s[48:49], 2
	s_add_u32 s48, s50, s48
	s_addc_u32 s49, s51, s49
	v_lshl_add_u64 v[8:9], v[70:71], 2, s[48:49]
	v_lshl_add_u64 v[8:9], v[8:9], 0, v[30:31]
	v_mov_b32_e32 v12, s43
	v_lshl_add_u64 v[10:11], v[72:73], 2, s[48:49]
	v_cndmask_b32_e64 v9, v12, v9, s[4:5]
	v_cndmask_b32_e64 v8, v121, v8, s[4:5]
	v_lshl_add_u64 v[10:11], v[10:11], 0, v[30:31]
	scratch_store_dwordx4 off, v[84:87], off
	v_cndmask_b32_e64 v13, v12, v11, s[6:7]
	v_cndmask_b32_e64 v12, v121, v10, s[6:7]
	flat_load_dwordx4 v[8:11], v[8:9]
	v_add_u32_e32 v20, 0x800, v112
	v_add_u32_e32 v26, 0x1000, v112
	s_and_b64 vcc, exec, s[34:35]
	s_waitcnt vmcnt(0) lgkmcnt(0)
	ds_write_b128 v110, v[8:11]
	flat_load_dwordx4 v[8:11], v[12:13]
	s_waitcnt vmcnt(0) lgkmcnt(0)
	ds_write_b128 v111, v[8:11]
	s_waitcnt lgkmcnt(0)
	s_barrier
	ds_read2_b64 v[8:11], v112 offset1:4
	s_waitcnt lgkmcnt(0)
	v_mfma_f32_16x16x16_f16 v[12:15], v[8:9], v[4:5], 0
	v_mfma_f32_16x16x16_f16 v[8:11], v[10:11], v[6:7], v[12:15]
	s_nop 6
	ds_read2_b64 v[12:15], v112 offset0:8 offset1:12
	s_waitcnt lgkmcnt(0)
	v_mfma_f32_16x16x16_f16 v[8:11], v[12:13], v[0:1], v[8:11]
	v_mfma_f32_16x16x16_f16 v[8:11], v[14:15], v[2:3], v[8:11]
	ds_read2_b64 v[12:15], v20 offset0:32 offset1:36
	s_waitcnt lgkmcnt(0)
	v_mfma_f32_16x16x16_f16 v[16:19], v[12:13], v[4:5], 0
	v_mfma_f32_16x16x16_f16 v[12:15], v[14:15], v[6:7], v[16:19]
	s_nop 6
	ds_read2_b64 v[16:19], v20 offset0:40 offset1:44
	s_waitcnt lgkmcnt(0)
	v_mfma_f32_16x16x16_f16 v[12:15], v[16:17], v[0:1], v[12:15]
	v_mfma_f32_16x16x16_f16 v[12:15], v[18:19], v[2:3], v[12:15]
	ds_read2_b64 v[16:19], v26 offset0:64 offset1:68
	s_waitcnt lgkmcnt(0)
	v_mfma_f32_16x16x16_f16 v[20:23], v[16:17], v[4:5], 0
	v_mfma_f32_16x16x16_f16 v[16:19], v[18:19], v[6:7], v[20:23]
	s_nop 6
	ds_read2_b64 v[20:23], v26 offset0:72 offset1:76
	s_waitcnt lgkmcnt(0)
	v_mfma_f32_16x16x16_f16 v[16:19], v[20:21], v[0:1], v[16:19]
	v_add_u32_e32 v26, 0x1800, v112
	v_mfma_f32_16x16x16_f16 v[16:19], v[22:23], v[2:3], v[16:19]
	ds_read2_b64 v[20:23], v26 offset0:96 offset1:100
	s_waitcnt lgkmcnt(0)
	v_mfma_f32_16x16x16_f16 v[102:105], v[20:21], v[4:5], 0
	v_mfma_f32_16x16x16_f16 v[20:23], v[22:23], v[6:7], v[102:105]
	s_nop 6
	ds_read2_b64 v[102:105], v26 offset0:104 offset1:108
	s_waitcnt lgkmcnt(0)
	v_mfma_f32_16x16x16_f16 v[20:23], v[102:103], v[0:1], v[20:23]
	s_barrier
	v_mfma_f32_16x16x16_f16 v[20:23], v[104:105], v[2:3], v[20:23]
	s_cbranch_vccnz .LBB0_319
; %bb.318:                              ;   in Loop: Header=BB0_307 Depth=1
	ds_read_b32 v26, v113 offset:9216
	ds_read_b32 v37, v114 offset:9216
	v_mov_b32_e32 v39, v38
	s_waitcnt lgkmcnt(1)
	v_cvt_f32_f16_sdwa v27, v26 dst_sel:DWORD dst_unused:UNUSED_PAD src0_sel:WORD_1
	v_cvt_f32_f16_e32 v26, v26
	s_waitcnt lgkmcnt(0)
	v_cvt_f32_f16_sdwa v103, v37 dst_sel:DWORD dst_unused:UNUSED_PAD src0_sel:WORD_1
	v_cvt_f32_f16_e32 v102, v37
	v_pk_fma_f32 v[8:9], v[78:79], v[26:27], v[8:9]
	ds_read2_b32 v[26:27], v118 offset1:1
	v_pk_fma_f32 v[10:11], v[38:39], v[102:103], v[10:11]
	s_waitcnt lgkmcnt(0)
	v_cvt_f32_f16_e32 v102, v26
	v_cvt_f32_f16_sdwa v103, v26 dst_sel:DWORD dst_unused:UNUSED_PAD src0_sel:WORD_1
	v_cvt_f32_f16_e32 v26, v27
	v_cvt_f32_f16_sdwa v27, v27 dst_sel:DWORD dst_unused:UNUSED_PAD src0_sel:WORD_1
	v_pk_fma_f32 v[12:13], v[78:79], v[102:103], v[12:13]
	v_pk_fma_f32 v[14:15], v[38:39], v[26:27], v[14:15]
	ds_read2_b32 v[26:27], v119 offset1:1
	s_waitcnt lgkmcnt(0)
	v_cvt_f32_f16_e32 v102, v26
	v_cvt_f32_f16_sdwa v103, v26 dst_sel:DWORD dst_unused:UNUSED_PAD src0_sel:WORD_1
	v_cvt_f32_f16_e32 v26, v27
	v_cvt_f32_f16_sdwa v27, v27 dst_sel:DWORD dst_unused:UNUSED_PAD src0_sel:WORD_1
	v_pk_fma_f32 v[16:17], v[78:79], v[102:103], v[16:17]
	v_pk_fma_f32 v[18:19], v[38:39], v[26:27], v[18:19]
	ds_read2_b32 v[26:27], v120 offset1:1
	s_waitcnt lgkmcnt(0)
	v_cvt_f32_f16_e32 v102, v26
	v_cvt_f32_f16_sdwa v103, v26 dst_sel:DWORD dst_unused:UNUSED_PAD src0_sel:WORD_1
	v_cvt_f32_f16_e32 v26, v27
	v_cvt_f32_f16_sdwa v27, v27 dst_sel:DWORD dst_unused:UNUSED_PAD src0_sel:WORD_1
	v_pk_fma_f32 v[20:21], v[78:79], v[102:103], v[20:21]
	v_pk_fma_f32 v[22:23], v[38:39], v[26:27], v[22:23]
.LBB0_319:                              ;   in Loop: Header=BB0_307 Depth=1
	v_add_f32_e32 v26, 0x40051340, v8
	v_max_f32_e32 v27, v25, v25
	v_max_f32_e32 v26, v27, v26
	v_cndmask_b32_e64 v26, v25, v26, s[8:9]
	v_add_f32_e32 v27, 0x40051340, v9
	v_max_f32_e32 v26, v26, v26
	v_max_f32_e32 v26, v26, v27
	v_cndmask_b32_e64 v26, v25, v26, s[8:9]
	;; [unrolled: 4-line block ×16, first 2 shown]
	ds_bpermute_b32 v27, v108, v26
	v_max_f32_e32 v26, v26, v26
	s_mul_hi_i32 s35, s46, s94
	s_mul_i32 s34, s46, s94
	s_lshl_b64 s[34:35], s[34:35], 2
	s_waitcnt lgkmcnt(0)
	v_max_f32_e32 v27, v27, v27
	v_max_f32_e32 v26, v26, v27
	ds_bpermute_b32 v27, v109, v26
	s_add_u32 s34, s33, s34
	s_addc_u32 s35, s40, s35
	scratch_store_dwordx4 off, v[84:87], off
	s_add_i32 s58, s58, 1
	s_waitcnt lgkmcnt(0)
	v_max_f32_e32 v27, v27, v27
	v_max_f32_e32 v99, v26, v27
	v_sub_f32_e32 v8, v8, v99
	v_mul_f32_e32 v26, 0x3fb8aa3b, v8
	v_fma_f32 v27, v8, s42, -v26
	v_rndne_f32_e32 v37, v26
	v_fmac_f32_e32 v27, 0x32a5705f, v8
	v_sub_f32_e32 v26, v26, v37
	v_add_f32_e32 v26, v26, v27
	v_exp_f32_e32 v26, v26
	v_cvt_i32_f32_e32 v27, v37
	v_sub_f32_e32 v9, v9, v99
	v_cmp_ngt_f32_e32 vcc, s53, v8
	v_sub_f32_e32 v10, v10, v99
	v_ldexp_f32 v26, v26, v27
	v_mul_f32_e32 v27, 0x3fb8aa3b, v9
	v_fma_f32 v37, v9, s42, -v27
	v_rndne_f32_e32 v39, v27
	v_fmac_f32_e32 v37, 0x32a5705f, v9
	v_sub_f32_e32 v27, v27, v39
	v_add_f32_e32 v27, v27, v37
	v_exp_f32_e32 v27, v27
	v_cvt_i32_f32_e32 v37, v39
	v_cndmask_b32_e32 v26, 0, v26, vcc
	v_cmp_nlt_f32_e32 vcc, s54, v8
	v_sub_f32_e32 v11, v11, v99
	v_ldexp_f32 v27, v27, v37
	v_cndmask_b32_e32 v26, v122, v26, vcc
	v_cmp_ngt_f32_e32 vcc, s53, v9
	v_cndmask_b32_e64 v8, 0, v26, s[8:9]
	v_sub_f32_e32 v12, v12, v99
	v_cndmask_b32_e32 v27, 0, v27, vcc
	v_cmp_nlt_f32_e32 vcc, s54, v9
	v_mov_b32_e32 v9, s52
	v_sub_f32_e32 v14, v14, v99
	v_cndmask_b32_e32 v27, v122, v27, vcc
	v_add_f32_e32 v26, v26, v27
	v_cndmask_b32_e64 v9, v9, v27, s[8:9]
	v_mul_f32_e32 v27, 0x3fb8aa3b, v10
	v_fma_f32 v37, v10, s42, -v27
	v_rndne_f32_e32 v39, v27
	v_fmac_f32_e32 v37, 0x32a5705f, v10
	v_sub_f32_e32 v27, v27, v39
	v_add_f32_e32 v27, v27, v37
	v_exp_f32_e32 v27, v27
	v_cvt_i32_f32_e32 v37, v39
	v_cmp_ngt_f32_e32 vcc, s53, v10
	s_add_i32 s46, s46, 64
	v_ldexp_f32 v27, v27, v37
	v_cndmask_b32_e32 v27, 0, v27, vcc
	v_cmp_nlt_f32_e32 vcc, s54, v10
	v_mov_b32_e32 v10, s52
	s_nop 0
	v_cndmask_b32_e32 v27, v122, v27, vcc
	v_add_f32_e32 v26, v26, v27
	v_cndmask_b32_e64 v10, v10, v27, s[8:9]
	v_mul_f32_e32 v27, 0x3fb8aa3b, v11
	v_fma_f32 v37, v11, s42, -v27
	v_rndne_f32_e32 v39, v27
	v_fmac_f32_e32 v37, 0x32a5705f, v11
	v_sub_f32_e32 v27, v27, v39
	v_add_f32_e32 v27, v27, v37
	v_exp_f32_e32 v27, v27
	v_cvt_i32_f32_e32 v37, v39
	v_cmp_ngt_f32_e32 vcc, s53, v11
	v_ldexp_f32 v27, v27, v37
	s_nop 0
	v_cndmask_b32_e32 v27, 0, v27, vcc
	v_cmp_nlt_f32_e32 vcc, s54, v11
	v_mov_b32_e32 v11, s52
	s_nop 0
	v_cndmask_b32_e32 v27, v122, v27, vcc
	v_add_f32_e32 v26, v26, v27
	v_cndmask_b32_e64 v97, v11, v27, s[8:9]
	v_cndmask_b32_e64 v11, 0, v26, s[8:9]
	v_mul_f32_e32 v26, 0x3fb8aa3b, v12
	v_fma_f32 v27, v12, s42, -v26
	v_rndne_f32_e32 v37, v26
	v_fmac_f32_e32 v27, 0x32a5705f, v12
	v_sub_f32_e32 v26, v26, v37
	v_add_f32_e32 v26, v26, v27
	v_exp_f32_e32 v26, v26
	v_cvt_i32_f32_e32 v27, v37
	v_cmp_ngt_f32_e32 vcc, s53, v12
	v_ldexp_f32 v26, v26, v27
	s_nop 0
	v_cndmask_b32_e32 v26, 0, v26, vcc
	v_cmp_nlt_f32_e32 vcc, s54, v12
	v_mov_b32_e32 v12, s52
	s_nop 0
	v_cndmask_b32_e32 v26, v122, v26, vcc
	v_add_f32_e32 v27, v26, v11
	v_cndmask_b32_e64 v12, v12, v26, s[10:11]
	v_cndmask_b32_e64 v26, v11, v27, s[10:11]
	v_sub_f32_e32 v11, v13, v99
	v_mul_f32_e32 v13, 0x3fb8aa3b, v11
	v_fma_f32 v27, v11, s42, -v13
	v_rndne_f32_e32 v37, v13
	v_fmac_f32_e32 v27, 0x32a5705f, v11
	v_sub_f32_e32 v13, v13, v37
	v_add_f32_e32 v13, v13, v27
	v_exp_f32_e32 v13, v13
	v_cvt_i32_f32_e32 v27, v37
	v_cmp_ngt_f32_e32 vcc, s53, v11
	v_ldexp_f32 v13, v13, v27
	s_nop 0
	v_cndmask_b32_e32 v13, 0, v13, vcc
	v_cmp_nlt_f32_e32 vcc, s54, v11
	v_mov_b32_e32 v11, s52
	s_nop 0
	v_cndmask_b32_e32 v13, v122, v13, vcc
	v_add_f32_e32 v27, v13, v26
	v_cndmask_b32_e64 v11, v11, v13, s[12:13]
	v_cndmask_b32_e64 v13, v26, v27, s[12:13]
	v_mul_f32_e32 v26, 0x3fb8aa3b, v14
	v_fma_f32 v27, v14, s42, -v26
	v_rndne_f32_e32 v37, v26
	v_fmac_f32_e32 v27, 0x32a5705f, v14
	v_sub_f32_e32 v26, v26, v37
	v_add_f32_e32 v26, v26, v27
	v_exp_f32_e32 v26, v26
	v_cvt_i32_f32_e32 v27, v37
	v_cmp_ngt_f32_e32 vcc, s53, v14
	v_ldexp_f32 v26, v26, v27
	s_nop 0
	v_cndmask_b32_e32 v26, 0, v26, vcc
	v_cmp_nlt_f32_e32 vcc, s54, v14
	v_mov_b32_e32 v14, s52
	s_nop 0
	v_cndmask_b32_e32 v26, v122, v26, vcc
	v_add_f32_e32 v27, v26, v13
	v_cndmask_b32_e64 v14, v14, v26, s[14:15]
	v_cndmask_b32_e64 v26, v13, v27, s[14:15]
	v_sub_f32_e32 v13, v15, v99
	v_mul_f32_e32 v15, 0x3fb8aa3b, v13
	v_fma_f32 v27, v13, s42, -v15
	v_rndne_f32_e32 v37, v15
	v_fmac_f32_e32 v27, 0x32a5705f, v13
	v_sub_f32_e32 v15, v15, v37
	v_add_f32_e32 v15, v15, v27
	v_exp_f32_e32 v15, v15
	v_cvt_i32_f32_e32 v27, v37
	v_cmp_ngt_f32_e32 vcc, s53, v13
	v_ldexp_f32 v15, v15, v27
	s_nop 0
	v_cndmask_b32_e32 v15, 0, v15, vcc
	v_cmp_nlt_f32_e32 vcc, s54, v13
	v_mov_b32_e32 v13, s52
	s_nop 0
	v_cndmask_b32_e32 v15, v122, v15, vcc
	v_add_f32_e32 v27, v15, v26
	v_cndmask_b32_e64 v95, v13, v15, s[16:17]
	v_sub_f32_e32 v15, v16, v99
	v_mul_f32_e32 v16, 0x3fb8aa3b, v15
	v_cndmask_b32_e64 v13, v26, v27, s[16:17]
	v_fma_f32 v26, v15, s42, -v16
	v_rndne_f32_e32 v27, v16
	v_fmac_f32_e32 v26, 0x32a5705f, v15
	v_sub_f32_e32 v16, v16, v27
	v_add_f32_e32 v16, v16, v26
	v_exp_f32_e32 v16, v16
	v_cvt_i32_f32_e32 v26, v27
	v_cmp_ngt_f32_e32 vcc, s53, v15
	v_ldexp_f32 v16, v16, v26
	s_nop 0
	v_cndmask_b32_e32 v16, 0, v16, vcc
	v_cmp_nlt_f32_e32 vcc, s54, v15
	s_nop 1
	v_cndmask_b32_e32 v15, v122, v16, vcc
	v_add_f32_e32 v26, v15, v13
	v_mov_b32_e32 v16, s52
	v_cndmask_b32_e64 v16, v16, v15, s[18:19]
	v_cndmask_b32_e64 v15, v13, v26, s[18:19]
	v_sub_f32_e32 v13, v17, v99
	v_mul_f32_e32 v17, 0x3fb8aa3b, v13
	v_fma_f32 v26, v13, s42, -v17
	v_rndne_f32_e32 v27, v17
	v_fmac_f32_e32 v26, 0x32a5705f, v13
	v_sub_f32_e32 v17, v17, v27
	v_add_f32_e32 v17, v17, v26
	v_exp_f32_e32 v17, v17
	v_cvt_i32_f32_e32 v26, v27
	v_cmp_ngt_f32_e32 vcc, s53, v13
	v_ldexp_f32 v17, v17, v26
	s_nop 0
	v_cndmask_b32_e32 v17, 0, v17, vcc
	v_cmp_nlt_f32_e32 vcc, s54, v13
	v_mov_b32_e32 v13, s52
	s_nop 0
	v_cndmask_b32_e32 v17, v122, v17, vcc
	v_add_f32_e32 v26, v17, v15
	v_cndmask_b32_e64 v13, v13, v17, s[20:21]
	v_sub_f32_e32 v17, v18, v99
	v_mul_f32_e32 v18, 0x3fb8aa3b, v17
	v_cndmask_b32_e64 v15, v15, v26, s[20:21]
	v_fma_f32 v26, v17, s42, -v18
	v_rndne_f32_e32 v27, v18
	v_fmac_f32_e32 v26, 0x32a5705f, v17
	v_sub_f32_e32 v18, v18, v27
	v_add_f32_e32 v18, v18, v26
	v_exp_f32_e32 v18, v18
	v_cvt_i32_f32_e32 v26, v27
	v_cmp_ngt_f32_e32 vcc, s53, v17
	v_ldexp_f32 v18, v18, v26
	s_nop 0
	v_cndmask_b32_e32 v18, 0, v18, vcc
	v_cmp_nlt_f32_e32 vcc, s54, v17
	s_nop 1
	v_cndmask_b32_e32 v17, v122, v18, vcc
	v_add_f32_e32 v26, v17, v15
	v_mov_b32_e32 v18, s52
	v_cndmask_b32_e64 v18, v18, v17, s[22:23]
	v_cndmask_b32_e64 v17, v15, v26, s[22:23]
	v_sub_f32_e32 v15, v19, v99
	v_mul_f32_e32 v19, 0x3fb8aa3b, v15
	v_fma_f32 v26, v15, s42, -v19
	v_rndne_f32_e32 v27, v19
	v_fmac_f32_e32 v26, 0x32a5705f, v15
	v_sub_f32_e32 v19, v19, v27
	v_add_f32_e32 v19, v19, v26
	v_exp_f32_e32 v19, v19
	v_cvt_i32_f32_e32 v26, v27
	v_cmp_ngt_f32_e32 vcc, s53, v15
	v_ldexp_f32 v19, v19, v26
	s_nop 0
	v_cndmask_b32_e32 v19, 0, v19, vcc
	v_cmp_nlt_f32_e32 vcc, s54, v15
	v_mov_b32_e32 v15, s52
	s_nop 0
	v_cndmask_b32_e32 v19, v122, v19, vcc
	v_add_f32_e32 v26, v19, v17
	v_cndmask_b32_e64 v91, v15, v19, s[24:25]
	v_cndmask_b32_e64 v15, v17, v26, s[24:25]
	v_sub_f32_e32 v17, v20, v99
	v_mul_f32_e32 v19, 0x3fb8aa3b, v17
	v_fma_f32 v20, v17, s42, -v19
	v_rndne_f32_e32 v26, v19
	v_fmac_f32_e32 v20, 0x32a5705f, v17
	v_sub_f32_e32 v19, v19, v26
	v_add_f32_e32 v19, v19, v20
	v_exp_f32_e32 v19, v19
	v_cvt_i32_f32_e32 v20, v26
	v_cmp_ngt_f32_e32 vcc, s53, v17
	v_ldexp_f32 v19, v19, v20
	s_nop 0
	v_cndmask_b32_e32 v19, 0, v19, vcc
	v_cmp_nlt_f32_e32 vcc, s54, v17
	v_mov_b32_e32 v20, s52
	s_nop 0
	v_cndmask_b32_e32 v17, v122, v19, vcc
	v_add_f32_e32 v19, v17, v15
	;; [unrolled: 20-line block ×3, first 2 shown]
	v_cndmask_b32_e64 v15, v15, v19, s[26:27]
	v_sub_f32_e32 v19, v22, v99
	v_cndmask_b32_e64 v17, v17, v21, s[26:27]
	v_mul_f32_e32 v21, 0x3fb8aa3b, v19
	v_fma_f32 v22, v19, s42, -v21
	v_rndne_f32_e32 v26, v21
	v_fmac_f32_e32 v22, 0x32a5705f, v19
	v_sub_f32_e32 v21, v21, v26
	v_add_f32_e32 v21, v21, v22
	v_exp_f32_e32 v21, v21
	v_cvt_i32_f32_e32 v22, v26
	v_cmp_ngt_f32_e32 vcc, s53, v19
	v_cvt_pk_f16_f32 v20, v20, v15
	v_ldexp_f32 v21, v21, v22
	v_cndmask_b32_e32 v21, 0, v21, vcc
	v_cmp_nlt_f32_e32 vcc, s54, v19
	v_mov_b32_e32 v22, s52
	s_nop 0
	v_cndmask_b32_e32 v19, v122, v21, vcc
	v_add_f32_e32 v21, v19, v17
	v_cndmask_b32_e64 v22, v22, v19, s[28:29]
	v_cndmask_b32_e64 v19, v17, v21, s[28:29]
	v_sub_f32_e32 v17, v23, v99
	v_mul_f32_e32 v21, 0x3fb8aa3b, v17
	v_fma_f32 v23, v17, s42, -v21
	v_rndne_f32_e32 v26, v21
	v_fmac_f32_e32 v23, 0x32a5705f, v17
	v_sub_f32_e32 v21, v21, v26
	v_add_f32_e32 v21, v21, v23
	v_exp_f32_e32 v21, v21
	v_cvt_i32_f32_e32 v23, v26
	v_cmp_ngt_f32_e32 vcc, s53, v17
	v_lshl_add_u64 v[26:27], v[76:77], 2, s[34:35]
	v_lshl_add_u64 v[26:27], v[26:27], 0, v[30:31]
	v_ldexp_f32 v21, v21, v23
	v_cndmask_b32_e32 v21, 0, v21, vcc
	v_cmp_nlt_f32_e32 vcc, s54, v17
	v_mov_b32_e32 v17, s52
	s_nop 0
	v_cndmask_b32_e32 v21, v122, v21, vcc
	v_add_f32_e32 v23, v21, v19
	v_cndmask_b32_e64 v21, v17, v21, s[30:31]
	v_sub_f32_e32 v17, v25, v99
	v_cndmask_b32_e64 v39, v19, v23, s[30:31]
	v_mul_f32_e32 v19, 0x3fb8aa3b, v17
	v_fma_f32 v23, v17, s42, -v19
	v_rndne_f32_e32 v25, v19
	v_fmac_f32_e32 v23, 0x32a5705f, v17
	v_sub_f32_e32 v19, v19, v25
	v_add_f32_e32 v19, v19, v23
	v_exp_f32_e32 v19, v19
	v_cvt_i32_f32_e32 v23, v25
	v_cmp_ngt_f32_e32 vcc, s53, v17
	v_cvt_pk_f16_f32 v21, v22, v21
	v_ldexp_f32 v19, v19, v23
	v_cndmask_b32_e32 v19, 0, v19, vcc
	v_cmp_nlt_f32_e32 vcc, s54, v17
	s_nop 1
	v_cndmask_b32_e32 v19, v122, v19, vcc
	v_cmp_le_f32_e32 vcc, s55, v17
	s_nop 1
	v_cndmask_b32_e32 v17, 0, v19, vcc
	v_fmac_f32_e32 v39, v24, v17
	v_cvt_f16_f32_e32 v17, v17
	v_lshl_add_u64 v[24:25], v[74:75], 2, s[34:35]
	v_lshl_add_u64 v[24:25], v[24:25], 0, v[30:31]
	v_cndmask_b32_e64 v24, v121, v24, s[4:5]
	v_mul_u32_u24_e32 v23, 0x10001, v17
	v_pk_mul_f16 v83, v94, v23
	v_pk_mul_f16 v37, v98, v23
	;; [unrolled: 1-line block ×8, first 2 shown]
	v_mov_b32_e32 v80, s43
	v_cndmask_b32_e64 v25, v80, v25, s[4:5]
	v_cndmask_b32_e64 v81, v80, v27, s[6:7]
	;; [unrolled: 1-line block ×3, first 2 shown]
	flat_load_dwordx4 v[24:27], v[24:25]
	v_cvt_f32_f16_sdwa v15, v96 dst_sel:DWORD dst_unused:UNUSED_PAD src0_sel:WORD_1
	v_cmp_lt_i32_e32 vcc, s58, v100
	s_and_b64 vcc, exec, vcc
	s_waitcnt vmcnt(0) lgkmcnt(0)
	ds_write_b128 v110, v[24:27]
	flat_load_dwordx4 v[24:27], v[80:81]
	s_waitcnt vmcnt(0) lgkmcnt(0)
	ds_write_b128 v111, v[24:27]
	s_waitcnt lgkmcnt(0)
	s_barrier
	ds_read_u16 v80, v115 offset:144
	v_cvt_f32_f16_e32 v24, v83
	v_cvt_f32_f16_sdwa v25, v83 dst_sel:DWORD dst_unused:UNUSED_PAD src0_sel:WORD_1
	v_cvt_f32_f16_e32 v26, v37
	v_cvt_f32_f16_sdwa v27, v37 dst_sel:DWORD dst_unused:UNUSED_PAD src0_sel:WORD_1
	ds_read_u16 v37, v116
	ds_read_u16 v83, v116 offset:32
	ds_read_u16 v81, v117
	ds_read_u16 v123, v117 offset:32
	s_waitcnt lgkmcnt(1)
	v_perm_b32 v103, v81, v37, s56
	ds_read_u16 v37, v115
	ds_read_u16 v124, v115 offset:32
	v_cvt_pk_f16_f32 v81, v10, v97
	s_waitcnt lgkmcnt(2)
	v_perm_b32 v97, v123, v83, s56
	s_waitcnt lgkmcnt(1)
	v_perm_b32 v102, v80, v37, s56
	v_cvt_pk_f16_f32 v80, v8, v9
	s_nop 1
	v_mfma_f32_16x16x16_f16 v[24:27], v[102:103], v[80:81], v[24:27]
	s_nop 7
	v_cvt_f16_f32_e32 v8, v24
	v_cvt_f16_f32_e32 v9, v25
	;; [unrolled: 1-line block ×4, first 2 shown]
	ds_read_u16 v25, v115 offset:2304
	ds_read_u16 v26, v115 offset:2448
	ds_read_u16 v27, v116 offset:2304
	ds_read_u16 v37, v117 offset:2304
	v_cvt_f32_f16_e32 v102, v8
	v_cvt_f32_f16_e32 v103, v9
	s_waitcnt lgkmcnt(2)
	v_perm_b32 v8, v26, v25, s56
	v_cvt_f32_f16_e32 v104, v10
	s_waitcnt lgkmcnt(0)
	v_perm_b32 v9, v37, v27, s56
	v_cvt_f32_f16_e32 v105, v24
	v_cvt_pk_f16_f32 v25, v14, v95
	v_cvt_pk_f16_f32 v24, v12, v11
	ds_read_u16 v12, v115 offset:4608
	ds_read_u16 v14, v115 offset:4752
	;; [unrolled: 1-line block ×4, first 2 shown]
	v_mfma_f32_16x16x16_f16 v[8:11], v[8:9], v[24:25], v[102:105]
	s_waitcnt lgkmcnt(0)
	s_nop 1
	v_perm_b32 v103, v27, v26, s56
	v_perm_b32 v102, v14, v12, s56
	s_nop 2
	v_cvt_f16_f32_e32 v8, v8
	v_cvt_f16_f32_e32 v9, v9
	;; [unrolled: 1-line block ×4, first 2 shown]
	v_cvt_f32_f16_e32 v8, v8
	v_cvt_f32_f16_e32 v9, v9
	;; [unrolled: 1-line block ×4, first 2 shown]
	v_cvt_pk_f16_f32 v27, v18, v91
	v_cvt_pk_f16_f32 v26, v16, v13
	ds_read_u16 v12, v115 offset:6912
	ds_read_u16 v14, v115 offset:7056
	;; [unrolled: 1-line block ×4, first 2 shown]
	v_mfma_f32_16x16x16_f16 v[8:11], v[102:103], v[26:27], v[8:11]
	v_cvt_f32_f16_e32 v104, v17
	s_waitcnt lgkmcnt(2)
	v_perm_b32 v12, v14, v12, s56
	v_cvt_f32_f16_e32 v14, v96
	s_waitcnt lgkmcnt(0)
	v_perm_b32 v13, v16, v13, s56
	ds_read_u16 v16, v115 offset:176
	s_nop 0
	v_cvt_f16_f32_e32 v8, v8
	v_cvt_f16_f32_e32 v9, v9
	;; [unrolled: 1-line block ×4, first 2 shown]
	v_cvt_f32_f16_e32 v8, v8
	v_cvt_f32_f16_e32 v9, v9
	;; [unrolled: 1-line block ×4, first 2 shown]
	s_waitcnt lgkmcnt(0)
	v_perm_b32 v96, v16, v124, s56
	ds_read_u16 v16, v115 offset:2336
	ds_read_u16 v18, v115 offset:2480
	;; [unrolled: 1-line block ×4, first 2 shown]
	v_mfma_f32_16x16x16_f16 v[8:11], v[12:13], v[20:21], v[8:11]
	v_cvt_f32_f16_e32 v12, v98
	v_cvt_f32_f16_sdwa v13, v98 dst_sel:DWORD dst_unused:UNUSED_PAD src0_sel:WORD_1
	v_cvt_f32_f16_sdwa v105, v17 dst_sel:DWORD dst_unused:UNUSED_PAD src0_sel:WORD_1
	v_cvt_f32_f16_e32 v102, v19
	v_mfma_f32_16x16x16_f16 v[12:15], v[96:97], v[80:81], v[12:15]
	s_waitcnt lgkmcnt(0)
	v_perm_b32 v97, v37, v22, s56
	v_perm_b32 v96, v18, v16, s56
	ds_read_u16 v16, v115 offset:4640
	ds_read_u16 v18, v115 offset:4784
	ds_read_u16 v22, v116 offset:4640
	ds_read_u16 v37, v117 offset:4640
	s_nop 0
	v_cvt_f16_f32_e32 v12, v12
	v_cvt_f16_f32_e32 v13, v13
	;; [unrolled: 1-line block ×4, first 2 shown]
	v_cvt_f32_f16_e32 v12, v12
	v_cvt_f32_f16_e32 v13, v13
	;; [unrolled: 1-line block ×4, first 2 shown]
	v_cvt_f32_f16_sdwa v103, v19 dst_sel:DWORD dst_unused:UNUSED_PAD src0_sel:WORD_1
	s_nop 0
	v_mfma_f32_16x16x16_f16 v[12:15], v[96:97], v[24:25], v[12:15]
	s_waitcnt lgkmcnt(0)
	v_perm_b32 v97, v37, v22, s56
	v_perm_b32 v96, v18, v16, s56
	ds_read_u16 v16, v115 offset:6944
	ds_read_u16 v18, v115 offset:7088
	;; [unrolled: 1-line block ×4, first 2 shown]
	s_nop 0
	v_cvt_f16_f32_e32 v12, v12
	v_cvt_f16_f32_e32 v13, v13
	;; [unrolled: 1-line block ×4, first 2 shown]
	v_cvt_f32_f16_e32 v12, v12
	v_cvt_f32_f16_e32 v13, v13
	;; [unrolled: 1-line block ×4, first 2 shown]
	s_nop 1
	v_mfma_f32_16x16x16_f16 v[12:15], v[96:97], v[26:27], v[12:15]
	s_waitcnt lgkmcnt(0)
	v_perm_b32 v97, v37, v22, s56
	v_perm_b32 v96, v18, v16, s56
	ds_read_u16 v16, v115 offset:64
	ds_read_u16 v18, v115 offset:208
	;; [unrolled: 1-line block ×4, first 2 shown]
	s_nop 0
	v_cvt_f16_f32_e32 v12, v12
	v_cvt_f16_f32_e32 v13, v13
	s_waitcnt lgkmcnt(2)
	v_perm_b32 v16, v18, v16, s56
	v_cvt_f16_f32_e32 v14, v14
	s_waitcnt lgkmcnt(0)
	v_perm_b32 v17, v37, v22, s56
	v_cvt_f16_f32_e32 v15, v15
	ds_read_u16 v22, v115 offset:2368
	ds_read_u16 v37, v115 offset:2512
	;; [unrolled: 1-line block ×4, first 2 shown]
	v_mfma_f32_16x16x16_f16 v[16:19], v[16:17], v[80:81], v[102:105]
	v_cvt_f32_f16_e32 v12, v12
	v_cvt_f32_f16_e32 v13, v13
	;; [unrolled: 1-line block ×4, first 2 shown]
	s_nop 3
	v_cvt_f16_f32_e32 v16, v16
	v_cvt_f16_f32_e32 v17, v17
	;; [unrolled: 1-line block ×4, first 2 shown]
	v_mfma_f32_16x16x16_f16 v[12:15], v[96:97], v[20:21], v[12:15]
	s_waitcnt lgkmcnt(0)
	v_perm_b32 v97, v91, v83, s56
	v_perm_b32 v96, v37, v22, s56
	v_cvt_f32_f16_e32 v16, v16
	v_cvt_f32_f16_e32 v17, v17
	;; [unrolled: 1-line block ×4, first 2 shown]
	ds_read_u16 v22, v115 offset:4672
	ds_read_u16 v37, v115 offset:4816
	;; [unrolled: 1-line block ×4, first 2 shown]
	v_mfma_f32_16x16x16_f16 v[16:19], v[96:97], v[24:25], v[16:19]
	s_waitcnt lgkmcnt(2)
	v_perm_b32 v96, v37, v22, s56
	s_waitcnt lgkmcnt(0)
	v_perm_b32 v97, v91, v83, s56
	ds_read_u16 v22, v115 offset:6976
	ds_read_u16 v37, v115 offset:7120
	;; [unrolled: 1-line block ×4, first 2 shown]
	v_cvt_f16_f32_e32 v16, v16
	v_cvt_f16_f32_e32 v17, v17
	;; [unrolled: 1-line block ×4, first 2 shown]
	v_cvt_f32_f16_e32 v16, v16
	v_cvt_f32_f16_e32 v17, v17
	v_cvt_f32_f16_e32 v18, v18
	v_cvt_f32_f16_e32 v19, v19
	v_cvt_f32_f16_e32 v104, v23
	v_cvt_f32_f16_sdwa v105, v23 dst_sel:DWORD dst_unused:UNUSED_PAD src0_sel:WORD_1
	v_mfma_f32_16x16x16_f16 v[16:19], v[96:97], v[26:27], v[16:19]
	s_waitcnt lgkmcnt(0)
	v_perm_b32 v97, v91, v83, s56
	v_perm_b32 v96, v37, v22, s56
	ds_read_u16 v22, v115 offset:96
	ds_read_u16 v37, v115 offset:240
	;; [unrolled: 1-line block ×4, first 2 shown]
	s_nop 0
	v_cvt_f16_f32_e32 v16, v16
	v_cvt_f16_f32_e32 v17, v17
	;; [unrolled: 1-line block ×4, first 2 shown]
	s_waitcnt lgkmcnt(0)
	v_perm_b32 v23, v91, v83, s56
	v_perm_b32 v22, v37, v22, s56
	v_cvt_f32_f16_e32 v16, v16
	v_cvt_f32_f16_e32 v17, v17
	;; [unrolled: 1-line block ×5, first 2 shown]
	v_cvt_f32_f16_sdwa v103, v94 dst_sel:DWORD dst_unused:UNUSED_PAD src0_sel:WORD_1
	v_mfma_f32_16x16x16_f16 v[16:19], v[96:97], v[20:21], v[16:19]
	v_cvt_pk_f16_f32 v125, v14, v15
	v_mfma_f32_16x16x16_f16 v[94:97], v[22:23], v[80:81], v[102:105]
	ds_read_u16 v81, v115 offset:2400
	ds_read_u16 v83, v115 offset:2544
	;; [unrolled: 1-line block ×4, first 2 shown]
	s_nop 1
	v_cvt_pk_f16_f32 v124, v16, v17
	v_cvt_pk_f16_f32 v123, v18, v19
	v_cvt_f16_f32_e32 v22, v94
	v_cvt_f16_f32_e32 v23, v95
	;; [unrolled: 1-line block ×4, first 2 shown]
	v_cvt_f32_f16_e32 v94, v22
	v_cvt_f32_f16_e32 v95, v23
	s_waitcnt lgkmcnt(0)
	v_perm_b32 v23, v98, v91, s56
	v_perm_b32 v22, v83, v81, s56
	v_cvt_f32_f16_e32 v96, v37
	v_cvt_f32_f16_e32 v97, v80
	ds_read_u16 v37, v115 offset:4704
	ds_read_u16 v80, v115 offset:4848
	;; [unrolled: 1-line block ×4, first 2 shown]
	v_mfma_f32_16x16x16_f16 v[22:25], v[22:23], v[24:25], v[94:97]
	s_waitcnt lgkmcnt(2)
	v_perm_b32 v80, v80, v37, s56
	s_waitcnt lgkmcnt(0)
	v_perm_b32 v81, v83, v81, s56
	v_cvt_pk_f16_f32 v94, v8, v9
	s_nop 2
	v_cvt_f16_f32_e32 v22, v22
	v_cvt_f16_f32_e32 v23, v23
	;; [unrolled: 1-line block ×4, first 2 shown]
	v_cvt_f32_f16_e32 v22, v22
	v_cvt_f32_f16_e32 v23, v23
	;; [unrolled: 1-line block ×4, first 2 shown]
	v_cvt_pk_f16_f32 v98, v10, v11
	v_cvt_pk_f16_f32 v96, v12, v13
	v_mfma_f32_16x16x16_f16 v[24:27], v[80:81], v[26:27], v[22:25]
	s_nop 2
	ds_read_u16 v22, v115 offset:7008
	ds_read_u16 v23, v115 offset:7152
	;; [unrolled: 1-line block ×4, first 2 shown]
	s_waitcnt lgkmcnt(0)
	s_barrier
	v_cvt_f16_f32_e32 v24, v24
	v_cvt_f16_f32_e32 v25, v25
	;; [unrolled: 1-line block ×4, first 2 shown]
	v_perm_b32 v81, v80, v37, s56
	v_perm_b32 v80, v23, v22, s56
	v_cvt_f32_f16_e32 v24, v24
	v_cvt_f32_f16_e32 v25, v25
	;; [unrolled: 1-line block ×4, first 2 shown]
	s_nop 1
	v_mfma_f32_16x16x16_f16 v[20:23], v[80:81], v[20:21], v[24:27]
	s_nop 7
	v_cvt_pk_f16_f32 v81, v20, v21
	v_cvt_pk_f16_f32 v80, v22, v23
	s_cbranch_vccz .LBB0_322
; %bb.320:                              ;   in Loop: Header=BB0_307 Depth=1
	v_mov_b32_e32 v24, v39
	v_mov_b32_e32 v25, v99
	s_branch .LBB0_307
.LBB0_321:
	v_mov_b32_e32 v99, 0xfeffffff
	v_mov_b32_e32 v39, 0
	;; [unrolled: 1-line block ×10, first 2 shown]
	v_mbcnt_lo_u32_b32 v52, -1, 0
	s_branch .LBB0_323
.LBB0_322:
	scratch_load_dword v69, off, off offset:348 ; 4-byte Folded Reload
	scratch_load_dword v95, off, off offset:16 ; 4-byte Folded Reload
	;; [unrolled: 1-line block ×14, first 2 shown]
	v_mbcnt_lo_u32_b32 v52, -1, 0
	v_and_b32_e32 v106, 15, v88
	v_lshrrev_b32_e32 v74, 2, v88
	v_lshlrev_b32_e32 v14, 2, v88
.LBB0_323:
	s_lshl_b32 s42, s58, 6
	v_readlane_b32 s0, v126, 4
	s_sub_i32 s44, s0, s42
	v_readlane_b32 s1, v126, 5
	s_cmp_lg_u64 s[38:39], 0
	s_cselect_b64 s[0:1], -1, 0
	s_ashr_i32 s43, s42, 31
	s_cmp_eq_u64 s[38:39], 0
	s_cbranch_scc1 .LBB0_357
; %bb.324:
	s_lshl_b64 s[4:5], s[42:43], 1
	s_add_u32 s4, s38, s4
	s_addc_u32 s5, s39, s5
	v_mov_b32_e32 v29, 0
	v_cmp_gt_i32_e32 vcc, s44, v88
	v_lshl_add_u64 v[8:9], s[4:5], 0, v[28:29]
	v_mov_b32_e32 v11, 0
	s_and_saveexec_b64 s[4:5], vcc
	s_cbranch_execz .LBB0_326
; %bb.325:
	s_waitcnt vmcnt(13)
	v_add_u32_e32 v10, s41, v69
	v_mul_hi_u32 v11, s2, v10
	v_add_u32_e32 v11, v10, v11
	v_lshrrev_b32_e32 v11, s3, v11
	v_mul_lo_u32 v11, v11, s92
	v_sub_u32_e32 v10, v10, v11
	v_mad_i64_i32 v[10:11], s[6:7], v10, s80, 0
	v_lshl_add_u64 v[10:11], v[10:11], 1, v[8:9]
	global_load_ushort v11, v[10:11], off
.LBB0_326:
	s_or_b64 exec, exec, s[4:5]
	s_movk_i32 s4, 0x90
	s_waitcnt vmcnt(13)
	v_mad_u32_u24 v10, v69, s4, 0
	v_lshl_add_u32 v12, v88, 1, v10
	s_waitcnt vmcnt(0)
	ds_write_b16 v12, v11 offset:9216
	s_and_saveexec_b64 s[4:5], vcc
	s_cbranch_execz .LBB0_328
; %bb.327:
	v_add3_u32 v11, v69, s41, 4
	v_mul_hi_u32 v12, s2, v11
	v_add_u32_e32 v12, v11, v12
	v_lshrrev_b32_e32 v12, s3, v12
	v_mul_lo_u32 v12, v12, s92
	v_sub_u32_e32 v11, v11, v12
	v_mad_i64_i32 v[12:13], s[6:7], v11, s80, 0
	v_lshl_add_u64 v[12:13], v[12:13], 1, v[8:9]
	global_load_ushort v29, v[12:13], off
.LBB0_328:
	s_or_b64 exec, exec, s[4:5]
	v_add_u32_e32 v11, 0x240, v10
	v_lshl_add_u32 v10, v88, 1, v11
	s_waitcnt vmcnt(0)
	ds_write_b16 v10, v29 offset:9216
	v_mov_b32_e32 v10, 0
	v_mov_b32_e32 v12, 0
	s_and_saveexec_b64 s[4:5], vcc
	s_cbranch_execz .LBB0_330
; %bb.329:
	v_add3_u32 v12, v69, s41, 8
	v_mul_hi_u32 v13, s2, v12
	v_add_u32_e32 v13, v12, v13
	v_lshrrev_b32_e32 v13, s3, v13
	v_mul_lo_u32 v13, v13, s92
	v_sub_u32_e32 v12, v12, v13
	v_mad_i64_i32 v[12:13], s[6:7], v12, s80, 0
	v_lshl_add_u64 v[12:13], v[12:13], 1, v[8:9]
	global_load_ushort v12, v[12:13], off
.LBB0_330:
	s_or_b64 exec, exec, s[4:5]
	v_add_u32_e32 v11, 0x240, v11
	v_lshl_add_u32 v13, v88, 1, v11
	s_waitcnt vmcnt(0)
	ds_write_b16 v13, v12 offset:9216
	s_and_saveexec_b64 s[4:5], vcc
	s_cbranch_execz .LBB0_332
; %bb.331:
	v_add3_u32 v10, v69, s41, 12
	v_mul_hi_u32 v12, s2, v10
	v_add_u32_e32 v12, v10, v12
	v_lshrrev_b32_e32 v12, s3, v12
	v_mul_lo_u32 v12, v12, s92
	v_sub_u32_e32 v10, v10, v12
	v_mad_i64_i32 v[12:13], s[6:7], v10, s80, 0
	v_lshl_add_u64 v[12:13], v[12:13], 1, v[8:9]
	global_load_ushort v10, v[12:13], off
.LBB0_332:
	s_or_b64 exec, exec, s[4:5]
	v_add_u32_e32 v11, 0x240, v11
	v_lshl_add_u32 v12, v88, 1, v11
	s_waitcnt vmcnt(0)
	ds_write_b16 v12, v10 offset:9216
	v_mov_b32_e32 v10, 0
	v_mov_b32_e32 v12, 0
	s_and_saveexec_b64 s[4:5], vcc
	s_cbranch_execz .LBB0_334
; %bb.333:
	v_add3_u32 v12, v69, s41, 16
	v_mul_hi_u32 v13, s2, v12
	v_add_u32_e32 v13, v12, v13
	v_lshrrev_b32_e32 v13, s3, v13
	v_mul_lo_u32 v13, v13, s92
	v_sub_u32_e32 v12, v12, v13
	v_mad_i64_i32 v[12:13], s[6:7], v12, s80, 0
	v_lshl_add_u64 v[12:13], v[12:13], 1, v[8:9]
	global_load_ushort v12, v[12:13], off
.LBB0_334:
	s_or_b64 exec, exec, s[4:5]
	v_add_u32_e32 v11, 0x240, v11
	;; [unrolled: 38-line block ×7, first 2 shown]
	v_lshl_add_u32 v11, v88, 1, v11
	s_waitcnt vmcnt(0)
	ds_write_b16 v11, v12 offset:9216
	s_and_saveexec_b64 s[4:5], vcc
	s_cbranch_execz .LBB0_356
; %bb.355:
	v_add3_u32 v10, v69, s41, 60
	v_mul_hi_u32 v12, s2, v10
	v_add_u32_e32 v12, v10, v12
	v_lshrrev_b32_e32 v12, s3, v12
	v_mul_lo_u32 v12, v12, s92
	v_sub_u32_e32 v10, v10, v12
	v_mad_i64_i32 v[12:13], s[2:3], v10, s80, 0
	v_lshl_add_u64 v[8:9], v[12:13], 1, v[8:9]
	global_load_ushort v10, v[8:9], off
.LBB0_356:
	s_or_b64 exec, exec, s[4:5]
	s_waitcnt vmcnt(0)
	ds_write_b16 v11, v10 offset:9792
.LBB0_357:
	s_mul_hi_i32 s5, s42, s90
	s_mul_i32 s4, s42, s90
	s_lshl_b64 s[4:5], s[4:5], 2
	s_add_u32 s4, s50, s4
	v_and_b32_e32 v8, 28, v14
	v_mul_lo_u32 v14, s90, v93
	s_addc_u32 s5, s51, s5
	v_ashrrev_i32_e32 v15, 31, v14
	s_mov_b64 s[2:3], src_private_base
	v_mov_b32_e32 v9, 0
	v_lshlrev_b32_e32 v8, 2, v8
	v_lshl_add_u64 v[10:11], v[14:15], 2, s[4:5]
	v_lshl_add_u64 v[10:11], v[10:11], 0, v[8:9]
	v_mov_b32_e32 v16, s3
	v_cmp_gt_i32_e64 s[30:31], s44, v93
	v_mov_b32_e32 v17, 0
	v_mov_b32_e32 v18, v9
	;; [unrolled: 1-line block ×5, first 2 shown]
	v_cndmask_b32_e64 v11, v16, v11, s[30:31]
	v_cndmask_b32_e64 v10, v17, v10, s[30:31]
	scratch_store_dwordx4 off, v[18:21], off
	flat_load_dwordx4 v[10:13], v[10:11]
	v_mul_u32_u24_e32 v15, 0x90, v93
	v_lshl_add_u32 v14, s90, 5, v14
	v_add3_u32 v37, 0, v15, v8
	v_ashrrev_i32_e32 v15, 31, v14
	v_add_u32_e32 v18, 32, v93
	v_lshl_add_u64 v[14:15], v[14:15], 2, s[4:5]
	v_lshl_add_u64 v[14:15], v[14:15], 0, v[8:9]
	v_cmp_gt_i32_e64 s[28:29], s44, v18
	s_waitcnt vmcnt(0)
	v_add3_u32 v9, 0, v22, v112
	v_add_u32_e32 v34, 0x800, v9
	v_cndmask_b32_e64 v15, v16, v15, s[28:29]
	v_cndmask_b32_e64 v14, v17, v14, s[28:29]
	v_add_u32_e32 v35, 0x1000, v9
	v_add_u32_e32 v48, 0x1800, v9
	s_movk_i32 s2, 0x90
	s_and_b64 vcc, exec, s[0:1]
	s_waitcnt lgkmcnt(0)
	ds_write_b128 v37, v[10:13]
	flat_load_dwordx4 v[10:13], v[14:15]
	s_waitcnt vmcnt(0) lgkmcnt(0)
	ds_write_b128 v37, v[10:13] offset:4608
	s_waitcnt lgkmcnt(0)
	s_barrier
	ds_read2_b64 v[10:13], v9 offset1:4
	ds_read2_b64 v[18:21], v34 offset0:32 offset1:36
	ds_read2_b64 v[26:29], v35 offset0:64 offset1:68
	;; [unrolled: 1-line block ×3, first 2 shown]
	s_waitcnt lgkmcnt(3)
	v_mfma_f32_16x16x16_f16 v[14:17], v[10:11], v[4:5], 0
	ds_read2_b64 v[48:51], v48 offset0:104 offset1:108
	s_waitcnt lgkmcnt(3)
	v_mfma_f32_16x16x16_f16 v[22:25], v[18:19], v[4:5], 0
	s_waitcnt lgkmcnt(2)
	v_mfma_f32_16x16x16_f16 v[30:33], v[26:27], v[4:5], 0
	v_mfma_f32_16x16x16_f16 v[10:13], v[12:13], v[6:7], v[14:17]
	;; [unrolled: 1-line block ×4, first 2 shown]
	s_nop 2
	ds_read2_b64 v[22:25], v9 offset0:8 offset1:12
	ds_read2_b64 v[26:29], v34 offset0:40 offset1:44
	v_and_b32_e32 v9, 0xfc, v74
	ds_read2_b64 v[30:33], v35 offset0:72 offset1:76
	s_waitcnt lgkmcnt(4)
	v_mfma_f32_16x16x16_f16 v[44:47], v[40:41], v[4:5], 0
	v_add_u32_e32 v40, 18, v9
	s_waitcnt lgkmcnt(0)
	s_barrier
	v_mfma_f32_16x16x16_f16 v[4:7], v[42:43], v[6:7], v[44:47]
	v_add_u32_e32 v42, 32, v9
	v_add_u32_e32 v43, 34, v9
	v_mfma_f32_16x16x16_f16 v[10:13], v[22:23], v[0:1], v[10:13]
	v_mfma_f32_16x16x16_f16 v[14:17], v[26:27], v[0:1], v[14:17]
	;; [unrolled: 1-line block ×6, first 2 shown]
	s_nop 2
	v_add_u32_e32 v11, 16, v9
	v_mfma_f32_16x16x16_f16 v[28:31], v[32:33], v[2:3], v[44:47]
	v_mfma_f32_16x16x16_f16 v[32:35], v[50:51], v[2:3], v[4:7]
	s_nop 1
	v_add_u32_e32 v46, 48, v9
	v_add_u32_e32 v47, 50, v9
	s_cbranch_vccz .LBB0_365
; %bb.358:
	v_mad_u32_u24 v16, v76, s2, 0
	v_add_u32_e32 v1, v16, v75
	v_add_u32_e32 v41, 16, v9
	ds_read_b32 v3, v1 offset:9216
	v_lshlrev_b32_e32 v1, 1, v41
	s_movk_i32 s0, 0x2400
	v_add_u32_e32 v10, 32, v9
	v_lshl_add_u32 v0, v9, 1, v16
	v_add3_u32 v1, v16, v1, s0
	v_lshlrev_b32_e32 v2, 1, v10
	v_add3_u32 v2, v16, v2, s0
	ds_read_b32 v5, v0 offset:9216
	ds_read2_b32 v[0:1], v1 offset1:1
	ds_read2_b32 v[12:13], v2 offset1:1
	v_add_u32_e32 v44, 48, v9
	s_waitcnt lgkmcnt(3)
	v_cvt_f32_f16_e32 v2, v3
	s_waitcnt lgkmcnt(2)
	v_cvt_f32_f16_e32 v4, v5
	v_cvt_f32_f16_sdwa v5, v5 dst_sel:DWORD dst_unused:UNUSED_PAD src0_sel:WORD_1
	s_waitcnt lgkmcnt(1)
	v_cvt_f32_f16_e32 v14, v0
	v_cvt_f32_f16_sdwa v15, v0 dst_sel:DWORD dst_unused:UNUSED_PAD src0_sel:WORD_1
	v_cvt_f32_f16_e32 v6, v1
	v_cvt_f32_f16_sdwa v7, v1 dst_sel:DWORD dst_unused:UNUSED_PAD src0_sel:WORD_1
	v_pk_fma_f32 v[0:1], v[38:39], v[4:5], v[20:21] op_sel_hi:[0,1,1]
	v_pk_fma_f32 v[4:5], v[38:39], v[14:15], v[24:25] op_sel_hi:[0,1,1]
	s_waitcnt lgkmcnt(0)
	v_cvt_f32_f16_e32 v14, v13
	v_cvt_f32_f16_sdwa v15, v13 dst_sel:DWORD dst_unused:UNUSED_PAD src0_sel:WORD_1
	v_lshlrev_b32_e32 v13, 1, v44
	v_add3_u32 v13, v16, v13, s0
	ds_read2_b32 v[16:17], v13 offset1:1
	v_cvt_f32_f16_sdwa v3, v3 dst_sel:DWORD dst_unused:UNUSED_PAD src0_sel:WORD_1
	v_cvt_f32_f16_e32 v50, v12
	v_cvt_f32_f16_sdwa v51, v12 dst_sel:DWORD dst_unused:UNUSED_PAD src0_sel:WORD_1
	v_pk_fma_f32 v[18:19], v[38:39], v[14:15], v[30:31] op_sel_hi:[0,1,1]
	s_waitcnt lgkmcnt(0)
	v_cvt_f32_f16_e32 v12, v16
	v_cvt_f32_f16_e32 v14, v17
	v_cvt_f32_f16_sdwa v15, v17 dst_sel:DWORD dst_unused:UNUSED_PAD src0_sel:WORD_1
	v_cvt_f32_f16_sdwa v13, v16 dst_sel:DWORD dst_unused:UNUSED_PAD src0_sel:WORD_1
	v_pk_fma_f32 v[2:3], v[38:39], v[2:3], v[22:23] op_sel_hi:[0,1,1]
	v_add_u32_e32 v48, 18, v9
	v_pk_fma_f32 v[6:7], v[38:39], v[6:7], v[26:27] op_sel_hi:[0,1,1]
	v_add_u32_e32 v49, 34, v9
	;; [unrolled: 2-line block ×3, first 2 shown]
	v_pk_fma_f32 v[14:15], v[38:39], v[14:15], v[34:35] op_sel_hi:[0,1,1]
	v_pk_fma_f32 v[12:13], v[38:39], v[12:13], v[32:33] op_sel_hi:[0,1,1]
	v_add_u32_e32 v38, 0x1200, v37
	s_cbranch_execnz .LBB0_360
.LBB0_359:
	s_nop 0
	v_mov_b64_e32 v[12:13], v[32:33]
	v_mov_b64_e32 v[16:17], v[28:29]
	;; [unrolled: 1-line block ×4, first 2 shown]
	v_mov_b32_e32 v45, v47
	v_mov_b32_e32 v44, v46
	;; [unrolled: 1-line block ×6, first 2 shown]
	v_mov_b64_e32 v[14:15], v[34:35]
	v_mov_b64_e32 v[18:19], v[30:31]
	;; [unrolled: 1-line block ×4, first 2 shown]
.LBB0_360:
	v_add_f32_e32 v11, 0x40051340, v0
	v_max_f32_e32 v20, v99, v99
	v_max_f32_e32 v11, v20, v11
	v_cmp_gt_u32_e64 s[34:35], s44, v9
	v_or_b32_e32 v20, 1, v9
	v_add_f32_e32 v21, 0x40051340, v1
	v_cndmask_b32_e64 v11, v99, v11, s[34:35]
	v_max_f32_e32 v22, v11, v11
	v_max_f32_e32 v21, v22, v21
	v_cmp_gt_u32_e64 s[26:27], s44, v20
	v_or_b32_e32 v20, 2, v9
	v_cmp_gt_u32_e64 s[22:23], s44, v20
	v_cndmask_b32_e64 v11, v11, v21, s[26:27]
	v_add_f32_e32 v21, 0x40051340, v2
	v_max_f32_e32 v22, v11, v11
	v_max_f32_e32 v21, v22, v21
	v_cndmask_b32_e64 v11, v11, v21, s[22:23]
	v_or_b32_e32 v20, 3, v74
	v_add_f32_e32 v21, 0x40051340, v3
	v_max_f32_e32 v22, v11, v11
	v_max_f32_e32 v21, v22, v21
	v_cmp_gt_u32_e64 s[24:25], s44, v20
	v_add_f32_e32 v20, 0x40051340, v4
	v_cmp_gt_u32_e64 s[20:21], s44, v41
	v_cndmask_b32_e64 v11, v11, v21, s[24:25]
	v_max_f32_e32 v21, v11, v11
	v_max_f32_e32 v20, v21, v20
	v_cndmask_b32_e64 v11, v11, v20, s[20:21]
	v_add_u32_e32 v20, 17, v9
	v_add_f32_e32 v21, 0x40051340, v5
	v_max_f32_e32 v22, v11, v11
	v_max_f32_e32 v21, v22, v21
	v_cmp_gt_u32_e64 s[18:19], s44, v20
	v_add_f32_e32 v20, 0x40051340, v6
	v_cmp_gt_u32_e64 s[16:17], s44, v48
	v_cndmask_b32_e64 v11, v11, v21, s[18:19]
	v_max_f32_e32 v21, v11, v11
	v_max_f32_e32 v20, v21, v20
	v_cndmask_b32_e64 v11, v11, v20, s[16:17]
	v_add_u32_e32 v20, 19, v9
	;; [unrolled: 11-line block ×6, first 2 shown]
	v_add_f32_e32 v11, 0x40051340, v15
	v_max_f32_e32 v20, v10, v10
	v_max_f32_e32 v11, v20, v11
	v_cmp_gt_u32_e32 vcc, s44, v9
	s_mov_b32 s44, 0x3fb8aa3b
	s_mov_b32 s41, 0xc2ce8ed0
	v_cndmask_b32_e32 v9, v10, v11, vcc
	v_mbcnt_hi_u32_b32 v10, -1, v52
	v_and_b32_e32 v11, 64, v10
	v_add_u32_e32 v11, 64, v11
	v_xor_b32_e32 v20, 32, v10
	v_cmp_lt_i32_e64 s[38:39], v20, v11
	s_mov_b32 s43, 0x42b17218
	v_mov_b32_e32 v23, 0x7f800000
	v_cndmask_b32_e64 v20, v10, v20, s[38:39]
	v_lshlrev_b32_e32 v21, 2, v20
	ds_bpermute_b32 v20, v21, v9
	v_max_f32_e32 v9, v9, v9
	s_mov_b64 s[2:3], src_private_base
	s_mov_b32 s2, 0
	v_mov_b32_e32 v35, 0
	s_waitcnt lgkmcnt(0)
	v_max_f32_e32 v20, v20, v20
	v_max_f32_e32 v9, v9, v20
	v_xor_b32_e32 v20, 16, v10
	v_cmp_lt_i32_e64 s[38:39], v20, v11
	s_nop 1
	v_cndmask_b32_e64 v10, v10, v20, s[38:39]
	v_lshlrev_b32_e32 v24, 2, v10
	ds_bpermute_b32 v10, v24, v9
	s_waitcnt lgkmcnt(0)
	v_max_f32_e32 v10, v10, v10
	v_max_f32_e32 v20, v9, v10
	v_sub_f32_e32 v0, v0, v20
	v_mul_f32_e32 v9, 0x3fb8aa3b, v0
	v_fma_f32 v10, v0, s44, -v9
	v_rndne_f32_e32 v11, v9
	v_fmac_f32_e32 v10, 0x32a5705f, v0
	v_sub_f32_e32 v9, v9, v11
	v_add_f32_e32 v9, v9, v10
	v_exp_f32_e32 v9, v9
	v_cvt_i32_f32_e32 v10, v11
	v_sub_f32_e32 v1, v1, v20
	v_cmp_ngt_f32_e64 s[38:39], s41, v0
	v_sub_f32_e32 v2, v2, v20
	v_ldexp_f32 v9, v9, v10
	v_mul_f32_e32 v10, 0x3fb8aa3b, v1
	v_fma_f32 v11, v1, s44, -v10
	v_rndne_f32_e32 v22, v10
	v_fmac_f32_e32 v11, 0x32a5705f, v1
	v_sub_f32_e32 v10, v10, v22
	v_add_f32_e32 v10, v10, v11
	v_exp_f32_e32 v10, v10
	v_cvt_i32_f32_e32 v11, v22
	v_cndmask_b32_e64 v9, 0, v9, s[38:39]
	v_cmp_nlt_f32_e64 s[38:39], s43, v0
	v_sub_f32_e32 v3, v3, v20
	v_sub_f32_e32 v4, v4, v20
	v_cndmask_b32_e64 v0, v23, v9, s[38:39]
	v_ldexp_f32 v9, v10, v11
	v_mul_f32_e32 v10, 0x3fb8aa3b, v2
	v_fma_f32 v11, v2, s44, -v10
	v_rndne_f32_e32 v22, v10
	v_fmac_f32_e32 v11, 0x32a5705f, v2
	v_sub_f32_e32 v10, v10, v22
	v_add_f32_e32 v10, v10, v11
	v_exp_f32_e32 v10, v10
	v_cvt_i32_f32_e32 v11, v22
	v_cndmask_b32_e64 v0, 0, v0, s[34:35]
	v_cmp_ngt_f32_e64 s[34:35], s41, v1
	v_sub_f32_e32 v5, v5, v20
	v_sub_f32_e32 v6, v6, v20
	v_cndmask_b32_e64 v9, 0, v9, s[34:35]
	v_cmp_nlt_f32_e64 s[34:35], s43, v1
	v_sub_f32_e32 v12, v12, v20
	v_sub_f32_e32 v13, v13, v20
	v_cndmask_b32_e64 v25, v23, v9, s[34:35]
	v_ldexp_f32 v9, v10, v11
	v_mul_f32_e32 v10, 0x3fb8aa3b, v3
	v_fma_f32 v11, v3, s44, -v10
	v_rndne_f32_e32 v22, v10
	v_fmac_f32_e32 v11, 0x32a5705f, v3
	v_sub_f32_e32 v10, v10, v22
	v_add_f32_e32 v10, v10, v11
	v_exp_f32_e32 v10, v10
	v_cvt_i32_f32_e32 v11, v22
	v_cmp_ngt_f32_e64 s[34:35], s41, v2
	v_sub_f32_e32 v14, v14, v20
	v_mov_b32_e32 v1, s2
	v_cndmask_b32_e64 v9, 0, v9, s[34:35]
	v_cmp_nlt_f32_e64 s[34:35], s43, v2
	v_mov_b32_e32 v2, s2
	v_cndmask_b32_e64 v1, v1, v25, s[26:27]
	v_cndmask_b32_e64 v26, v23, v9, s[34:35]
	v_ldexp_f32 v9, v10, v11
	v_mul_f32_e32 v10, 0x3fb8aa3b, v4
	v_fma_f32 v11, v4, s44, -v10
	v_rndne_f32_e32 v22, v10
	v_fmac_f32_e32 v11, 0x32a5705f, v4
	v_sub_f32_e32 v10, v10, v22
	v_add_f32_e32 v10, v10, v11
	v_exp_f32_e32 v10, v10
	v_cvt_i32_f32_e32 v11, v22
	v_cmp_ngt_f32_e64 s[34:35], s41, v3
	v_cndmask_b32_e64 v2, v2, v26, s[22:23]
	s_nop 0
	v_cndmask_b32_e64 v9, 0, v9, s[34:35]
	v_cmp_nlt_f32_e64 s[34:35], s43, v3
	v_mov_b32_e32 v3, s2
	s_nop 0
	v_cndmask_b32_e64 v27, v23, v9, s[34:35]
	v_mul_f32_e32 v9, 0x3fb8aa3b, v5
	v_cndmask_b32_e64 v22, v3, v27, s[24:25]
	v_ldexp_f32 v3, v10, v11
	v_fma_f32 v10, v5, s44, -v9
	v_rndne_f32_e32 v11, v9
	v_fmac_f32_e32 v10, 0x32a5705f, v5
	v_sub_f32_e32 v9, v9, v11
	v_add_f32_e32 v9, v9, v10
	v_exp_f32_e32 v9, v9
	v_cvt_i32_f32_e32 v10, v11
	v_cmp_ngt_f32_e64 s[34:35], s41, v4
	s_nop 1
	v_cndmask_b32_e64 v3, 0, v3, s[34:35]
	v_cmp_nlt_f32_e64 s[34:35], s43, v4
	v_mov_b32_e32 v4, s2
	s_nop 0
	v_cndmask_b32_e64 v28, v23, v3, s[34:35]
	v_ldexp_f32 v3, v9, v10
	v_mul_f32_e32 v9, 0x3fb8aa3b, v6
	v_fma_f32 v10, v6, s44, -v9
	v_rndne_f32_e32 v11, v9
	v_fmac_f32_e32 v10, 0x32a5705f, v6
	v_sub_f32_e32 v9, v9, v11
	v_add_f32_e32 v9, v9, v10
	v_exp_f32_e32 v9, v9
	v_cvt_i32_f32_e32 v10, v11
	v_cmp_ngt_f32_e64 s[34:35], s41, v5
	v_cndmask_b32_e64 v4, v4, v28, s[20:21]
	s_nop 0
	v_cndmask_b32_e64 v3, 0, v3, s[34:35]
	v_cmp_nlt_f32_e64 s[34:35], s43, v5
	v_ldexp_f32 v5, v9, v10
	s_nop 0
	v_cndmask_b32_e64 v29, v23, v3, s[34:35]
	v_cmp_ngt_f32_e64 s[34:35], s41, v6
	v_mov_b32_e32 v3, s2
	v_cndmask_b32_e64 v3, v3, v29, s[18:19]
	v_cndmask_b32_e64 v9, 0, v5, s[34:35]
	v_sub_f32_e32 v5, v7, v20
	v_mul_f32_e32 v7, 0x3fb8aa3b, v5
	v_fma_f32 v10, v5, s44, -v7
	v_rndne_f32_e32 v11, v7
	v_fmac_f32_e32 v10, 0x32a5705f, v5
	v_sub_f32_e32 v7, v7, v11
	v_add_f32_e32 v7, v7, v10
	v_exp_f32_e32 v7, v7
	v_cvt_i32_f32_e32 v10, v11
	v_cmp_nlt_f32_e64 s[34:35], s43, v6
	v_mov_b32_e32 v6, s2
	v_ldexp_f32 v7, v7, v10
	v_cndmask_b32_e64 v30, v23, v9, s[34:35]
	v_cmp_ngt_f32_e64 s[34:35], s41, v5
	v_mul_lo_u32 v10, s94, v93
	v_ashrrev_i32_e32 v11, 31, v10
	v_cndmask_b32_e64 v31, 0, v7, s[34:35]
	s_mul_hi_i32 s35, s42, s94
	s_mul_i32 s34, s42, s94
	s_lshl_b64 s[34:35], s[34:35], 2
	s_add_u32 s34, s33, s34
	s_addc_u32 s35, s40, s35
	v_lshl_add_u64 v[32:33], v[10:11], 2, s[34:35]
	v_lshl_add_u32 v10, s94, 5, v10
	v_ashrrev_i32_e32 v11, 31, v10
	v_mov_b32_e32 v9, 0
	v_lshl_add_u64 v[10:11], v[10:11], 2, s[34:35]
	v_sub_f32_e32 v7, v16, v20
	v_lshl_add_u64 v[32:33], v[32:33], 0, v[8:9]
	v_mov_b32_e32 v16, s3
	v_lshl_add_u64 v[40:41], v[10:11], 0, v[8:9]
	v_mov_b32_e32 v8, v9
	v_mov_b32_e32 v10, v9
	;; [unrolled: 1-line block ×3, first 2 shown]
	v_cndmask_b32_e64 v33, v16, v33, s[30:31]
	v_cndmask_b32_e64 v32, v35, v32, s[30:31]
	scratch_store_dwordx4 off, v[8:11], off
	flat_load_dwordx4 v[44:47], v[32:33]
	v_cmp_nlt_f32_e64 s[30:31], s43, v5
	v_mul_f32_e32 v8, 0x3fb8aa3b, v7
	v_fma_f32 v9, v7, s44, -v8
	v_rndne_f32_e32 v10, v8
	v_fmac_f32_e32 v9, 0x32a5705f, v7
	v_sub_f32_e32 v8, v8, v10
	v_add_f32_e32 v8, v8, v9
	v_exp_f32_e32 v8, v8
	v_cvt_i32_f32_e32 v9, v10
	v_cndmask_b32_e64 v11, v23, v31, s[30:31]
	v_mov_b32_e32 v5, s2
	v_cndmask_b32_e64 v43, v5, v11, s[12:13]
	v_ldexp_f32 v5, v8, v9
	v_sub_f32_e32 v9, v17, v20
	v_mul_f32_e32 v8, 0x3fb8aa3b, v9
	v_fma_f32 v10, v9, s44, -v8
	v_rndne_f32_e32 v17, v8
	v_fmac_f32_e32 v10, 0x32a5705f, v9
	v_sub_f32_e32 v8, v8, v17
	v_add_f32_e32 v8, v8, v10
	v_exp_f32_e32 v10, v8
	v_cvt_i32_f32_e32 v17, v17
	v_cmp_ngt_f32_e64 s[30:31], s41, v7
	s_mov_b32 s3, 0xc1a00000
	v_cndmask_b32_e64 v6, v6, v30, s[16:17]
	v_cndmask_b32_e64 v5, 0, v5, s[30:31]
	v_cmp_nlt_f32_e64 s[30:31], s43, v7
	v_sub_f32_e32 v7, v18, v20
	v_mov_b32_e32 v8, s2
	v_cndmask_b32_e64 v31, v23, v5, s[30:31]
	v_ldexp_f32 v5, v10, v17
	v_mul_f32_e32 v10, 0x3fb8aa3b, v7
	v_fma_f32 v17, v7, s44, -v10
	v_rndne_f32_e32 v18, v10
	v_fmac_f32_e32 v17, 0x32a5705f, v7
	v_sub_f32_e32 v10, v10, v18
	v_add_f32_e32 v10, v10, v17
	v_exp_f32_e32 v10, v10
	v_cvt_i32_f32_e32 v17, v18
	v_cmp_ngt_f32_e64 s[30:31], s41, v9
	v_cndmask_b32_e64 v8, v8, v31, s[14:15]
	s_waitcnt vmcnt(0) lgkmcnt(0)
	ds_write_b128 v37, v[44:47]
	v_cndmask_b32_e64 v5, 0, v5, s[30:31]
	v_cmp_nlt_f32_e64 s[30:31], s43, v9
	v_ldexp_f32 v9, v10, v17
	v_sub_f32_e32 v17, v19, v20
	v_mul_f32_e32 v10, 0x3fb8aa3b, v17
	v_fma_f32 v18, v17, s44, -v10
	v_rndne_f32_e32 v19, v10
	v_fmac_f32_e32 v18, 0x32a5705f, v17
	v_sub_f32_e32 v10, v10, v19
	v_add_f32_e32 v10, v10, v18
	v_exp_f32_e32 v18, v10
	v_cvt_i32_f32_e32 v19, v19
	v_cndmask_b32_e64 v32, v23, v5, s[30:31]
	v_cmp_ngt_f32_e64 s[30:31], s41, v7
	v_mov_b32_e32 v5, s2
	v_mov_b32_e32 v10, s2
	v_cndmask_b32_e64 v9, 0, v9, s[30:31]
	v_cmp_nlt_f32_e64 s[30:31], s43, v7
	v_ldexp_f32 v7, v18, v19
	v_cndmask_b32_e64 v5, v5, v32, s[10:11]
	v_cndmask_b32_e64 v34, v23, v9, s[30:31]
	v_cmp_ngt_f32_e64 s[30:31], s41, v17
	v_mul_f32_e32 v9, 0x3fb8aa3b, v12
	v_fma_f32 v18, v12, s44, -v9
	v_cndmask_b32_e64 v7, 0, v7, s[30:31]
	v_cmp_nlt_f32_e64 s[30:31], s43, v17
	v_cndmask_b32_e64 v17, v16, v41, s[28:29]
	v_cndmask_b32_e64 v16, v35, v40, s[28:29]
	flat_load_dwordx4 v[44:47], v[16:17]
	v_rndne_f32_e32 v19, v9
	v_fmac_f32_e32 v18, 0x32a5705f, v12
	v_sub_f32_e32 v9, v9, v19
	v_add_f32_e32 v9, v9, v18
	v_exp_f32_e32 v18, v9
	v_cvt_i32_f32_e32 v19, v19
	v_cndmask_b32_e64 v33, v23, v7, s[30:31]
	v_mov_b32_e32 v7, s2
	v_mul_f32_e32 v16, 0x3fb8aa3b, v13
	v_cndmask_b32_e64 v9, v7, v33, s[6:7]
	v_ldexp_f32 v7, v18, v19
	v_fma_f32 v17, v13, s44, -v16
	v_rndne_f32_e32 v18, v16
	v_fmac_f32_e32 v17, 0x32a5705f, v13
	v_sub_f32_e32 v16, v16, v18
	v_add_f32_e32 v16, v16, v17
	v_exp_f32_e32 v16, v16
	v_cvt_i32_f32_e32 v17, v18
	v_cmp_ngt_f32_e64 s[28:29], s41, v12
	v_cndmask_b32_e64 v10, v10, v34, s[8:9]
	s_waitcnt vmcnt(0) lgkmcnt(0)
	ds_write_b128 v38, v[44:47]
	v_cndmask_b32_e64 v7, 0, v7, s[28:29]
	v_cmp_nlt_f32_e64 s[28:29], s43, v12
	s_waitcnt lgkmcnt(0)
	s_barrier
	v_cndmask_b32_e64 v37, v23, v7, s[28:29]
	v_ldexp_f32 v7, v16, v17
	v_mul_f32_e32 v16, 0x3fb8aa3b, v14
	v_fma_f32 v17, v14, s44, -v16
	v_rndne_f32_e32 v18, v16
	v_fmac_f32_e32 v17, 0x32a5705f, v14
	v_sub_f32_e32 v16, v16, v18
	v_add_f32_e32 v16, v16, v17
	v_exp_f32_e32 v16, v16
	v_cvt_i32_f32_e32 v17, v18
	v_cmp_ngt_f32_e64 s[28:29], s41, v13
	v_mov_b32_e32 v12, s2
	s_nop 0
	v_cndmask_b32_e64 v7, 0, v7, s[28:29]
	v_cmp_nlt_f32_e64 s[28:29], s43, v13
	v_ldexp_f32 v13, v16, v17
	v_sub_f32_e32 v17, v99, v20
	v_cndmask_b32_e64 v40, v23, v7, s[28:29]
	v_cmp_ngt_f32_e64 s[28:29], s41, v14
	v_mov_b32_e32 v7, s2
	v_cndmask_b32_e64 v12, v12, v37, s[36:37]
	v_cndmask_b32_e64 v13, 0, v13, s[28:29]
	v_cmp_nlt_f32_e64 s[28:29], s43, v14
	v_cndmask_b32_e64 v7, v7, v40, s[4:5]
	s_nop 0
	v_cndmask_b32_e64 v35, v23, v13, s[28:29]
	v_sub_f32_e32 v13, v15, v20
	v_mul_f32_e32 v14, 0x3fb8aa3b, v13
	v_fma_f32 v15, v13, s44, -v14
	v_rndne_f32_e32 v16, v14
	v_fmac_f32_e32 v15, 0x32a5705f, v13
	v_sub_f32_e32 v14, v14, v16
	v_add_f32_e32 v14, v14, v15
	v_exp_f32_e32 v15, v14
	v_mul_f32_e32 v14, 0x3fb8aa3b, v17
	v_fma_f32 v18, v17, s44, -v14
	v_rndne_f32_e32 v19, v14
	v_fmac_f32_e32 v18, 0x32a5705f, v17
	v_sub_f32_e32 v14, v14, v19
	v_add_f32_e32 v14, v14, v18
	v_cvt_i32_f32_e32 v16, v16
	v_exp_f32_e32 v18, v14
	v_cvt_i32_f32_e32 v19, v19
	v_cmp_ngt_f32_e64 s[28:29], s41, v17
	v_ldexp_f32 v15, v15, v16
	v_mov_b32_e32 v14, s2
	v_ldexp_f32 v16, v18, v19
	v_cndmask_b32_e64 v16, 0, v16, s[28:29]
	v_cmp_nlt_f32_e64 s[28:29], s43, v17
	v_or_b32_e32 v18, 3, v79
	v_mul_u32_u24_e32 v18, 0x90, v18
	v_cndmask_b32_e64 v16, v23, v16, s[28:29]
	v_cmp_le_f32_e64 s[28:29], s3, v17
	v_add3_u32 v44, 0, v18, v78
	s_mov_b32 s3, 0x5040100
	v_cndmask_b32_e64 v41, 0, v16, s[28:29]
	v_cvt_f16_f32_e32 v16, v41
	v_cmp_ngt_f32_e64 s[28:29], s41, v13
	v_cndmask_b32_e64 v14, v14, v35, s[0:1]
	s_nop 0
	v_cndmask_b32_e64 v15, 0, v15, s[28:29]
	v_cmp_nlt_f32_e64 s[28:29], s43, v13
	v_mul_u32_u24_e32 v13, 0x10001, v16
	v_or_b32_e32 v16, 2, v79
	v_cndmask_b32_e64 v42, v23, v15, s[28:29]
	v_and_b32_e32 v15, 0xfc, v79
	v_mul_u32_u24_e32 v16, 0x90, v16
	v_mul_u32_u24_e32 v15, 0x90, v15
	v_add3_u32 v45, 0, v16, v78
	v_add3_u32 v15, 0, v15, v78
	ds_read_u16 v23, v45
	ds_read_u16 v38, v45 offset:32
	ds_read_u16 v49, v45 offset:2304
	ds_read_u16 v46, v45 offset:2336
	ds_read_u16 v47, v45 offset:64
	ds_read_u16 v48, v45 offset:2368
	ds_read_u16 v50, v45 offset:2400
	ds_read_u16 v52, v45 offset:96
	ds_read_u16 v53, v44
	ds_read_u16 v58, v44 offset:32
	ds_read_u16 v57, v44 offset:2304
	;; [unrolled: 1-line block ×7, first 2 shown]
	v_pk_mul_f16 v17, v94, v13
	v_pk_mul_f16 v19, v98, v13
	s_waitcnt lgkmcnt(7)
	v_perm_b32 v55, v53, v23, s3
	ds_read_u16 v23, v15 offset:144
	ds_read_u16 v53, v15
	ds_read_u16 v63, v15 offset:32
	ds_read_u16 v64, v15 offset:176
	;; [unrolled: 1-line block ×6, first 2 shown]
	s_waitcnt lgkmcnt(6)
	v_perm_b32 v54, v23, v53, s3
	v_cvt_f32_f16_e32 v16, v17
	v_cvt_f32_f16_sdwa v17, v17 dst_sel:DWORD dst_unused:UNUSED_PAD src0_sel:WORD_1
	v_cvt_f32_f16_e32 v18, v19
	v_cvt_f32_f16_sdwa v19, v19 dst_sel:DWORD dst_unused:UNUSED_PAD src0_sel:WORD_1
	v_cvt_pk_f16_f32 v23, v2, v22
	v_cvt_pk_f16_f32 v22, v0, v1
	v_mov_b32_e32 v53, s2
	v_pk_mul_f16 v94, v125, v13
	v_mfma_f32_16x16x16_f16 v[16:19], v[54:55], v[22:23], v[16:19]
	s_nop 7
	v_cvt_f16_f32_e32 v1, v16
	v_cvt_f16_f32_e32 v2, v17
	;; [unrolled: 1-line block ×4, first 2 shown]
	v_cvt_f32_f16_e32 v54, v1
	v_cvt_f32_f16_e32 v55, v2
	v_perm_b32 v19, v57, v49, s3
	ds_read_u16 v1, v15 offset:2304
	ds_read_u16 v2, v15 offset:2448
	;; [unrolled: 1-line block ×8, first 2 shown]
	s_waitcnt lgkmcnt(6)
	v_perm_b32 v18, v2, v1, s3
	v_cvt_f32_f16_e32 v56, v16
	v_cvt_f32_f16_e32 v57, v17
	v_cvt_pk_f16_f32 v17, v6, v43
	v_cvt_pk_f16_f32 v16, v4, v3
	v_cndmask_b32_e32 v1, v53, v42, vcc
	s_nop 0
	v_mfma_f32_16x16x16_f16 v[54:57], v[18:19], v[16:17], v[54:57]
	v_cvt_pk_f16_f32 v19, v10, v9
	v_cvt_pk_f16_f32 v18, v8, v5
	s_nop 5
	v_cvt_f16_f32_e32 v2, v54
	v_cvt_f16_f32_e32 v3, v55
	;; [unrolled: 1-line block ×4, first 2 shown]
	v_cvt_f32_f16_e32 v54, v2
	v_cvt_f32_f16_e32 v55, v3
	ds_read_u16 v2, v45 offset:4608
	ds_read_u16 v43, v45 offset:6912
	;; [unrolled: 1-line block ×16, first 2 shown]
	v_cvt_f32_f16_e32 v56, v4
	s_waitcnt lgkmcnt(7)
	v_perm_b32 v3, v3, v2, s3
	ds_read_u16 v2, v15 offset:4608
	ds_read_u16 v4, v15 offset:4752
	;; [unrolled: 1-line block ×8, first 2 shown]
	s_waitcnt lgkmcnt(6)
	v_perm_b32 v2, v4, v2, s3
	v_cvt_f32_f16_e32 v57, v6
	v_perm_b32 v9, v45, v43, s3
	v_pk_mul_f16 v44, v96, v13
	v_mfma_f32_16x16x16_f16 v[2:5], v[2:3], v[18:19], v[54:57]
	ds_read_u16 v6, v15 offset:6912
	ds_read_u16 v8, v15 offset:7056
	;; [unrolled: 1-line block ×8, first 2 shown]
	s_waitcnt lgkmcnt(6)
	v_perm_b32 v8, v8, v6, s3
	v_cvt_pk_f16_f32 v15, v14, v1
	v_cvt_f16_f32_e32 v2, v2
	v_cvt_f16_f32_e32 v3, v3
	;; [unrolled: 1-line block ×4, first 2 shown]
	v_cvt_f32_f16_e32 v2, v2
	v_cvt_f32_f16_e32 v3, v3
	;; [unrolled: 1-line block ×4, first 2 shown]
	v_cvt_pk_f16_f32 v14, v12, v7
	v_cvt_f32_f16_e32 v6, v44
	v_cvt_f32_f16_sdwa v7, v44 dst_sel:DWORD dst_unused:UNUSED_PAD src0_sel:WORD_1
	v_perm_b32 v45, v58, v38, s3
	v_perm_b32 v44, v64, v63, s3
	v_mfma_f32_16x16x16_f16 v[2:5], v[8:9], v[14:15], v[2:5]
	v_cvt_f32_f16_e32 v8, v94
	v_cvt_f32_f16_sdwa v9, v94 dst_sel:DWORD dst_unused:UNUSED_PAD src0_sel:WORD_1
	v_add_f32_e32 v1, v25, v0
	v_cndmask_b32_e64 v12, v0, v1, s[26:27]
	v_mfma_f32_16x16x16_f16 v[6:9], v[44:45], v[22:23], v[6:9]
	v_add_f32_e32 v25, v12, v26
	v_cndmask_b32_e64 v12, v12, v25, s[22:23]
	v_add_f32_e32 v25, v12, v27
	v_cndmask_b32_e64 v12, v12, v25, s[24:25]
	s_nop 3
	v_cvt_f16_f32_e32 v0, v6
	v_cvt_f16_f32_e32 v1, v7
	;; [unrolled: 1-line block ×4, first 2 shown]
	v_cvt_f32_f16_e32 v6, v0
	v_cvt_f32_f16_e32 v7, v1
	v_perm_b32 v1, v59, v46, s3
	v_perm_b32 v0, v69, v49, s3
	v_cvt_f32_f16_e32 v8, v8
	v_cvt_f32_f16_e32 v9, v9
	v_add_f32_e32 v25, v28, v12
	v_cndmask_b32_e64 v12, v12, v25, s[20:21]
	v_mfma_f32_16x16x16_f16 v[6:9], v[0:1], v[16:17], v[6:9]
	v_add_f32_e32 v25, v29, v12
	s_waitcnt lgkmcnt(0)
	s_barrier
	s_nop 4
	v_cvt_f16_f32_e32 v0, v6
	v_cvt_f16_f32_e32 v1, v7
	;; [unrolled: 1-line block ×4, first 2 shown]
	v_cvt_f32_f16_e32 v6, v0
	v_cvt_f32_f16_e32 v7, v1
	v_perm_b32 v1, v79, v53, s3
	v_perm_b32 v0, v89, v87, s3
	v_cvt_f32_f16_e32 v8, v8
	v_cvt_f32_f16_e32 v9, v9
	s_barrier
	s_nop 0
	v_mfma_f32_16x16x16_f16 v[6:9], v[0:1], v[18:19], v[6:9]
	s_nop 7
	v_cvt_f16_f32_e32 v0, v6
	v_cvt_f16_f32_e32 v1, v7
	v_cvt_f16_f32_e32 v8, v8
	v_cvt_f16_f32_e32 v9, v9
	v_cvt_f32_f16_e32 v6, v0
	v_cvt_f32_f16_e32 v7, v1
	v_perm_b32 v1, v82, v74, s3
	v_perm_b32 v0, v43, v10, s3
	v_cvt_f32_f16_e32 v8, v8
	v_cvt_f32_f16_e32 v9, v9
	v_cndmask_b32_e64 v10, v12, v25, s[18:19]
	v_pk_mul_f16 v12, v124, v13
	v_pk_mul_f16 v25, v123, v13
	v_mfma_f32_16x16x16_f16 v[6:9], v[0:1], v[14:15], v[6:9]
	v_perm_b32 v1, v60, v47, s3
	v_perm_b32 v0, v66, v65, s3
	v_cvt_f32_f16_e32 v26, v12
	v_cvt_f32_f16_sdwa v27, v12 dst_sel:DWORD dst_unused:UNUSED_PAD src0_sel:WORD_1
	v_cvt_f32_f16_e32 v28, v25
	v_cvt_f32_f16_sdwa v29, v25 dst_sel:DWORD dst_unused:UNUSED_PAD src0_sel:WORD_1
	v_add_f32_e32 v12, v30, v10
	v_cndmask_b32_e64 v10, v10, v12, s[16:17]
	v_mfma_f32_16x16x16_f16 v[26:29], v[0:1], v[22:23], v[26:29]
	v_add_f32_e32 v11, v11, v10
	v_cndmask_b32_e64 v10, v10, v11, s[12:13]
	v_add_f32_e32 v11, v31, v10
	v_cndmask_b32_e64 v10, v10, v11, s[14:15]
	s_nop 3
	v_cvt_f16_f32_e32 v0, v26
	v_cvt_f16_f32_e32 v1, v27
	;; [unrolled: 1-line block ×4, first 2 shown]
	v_cvt_f32_f16_e32 v26, v0
	v_cvt_f32_f16_e32 v27, v1
	v_perm_b32 v1, v61, v48, s3
	v_perm_b32 v0, v71, v70, s3
	v_cvt_f32_f16_e32 v28, v12
	v_cvt_f32_f16_e32 v29, v25
	v_pk_mul_f16 v30, v81, v13
	v_pk_mul_f16 v31, v80, v13
	v_mfma_f32_16x16x16_f16 v[26:29], v[0:1], v[16:17], v[26:29]
	s_nop 7
	v_cvt_f16_f32_e32 v0, v26
	v_cvt_f16_f32_e32 v1, v27
	;; [unrolled: 1-line block ×4, first 2 shown]
	v_cvt_f32_f16_e32 v26, v0
	v_cvt_f32_f16_e32 v27, v1
	v_perm_b32 v1, v83, v75, s3
	v_perm_b32 v0, v91, v90, s3
	v_cvt_f32_f16_e32 v28, v11
	v_cvt_f32_f16_e32 v29, v12
	v_add_f32_e32 v11, v32, v10
	v_cndmask_b32_e64 v10, v10, v11, s[10:11]
	v_mfma_f32_16x16x16_f16 v[26:29], v[0:1], v[18:19], v[26:29]
	v_add_f32_e32 v11, v34, v10
	s_nop 6
	v_cvt_f16_f32_e32 v0, v26
	v_cvt_f16_f32_e32 v1, v27
	;; [unrolled: 1-line block ×4, first 2 shown]
	v_cvt_f32_f16_e32 v26, v0
	v_cvt_f32_f16_e32 v27, v1
	v_perm_b32 v1, v84, v76, s3
	v_perm_b32 v0, v55, v54, s3
	v_cvt_f32_f16_e32 v28, v12
	v_cvt_f32_f16_e32 v29, v25
	v_cndmask_b32_e64 v25, v10, v11, s[8:9]
	s_nop 0
	v_mfma_f32_16x16x16_f16 v[10:13], v[0:1], v[14:15], v[26:29]
	v_perm_b32 v1, v62, v52, s3
	v_perm_b32 v0, v67, v68, s3
	s_nop 0
	v_cvt_f32_f16_e32 v26, v30
	v_cvt_f32_f16_sdwa v27, v30 dst_sel:DWORD dst_unused:UNUSED_PAD src0_sel:WORD_1
	v_cvt_f32_f16_e32 v28, v31
	v_cvt_f32_f16_sdwa v29, v31 dst_sel:DWORD dst_unused:UNUSED_PAD src0_sel:WORD_1
	v_add_f32_e32 v30, v33, v25
	v_cndmask_b32_e64 v25, v25, v30, s[6:7]
	v_mfma_f32_16x16x16_f16 v[26:29], v[0:1], v[22:23], v[26:29]
	v_add_f32_e32 v30, v37, v25
	s_nop 6
	v_cvt_f16_f32_e32 v0, v26
	v_cvt_f16_f32_e32 v1, v27
	v_cvt_f16_f32_e32 v22, v28
	v_cvt_f16_f32_e32 v23, v29
	v_cvt_f32_f16_e32 v26, v0
	v_cvt_f32_f16_e32 v27, v1
	v_perm_b32 v1, v51, v50, s3
	v_perm_b32 v0, v72, v73, s3
	v_cvt_f32_f16_e32 v28, v22
	v_cvt_f32_f16_e32 v29, v23
	v_cndmask_b32_e64 v22, v25, v30, s[36:37]
	v_add_f32_e32 v23, v40, v22
	v_mfma_f32_16x16x16_f16 v[26:29], v[0:1], v[16:17], v[26:29]
	v_cndmask_b32_e64 v22, v22, v23, s[4:5]
	s_nop 6
	v_cvt_f16_f32_e32 v0, v26
	v_cvt_f16_f32_e32 v1, v27
	;; [unrolled: 1-line block ×4, first 2 shown]
	v_cvt_f32_f16_e32 v26, v0
	v_cvt_f32_f16_e32 v27, v1
	v_perm_b32 v1, v86, v78, s3
	v_perm_b32 v0, v92, v93, s3
	v_cvt_f32_f16_e32 v28, v16
	v_cvt_f32_f16_e32 v29, v17
	v_add_f32_e32 v16, v35, v22
	v_cndmask_b32_e64 v22, v22, v16, s[0:1]
	v_mfma_f32_16x16x16_f16 v[16:19], v[0:1], v[18:19], v[26:29]
	v_add_f32_e32 v23, v42, v22
	v_cndmask_b32_e32 v22, v22, v23, vcc
	v_fmac_f32_e32 v22, v39, v41
	ds_bpermute_b32 v21, v21, v22
	s_nop 3
	v_cvt_f16_f32_e32 v0, v16
	v_cvt_f16_f32_e32 v1, v17
	;; [unrolled: 1-line block ×4, first 2 shown]
	v_cvt_f32_f16_e32 v16, v0
	v_cvt_f32_f16_e32 v17, v1
	v_perm_b32 v1, v85, v77, s3
	v_perm_b32 v0, v56, v57, s3
	v_cvt_f32_f16_e32 v18, v18
	v_cvt_f32_f16_e32 v19, v19
	v_cmp_lt_u32_e32 vcc, 15, v88
	s_nop 0
	v_mfma_f32_16x16x16_f16 v[14:17], v[0:1], v[14:15], v[16:19]
	s_waitcnt lgkmcnt(0)
	v_add_f32_e32 v1, v22, v21
                                        ; implicit-def: $vgpr0
	s_nop 0
	ds_bpermute_b32 v18, v24, v1
	s_mov_b64 s[0:1], exec
	scratch_load_dword v24, off, off offset:348 ; 4-byte Folded Reload
	s_and_b64 s[2:3], s[0:1], vcc
	s_xor_b64 s[0:1], s[2:3], s[0:1]
	s_mov_b64 exec, s[2:3]
	s_cbranch_execz .LBB0_362
; %bb.361:
	s_waitcnt vmcnt(0)
	v_lshlrev_b32_e32 v0, 4, v24
                                        ; implicit-def: $vgpr1
                                        ; implicit-def: $vgpr18
                                        ; implicit-def: $vgpr24
                                        ; implicit-def: $vgpr88
                                        ; implicit-def: $vgpr20
.LBB0_362:
	s_or_saveexec_b64 s[0:1], s[0:1]
	scratch_load_dword v19, off, off offset:120 ; 4-byte Folded Reload
	scratch_load_dwordx2 v[22:23], off, off offset:356 ; 8-byte Folded Reload
	v_readlane_b32 s8, v126, 26
	v_readlane_b32 s14, v126, 32
	;; [unrolled: 1-line block ×7, first 2 shown]
	s_mov_b64 s[14:15], s[22:23]
	v_readlane_b32 s9, v126, 27
	v_readlane_b32 s10, v126, 28
	;; [unrolled: 1-line block ×11, first 2 shown]
	s_xor_b64 exec, exec, s[0:1]
	s_cbranch_execz .LBB0_364
; %bb.363:
	s_add_i32 s2, s2, s5
	s_lshl_b32 s2, s2, 6
	s_mov_b32 s3, 0
	s_waitcnt vmcnt(2)
	v_lshlrev_b32_e32 v0, 4, v24
	s_lshl_b64 s[2:3], s[2:3], 3
	s_waitcnt lgkmcnt(0)
	v_add_f32_e32 v21, v1, v18
	v_or_b32_e32 v1, v0, v88
	s_add_u32 s2, s14, s2
	s_addc_u32 s3, s15, s3
	v_lshlrev_b32_e32 v1, 3, v1
	global_store_dwordx2 v1, v[20:21], s[2:3]
.LBB0_364:
	s_or_b64 exec, exec, s[0:1]
	s_load_dword s0, s[62:63], 0x0
	s_load_dword s2, s[62:63], 0x10
	v_or_b32_e32 v0, v0, v106
	v_mul_i32_i24_e32 v0, 0x90, v0
	v_cvt_pk_f16_f32 v1, v4, v5
	v_cvt_pk_f16_f32 v2, v2, v3
	s_waitcnt lgkmcnt(0)
	s_lshr_b32 s2, s2, 16
	s_cmp_lg_u32 s2, 0
	s_cselect_b64 s[2:3], -1, 0
	s_cmp_lg_u64 s[2:3], 0
	s_movk_i32 s4, 0x90
	v_add3_u32 v0, 0, v0, v112
	s_addc_u32 s0, s0, 0
	v_cvt_pk_f16_f32 v3, v8, v9
	v_cvt_pk_f16_f32 v4, v6, v7
	;; [unrolled: 1-line block ×6, first 2 shown]
	s_mov_b32 s1, 0
	s_lshl_b32 s0, s0, 7
	ds_write2_b32 v0, v2, v1 offset1:1
	ds_write2_b32 v0, v4, v3 offset0:8 offset1:9
	ds_write2_b32 v0, v6, v5 offset0:16 offset1:17
	;; [unrolled: 1-line block ×3, first 2 shown]
	s_waitcnt vmcnt(1)
	v_mad_u32_u24 v0, v19, s4, v36
	s_lshl_b32 s2, s5, 11
	s_mov_b32 s3, s1
	s_lshl_b64 s[0:1], s[0:1], 3
	s_waitcnt lgkmcnt(0)
	s_barrier
	ds_read_b32 v3, v0
	v_add_u32_e32 v7, 0x80, v0
	s_add_u32 s5, s14, s0
	ds_read2st64_b32 v[0:1], v7 offset0:4 offset1:13
	s_addc_u32 s6, s15, s1
	s_lshl_b64 s[0:1], s[2:3], 3
	v_and_b32_e32 v2, 15, v19
	s_movk_i32 s2, 0x1ff0
	v_and_or_b32 v4, v97, s2, v2
	v_and_or_b32 v5, v102, s2, v2
	;; [unrolled: 1-line block ×3, first 2 shown]
	v_mad_u32_u24 v4, v4, s4, v36
	v_mad_u32_u24 v2, v2, s4, v36
	;; [unrolled: 1-line block ×3, first 2 shown]
	ds_read_b32 v8, v4
	ds_read_b32 v9, v5
	;; [unrolled: 1-line block ×3, first 2 shown]
	s_waitcnt lgkmcnt(4)
	v_cvt_f32_f16_e32 v2, v3
	v_cvt_f32_f16_sdwa v3, v3 dst_sel:DWORD dst_unused:UNUSED_PAD src0_sel:WORD_1
	s_waitcnt lgkmcnt(3)
	v_cvt_f32_f16_e32 v4, v0
	v_cvt_f32_f16_sdwa v5, v0 dst_sel:DWORD dst_unused:UNUSED_PAD src0_sel:WORD_1
	s_add_u32 s0, s5, s0
	s_waitcnt vmcnt(0)
	v_lshlrev_b32_e32 v6, 3, v22
	s_addc_u32 s1, s6, s1
	v_lshl_or_b32 v11, v19, 8, v6
	v_pk_add_f32 v[2:3], v[2:3], 0 op_sel_hi:[1,0]
	global_store_dwordx2 v11, v[2:3], s[0:1]
	v_lshl_or_b32 v0, v95, 8, v6
	v_pk_add_f32 v[2:3], v[4:5], 0 op_sel_hi:[1,0]
	global_store_dwordx2 v0, v[2:3], s[0:1]
	s_waitcnt lgkmcnt(2)
	v_cvt_f32_f16_e32 v2, v8
	v_cvt_f32_f16_sdwa v3, v8 dst_sel:DWORD dst_unused:UNUSED_PAD src0_sel:WORD_1
	v_lshl_or_b32 v4, v97, 8, v6
	v_cvt_f32_f16_e32 v0, v1
	v_cvt_f32_f16_sdwa v1, v1 dst_sel:DWORD dst_unused:UNUSED_PAD src0_sel:WORD_1
	v_pk_add_f32 v[2:3], v[2:3], 0 op_sel_hi:[1,0]
	global_store_dwordx2 v4, v[2:3], s[0:1]
	ds_read2st64_b32 v[2:3], v7 offset0:22 offset1:31
	v_lshl_or_b32 v4, v101, 8, v6
	v_pk_add_f32 v[0:1], v[0:1], 0 op_sel_hi:[1,0]
	global_store_dwordx2 v4, v[0:1], s[0:1]
	s_waitcnt lgkmcnt(2)
	v_cvt_f32_f16_e32 v0, v9
	v_cvt_f32_f16_sdwa v1, v9 dst_sel:DWORD dst_unused:UNUSED_PAD src0_sel:WORD_1
	s_waitcnt lgkmcnt(0)
	v_cvt_f32_f16_e32 v4, v2
	v_cvt_f32_f16_sdwa v5, v2 dst_sel:DWORD dst_unused:UNUSED_PAD src0_sel:WORD_1
	v_lshl_or_b32 v7, v102, 8, v6
	v_pk_add_f32 v[0:1], v[0:1], 0 op_sel_hi:[1,0]
	global_store_dwordx2 v7, v[0:1], s[0:1]
	v_lshl_or_b32 v2, v103, 8, v6
	v_pk_add_f32 v[0:1], v[4:5], 0 op_sel_hi:[1,0]
	global_store_dwordx2 v2, v[0:1], s[0:1]
	v_cvt_f32_f16_e32 v0, v10
	v_cvt_f32_f16_sdwa v1, v10 dst_sel:DWORD dst_unused:UNUSED_PAD src0_sel:WORD_1
	v_cvt_f32_f16_e32 v2, v3
	v_cvt_f32_f16_sdwa v3, v3 dst_sel:DWORD dst_unused:UNUSED_PAD src0_sel:WORD_1
	v_lshl_or_b32 v4, v104, 8, v6
	v_pk_add_f32 v[0:1], v[0:1], 0 op_sel_hi:[1,0]
	global_store_dwordx2 v4, v[0:1], s[0:1]
	v_lshl_or_b32 v4, v105, 8, v6
	v_pk_add_f32 v[0:1], v[2:3], 0 op_sel_hi:[1,0]
	global_store_dwordx2 v4, v[0:1], s[0:1]
	s_endpgm
.LBB0_365:
                                        ; implicit-def: $vgpr0_vgpr1_vgpr2_vgpr3
                                        ; implicit-def: $vgpr4_vgpr5_vgpr6_vgpr7
                                        ; implicit-def: $vgpr16_vgpr17_vgpr18_vgpr19
                                        ; implicit-def: $vgpr12_vgpr13_vgpr14_vgpr15
                                        ; implicit-def: $vgpr41
                                        ; implicit-def: $vgpr48
                                        ; implicit-def: $vgpr10
                                        ; implicit-def: $vgpr49
                                        ; implicit-def: $vgpr44
                                        ; implicit-def: $vgpr45
	v_add_u32_e32 v38, 0x1200, v37
	s_branch .LBB0_359
	.section	.rodata,"a",@progbits
	.p2align	6, 0x0
	.amdhsa_kernel _ZL18flash_attn_ext_f16ILi64ELi64ELi64ELi1ELb0ELb0EEvPKcS1_S1_S1_S1_PKiPfP15HIP_vector_typeIfLj2EEffffjfiS5_IjLj3EEiiiiiiiiiiiliiliiiiil
		.amdhsa_group_segment_fixed_size 0
		.amdhsa_private_segment_fixed_size 432
		.amdhsa_kernarg_size 464
		.amdhsa_user_sgpr_count 2
		.amdhsa_user_sgpr_dispatch_ptr 0
		.amdhsa_user_sgpr_queue_ptr 0
		.amdhsa_user_sgpr_kernarg_segment_ptr 1
		.amdhsa_user_sgpr_dispatch_id 0
		.amdhsa_user_sgpr_kernarg_preload_length 0
		.amdhsa_user_sgpr_kernarg_preload_offset 0
		.amdhsa_user_sgpr_private_segment_size 0
		.amdhsa_uses_dynamic_stack 0
		.amdhsa_enable_private_segment 1
		.amdhsa_system_sgpr_workgroup_id_x 1
		.amdhsa_system_sgpr_workgroup_id_y 0
		.amdhsa_system_sgpr_workgroup_id_z 0
		.amdhsa_system_sgpr_workgroup_info 0
		.amdhsa_system_vgpr_workitem_id 1
		.amdhsa_next_free_vgpr 128
		.amdhsa_next_free_sgpr 100
		.amdhsa_accum_offset 128
		.amdhsa_reserve_vcc 1
		.amdhsa_float_round_mode_32 0
		.amdhsa_float_round_mode_16_64 0
		.amdhsa_float_denorm_mode_32 3
		.amdhsa_float_denorm_mode_16_64 3
		.amdhsa_dx10_clamp 1
		.amdhsa_ieee_mode 1
		.amdhsa_fp16_overflow 0
		.amdhsa_tg_split 0
		.amdhsa_exception_fp_ieee_invalid_op 0
		.amdhsa_exception_fp_denorm_src 0
		.amdhsa_exception_fp_ieee_div_zero 0
		.amdhsa_exception_fp_ieee_overflow 0
		.amdhsa_exception_fp_ieee_underflow 0
		.amdhsa_exception_fp_ieee_inexact 0
		.amdhsa_exception_int_div_zero 0
	.end_amdhsa_kernel
	.section	.text._ZL18flash_attn_ext_f16ILi64ELi64ELi64ELi1ELb0ELb0EEvPKcS1_S1_S1_S1_PKiPfP15HIP_vector_typeIfLj2EEffffjfiS5_IjLj3EEiiiiiiiiiiiliiliiiiil,"axG",@progbits,_ZL18flash_attn_ext_f16ILi64ELi64ELi64ELi1ELb0ELb0EEvPKcS1_S1_S1_S1_PKiPfP15HIP_vector_typeIfLj2EEffffjfiS5_IjLj3EEiiiiiiiiiiiliiliiiiil,comdat
.Lfunc_end0:
	.size	_ZL18flash_attn_ext_f16ILi64ELi64ELi64ELi1ELb0ELb0EEvPKcS1_S1_S1_S1_PKiPfP15HIP_vector_typeIfLj2EEffffjfiS5_IjLj3EEiiiiiiiiiiiliiliiiiil, .Lfunc_end0-_ZL18flash_attn_ext_f16ILi64ELi64ELi64ELi1ELb0ELb0EEvPKcS1_S1_S1_S1_PKiPfP15HIP_vector_typeIfLj2EEffffjfiS5_IjLj3EEiiiiiiiiiiiliiliiiiil
                                        ; -- End function
	.set _ZL18flash_attn_ext_f16ILi64ELi64ELi64ELi1ELb0ELb0EEvPKcS1_S1_S1_S1_PKiPfP15HIP_vector_typeIfLj2EEffffjfiS5_IjLj3EEiiiiiiiiiiiliiliiiiil.num_vgpr, 128
	.set _ZL18flash_attn_ext_f16ILi64ELi64ELi64ELi1ELb0ELb0EEvPKcS1_S1_S1_S1_PKiPfP15HIP_vector_typeIfLj2EEffffjfiS5_IjLj3EEiiiiiiiiiiiliiliiiiil.num_agpr, 0
	.set _ZL18flash_attn_ext_f16ILi64ELi64ELi64ELi1ELb0ELb0EEvPKcS1_S1_S1_S1_PKiPfP15HIP_vector_typeIfLj2EEffffjfiS5_IjLj3EEiiiiiiiiiiiliiliiiiil.numbered_sgpr, 100
	.set _ZL18flash_attn_ext_f16ILi64ELi64ELi64ELi1ELb0ELb0EEvPKcS1_S1_S1_S1_PKiPfP15HIP_vector_typeIfLj2EEffffjfiS5_IjLj3EEiiiiiiiiiiiliiliiiiil.num_named_barrier, 0
	.set _ZL18flash_attn_ext_f16ILi64ELi64ELi64ELi1ELb0ELb0EEvPKcS1_S1_S1_S1_PKiPfP15HIP_vector_typeIfLj2EEffffjfiS5_IjLj3EEiiiiiiiiiiiliiliiiiil.private_seg_size, 432
	.set _ZL18flash_attn_ext_f16ILi64ELi64ELi64ELi1ELb0ELb0EEvPKcS1_S1_S1_S1_PKiPfP15HIP_vector_typeIfLj2EEffffjfiS5_IjLj3EEiiiiiiiiiiiliiliiiiil.uses_vcc, 1
	.set _ZL18flash_attn_ext_f16ILi64ELi64ELi64ELi1ELb0ELb0EEvPKcS1_S1_S1_S1_PKiPfP15HIP_vector_typeIfLj2EEffffjfiS5_IjLj3EEiiiiiiiiiiiliiliiiiil.uses_flat_scratch, 0
	.set _ZL18flash_attn_ext_f16ILi64ELi64ELi64ELi1ELb0ELb0EEvPKcS1_S1_S1_S1_PKiPfP15HIP_vector_typeIfLj2EEffffjfiS5_IjLj3EEiiiiiiiiiiiliiliiiiil.has_dyn_sized_stack, 0
	.set _ZL18flash_attn_ext_f16ILi64ELi64ELi64ELi1ELb0ELb0EEvPKcS1_S1_S1_S1_PKiPfP15HIP_vector_typeIfLj2EEffffjfiS5_IjLj3EEiiiiiiiiiiiliiliiiiil.has_recursion, 0
	.set _ZL18flash_attn_ext_f16ILi64ELi64ELi64ELi1ELb0ELb0EEvPKcS1_S1_S1_S1_PKiPfP15HIP_vector_typeIfLj2EEffffjfiS5_IjLj3EEiiiiiiiiiiiliiliiiiil.has_indirect_call, 0
	.section	.AMDGPU.csdata,"",@progbits
; Kernel info:
; codeLenInByte = 61360
; TotalNumSgprs: 106
; NumVgprs: 128
; NumAgprs: 0
; TotalNumVgprs: 128
; ScratchSize: 432
; MemoryBound: 0
; FloatMode: 240
; IeeeMode: 1
; LDSByteSize: 0 bytes/workgroup (compile time only)
; SGPRBlocks: 13
; VGPRBlocks: 15
; NumSGPRsForWavesPerEU: 106
; NumVGPRsForWavesPerEU: 128
; AccumOffset: 128
; Occupancy: 4
; WaveLimiterHint : 0
; COMPUTE_PGM_RSRC2:SCRATCH_EN: 1
; COMPUTE_PGM_RSRC2:USER_SGPR: 2
; COMPUTE_PGM_RSRC2:TRAP_HANDLER: 0
; COMPUTE_PGM_RSRC2:TGID_X_EN: 1
; COMPUTE_PGM_RSRC2:TGID_Y_EN: 0
; COMPUTE_PGM_RSRC2:TGID_Z_EN: 0
; COMPUTE_PGM_RSRC2:TIDIG_COMP_CNT: 1
; COMPUTE_PGM_RSRC3_GFX90A:ACCUM_OFFSET: 31
; COMPUTE_PGM_RSRC3_GFX90A:TG_SPLIT: 0
	.text
	.p2align	2                               ; -- Begin function __ockl_printf_append_string_n
	.type	__ockl_printf_append_string_n,@function
__ockl_printf_append_string_n:          ; @__ockl_printf_append_string_n
; %bb.0:
	s_waitcnt vmcnt(0) expcnt(0) lgkmcnt(0)
	s_getpc_b64 s[0:1]
	s_add_u32 s0, s0, __FUNCTION__._ZL18flash_attn_ext_f16ILi64ELi64ELi64ELi1ELb1ELb0EEvPKcS1_S1_S1_S1_PKiPfP15HIP_vector_typeIfLj2EEffffjfiS5_IjLj3EEiiiiiiiiiiiliiliiiiil@rel32@lo+4
	s_addc_u32 s1, s1, __FUNCTION__._ZL18flash_attn_ext_f16ILi64ELi64ELi64ELi1ELb1ELb0EEvPKcS1_S1_S1_S1_PKiPfP15HIP_vector_typeIfLj2EEffffjfiS5_IjLj3EEiiiiiiiiiiiliiliiiiil@rel32@hi+12
	v_mov_b32_e32 v2, v0
	s_mov_b64 s[2:3], 0
	s_cmp_lg_u64 s[0:1], 0
	v_mbcnt_lo_u32_b32 v3, -1, 0
	s_cbranch_scc0 .LBB1_87
; %bb.1:
	s_load_dwordx2 s[4:5], s[8:9], 0x50
	v_and_b32_e32 v0, -3, v2
	s_getpc_b64 s[0:1]
	s_add_u32 s0, s0, __FUNCTION__._ZL18flash_attn_ext_f16ILi64ELi64ELi64ELi1ELb1ELb0EEvPKcS1_S1_S1_S1_PKiPfP15HIP_vector_typeIfLj2EEffffjfiS5_IjLj3EEiiiiiiiiiiiliiliiiiil@rel32@lo+4
	s_addc_u32 s1, s1, __FUNCTION__._ZL18flash_attn_ext_f16ILi64ELi64ELi64ELi1ELb1ELb0EEvPKcS1_S1_S1_S1_PKiPfP15HIP_vector_typeIfLj2EEffffjfiS5_IjLj3EEiiiiiiiiiiiliiliiiiil@rel32@hi+12
	v_and_b32_e32 v30, 2, v2
	s_mov_b32 s16, 0
	v_mov_b32_e32 v33, 0
	v_mbcnt_hi_u32_b32 v34, -1, v3
	v_mov_b64_e32 v[36:37], s[0:1]
	s_movk_i32 s17, 0x1e0
	v_mov_b32_e32 v12, 2
	v_mov_b32_e32 v13, 1
	v_mov_b64_e32 v[6:7], v[0:1]
	s_branch .LBB1_3
.LBB1_2:                                ;   in Loop: Header=BB1_3 Depth=1
	s_or_b64 exec, exec, s[10:11]
	v_sub_co_u32_e32 v4, vcc, v4, v38
	v_lshl_add_u64 v[36:37], v[36:37], 0, v[38:39]
	s_nop 0
	v_subb_co_u32_e32 v5, vcc, v5, v39, vcc
	v_cmp_eq_u64_e32 vcc, 0, v[4:5]
	s_or_b64 s[2:3], vcc, s[2:3]
	s_andn2_b64 exec, exec, s[2:3]
	s_cbranch_execz .LBB1_85
.LBB1_3:                                ; =>This Loop Header: Depth=1
                                        ;     Child Loop BB1_6 Depth 2
                                        ;     Child Loop BB1_14 Depth 2
	;; [unrolled: 1-line block ×11, first 2 shown]
	v_cmp_gt_u64_e32 vcc, 56, v[4:5]
	v_lshl_add_u64 v[16:17], v[36:37], 0, 8
	s_nop 0
	v_cndmask_b32_e32 v39, 0, v5, vcc
	v_cndmask_b32_e32 v38, 56, v4, vcc
	v_cmp_gt_u64_e32 vcc, 8, v[4:5]
	s_and_saveexec_b64 s[0:1], vcc
	s_xor_b64 s[0:1], exec, s[0:1]
	s_cbranch_execz .LBB1_9
; %bb.4:                                ;   in Loop: Header=BB1_3 Depth=1
	v_mov_b64_e32 v[8:9], 0
	v_cmp_ne_u64_e32 vcc, 0, v[4:5]
	s_and_saveexec_b64 s[6:7], vcc
	s_cbranch_execz .LBB1_8
; %bb.5:                                ;   in Loop: Header=BB1_3 Depth=1
	v_lshlrev_b64 v[10:11], 3, v[38:39]
	s_mov_b64 s[10:11], 0
	v_mov_b64_e32 v[8:9], 0
	v_mov_b64_e32 v[14:15], v[36:37]
	s_mov_b64 s[12:13], 0
.LBB1_6:                                ;   Parent Loop BB1_3 Depth=1
                                        ; =>  This Inner Loop Header: Depth=2
	global_load_ubyte v0, v[14:15], off
	v_mov_b32_e32 v17, s16
	v_lshl_add_u64 v[14:15], v[14:15], 0, 1
	s_waitcnt vmcnt(0)
	v_and_b32_e32 v16, 0xffff, v0
	v_lshlrev_b64 v[16:17], s12, v[16:17]
	s_add_u32 s12, s12, 8
	s_addc_u32 s13, s13, 0
	v_cmp_eq_u32_e32 vcc, s12, v10
	v_or_b32_e32 v9, v17, v9
	s_or_b64 s[10:11], vcc, s[10:11]
	v_or_b32_e32 v8, v16, v8
	s_andn2_b64 exec, exec, s[10:11]
	s_cbranch_execnz .LBB1_6
; %bb.7:                                ;   in Loop: Header=BB1_3 Depth=1
	s_or_b64 exec, exec, s[10:11]
.LBB1_8:                                ;   in Loop: Header=BB1_3 Depth=1
	s_or_b64 exec, exec, s[6:7]
	v_mov_b64_e32 v[16:17], v[36:37]
.LBB1_9:                                ;   in Loop: Header=BB1_3 Depth=1
	s_or_saveexec_b64 s[0:1], s[0:1]
	v_mov_b32_e32 v0, 0
	s_xor_b64 exec, exec, s[0:1]
	s_cbranch_execz .LBB1_11
; %bb.10:                               ;   in Loop: Header=BB1_3 Depth=1
	global_load_dwordx2 v[8:9], v[36:37], off
	v_add_u32_e32 v0, -8, v38
.LBB1_11:                               ;   in Loop: Header=BB1_3 Depth=1
	s_or_b64 exec, exec, s[0:1]
	v_cmp_gt_u32_e32 vcc, 8, v0
	v_lshl_add_u64 v[10:11], v[16:17], 0, 8
                                        ; implicit-def: $vgpr14_vgpr15
	s_and_saveexec_b64 s[0:1], vcc
	s_xor_b64 s[0:1], exec, s[0:1]
	s_cbranch_execz .LBB1_17
; %bb.12:                               ;   in Loop: Header=BB1_3 Depth=1
	v_cmp_ne_u32_e32 vcc, 0, v0
	v_mov_b64_e32 v[14:15], 0
	s_and_saveexec_b64 s[6:7], vcc
	s_cbranch_execz .LBB1_16
; %bb.13:                               ;   in Loop: Header=BB1_3 Depth=1
	s_mov_b64 s[10:11], 0
	v_mov_b64_e32 v[14:15], 0
	s_mov_b64 s[12:13], 0
	s_mov_b64 s[14:15], 0
.LBB1_14:                               ;   Parent Loop BB1_3 Depth=1
                                        ; =>  This Inner Loop Header: Depth=2
	v_lshl_add_u64 v[10:11], v[16:17], 0, s[14:15]
	global_load_ubyte v10, v[10:11], off
	s_add_u32 s14, s14, 1
	v_mov_b32_e32 v11, s16
	s_addc_u32 s15, s15, 0
	v_cmp_eq_u32_e32 vcc, s14, v0
	s_waitcnt vmcnt(0)
	v_and_b32_e32 v10, 0xffff, v10
	v_lshlrev_b64 v[10:11], s12, v[10:11]
	s_add_u32 s12, s12, 8
	s_addc_u32 s13, s13, 0
	v_or_b32_e32 v15, v11, v15
	s_or_b64 s[10:11], vcc, s[10:11]
	v_or_b32_e32 v14, v10, v14
	s_andn2_b64 exec, exec, s[10:11]
	s_cbranch_execnz .LBB1_14
; %bb.15:                               ;   in Loop: Header=BB1_3 Depth=1
	s_or_b64 exec, exec, s[10:11]
.LBB1_16:                               ;   in Loop: Header=BB1_3 Depth=1
	s_or_b64 exec, exec, s[6:7]
	v_mov_b64_e32 v[10:11], v[16:17]
                                        ; implicit-def: $vgpr0
.LBB1_17:                               ;   in Loop: Header=BB1_3 Depth=1
	s_or_saveexec_b64 s[0:1], s[0:1]
	v_mov_b32_e32 v18, 0
	s_xor_b64 exec, exec, s[0:1]
	s_cbranch_execz .LBB1_19
; %bb.18:                               ;   in Loop: Header=BB1_3 Depth=1
	global_load_dwordx2 v[14:15], v[16:17], off
	v_add_u32_e32 v18, -8, v0
.LBB1_19:                               ;   in Loop: Header=BB1_3 Depth=1
	s_or_b64 exec, exec, s[0:1]
	v_cmp_gt_u32_e32 vcc, 8, v18
	v_lshl_add_u64 v[20:21], v[10:11], 0, 8
	s_and_saveexec_b64 s[0:1], vcc
	s_xor_b64 s[0:1], exec, s[0:1]
	s_cbranch_execz .LBB1_25
; %bb.20:                               ;   in Loop: Header=BB1_3 Depth=1
	v_cmp_ne_u32_e32 vcc, 0, v18
	v_mov_b64_e32 v[16:17], 0
	s_and_saveexec_b64 s[6:7], vcc
	s_cbranch_execz .LBB1_24
; %bb.21:                               ;   in Loop: Header=BB1_3 Depth=1
	s_mov_b64 s[10:11], 0
	v_mov_b64_e32 v[16:17], 0
	s_mov_b64 s[12:13], 0
	s_mov_b64 s[14:15], 0
.LBB1_22:                               ;   Parent Loop BB1_3 Depth=1
                                        ; =>  This Inner Loop Header: Depth=2
	v_lshl_add_u64 v[20:21], v[10:11], 0, s[14:15]
	global_load_ubyte v0, v[20:21], off
	s_add_u32 s14, s14, 1
	v_mov_b32_e32 v21, s16
	s_addc_u32 s15, s15, 0
	v_cmp_eq_u32_e32 vcc, s14, v18
	s_waitcnt vmcnt(0)
	v_and_b32_e32 v20, 0xffff, v0
	v_lshlrev_b64 v[20:21], s12, v[20:21]
	s_add_u32 s12, s12, 8
	s_addc_u32 s13, s13, 0
	v_or_b32_e32 v17, v21, v17
	s_or_b64 s[10:11], vcc, s[10:11]
	v_or_b32_e32 v16, v20, v16
	s_andn2_b64 exec, exec, s[10:11]
	s_cbranch_execnz .LBB1_22
; %bb.23:                               ;   in Loop: Header=BB1_3 Depth=1
	s_or_b64 exec, exec, s[10:11]
.LBB1_24:                               ;   in Loop: Header=BB1_3 Depth=1
	s_or_b64 exec, exec, s[6:7]
	v_mov_b64_e32 v[20:21], v[10:11]
                                        ; implicit-def: $vgpr18
.LBB1_25:                               ;   in Loop: Header=BB1_3 Depth=1
	s_or_saveexec_b64 s[0:1], s[0:1]
	v_mov_b32_e32 v0, 0
	s_xor_b64 exec, exec, s[0:1]
	s_cbranch_execz .LBB1_27
; %bb.26:                               ;   in Loop: Header=BB1_3 Depth=1
	global_load_dwordx2 v[16:17], v[10:11], off
	v_add_u32_e32 v0, -8, v18
.LBB1_27:                               ;   in Loop: Header=BB1_3 Depth=1
	s_or_b64 exec, exec, s[0:1]
	v_cmp_gt_u32_e32 vcc, 8, v0
	v_lshl_add_u64 v[10:11], v[20:21], 0, 8
                                        ; implicit-def: $vgpr18_vgpr19
	s_and_saveexec_b64 s[0:1], vcc
	s_xor_b64 s[0:1], exec, s[0:1]
	s_cbranch_execz .LBB1_33
; %bb.28:                               ;   in Loop: Header=BB1_3 Depth=1
	v_cmp_ne_u32_e32 vcc, 0, v0
	v_mov_b64_e32 v[18:19], 0
	s_and_saveexec_b64 s[6:7], vcc
	s_cbranch_execz .LBB1_32
; %bb.29:                               ;   in Loop: Header=BB1_3 Depth=1
	s_mov_b64 s[10:11], 0
	v_mov_b64_e32 v[18:19], 0
	s_mov_b64 s[12:13], 0
	s_mov_b64 s[14:15], 0
.LBB1_30:                               ;   Parent Loop BB1_3 Depth=1
                                        ; =>  This Inner Loop Header: Depth=2
	v_lshl_add_u64 v[10:11], v[20:21], 0, s[14:15]
	global_load_ubyte v10, v[10:11], off
	s_add_u32 s14, s14, 1
	v_mov_b32_e32 v11, s16
	s_addc_u32 s15, s15, 0
	v_cmp_eq_u32_e32 vcc, s14, v0
	s_waitcnt vmcnt(0)
	v_and_b32_e32 v10, 0xffff, v10
	v_lshlrev_b64 v[10:11], s12, v[10:11]
	s_add_u32 s12, s12, 8
	s_addc_u32 s13, s13, 0
	v_or_b32_e32 v19, v11, v19
	s_or_b64 s[10:11], vcc, s[10:11]
	v_or_b32_e32 v18, v10, v18
	s_andn2_b64 exec, exec, s[10:11]
	s_cbranch_execnz .LBB1_30
; %bb.31:                               ;   in Loop: Header=BB1_3 Depth=1
	s_or_b64 exec, exec, s[10:11]
.LBB1_32:                               ;   in Loop: Header=BB1_3 Depth=1
	s_or_b64 exec, exec, s[6:7]
	v_mov_b64_e32 v[10:11], v[20:21]
                                        ; implicit-def: $vgpr0
.LBB1_33:                               ;   in Loop: Header=BB1_3 Depth=1
	s_or_saveexec_b64 s[0:1], s[0:1]
	v_mov_b32_e32 v22, 0
	s_xor_b64 exec, exec, s[0:1]
	s_cbranch_execz .LBB1_35
; %bb.34:                               ;   in Loop: Header=BB1_3 Depth=1
	global_load_dwordx2 v[18:19], v[20:21], off
	v_add_u32_e32 v22, -8, v0
.LBB1_35:                               ;   in Loop: Header=BB1_3 Depth=1
	s_or_b64 exec, exec, s[0:1]
	v_cmp_gt_u32_e32 vcc, 8, v22
	v_lshl_add_u64 v[24:25], v[10:11], 0, 8
	s_and_saveexec_b64 s[0:1], vcc
	s_xor_b64 s[0:1], exec, s[0:1]
	s_cbranch_execz .LBB1_41
; %bb.36:                               ;   in Loop: Header=BB1_3 Depth=1
	v_cmp_ne_u32_e32 vcc, 0, v22
	v_mov_b64_e32 v[20:21], 0
	s_and_saveexec_b64 s[6:7], vcc
	s_cbranch_execz .LBB1_40
; %bb.37:                               ;   in Loop: Header=BB1_3 Depth=1
	s_mov_b64 s[10:11], 0
	v_mov_b64_e32 v[20:21], 0
	s_mov_b64 s[12:13], 0
	s_mov_b64 s[14:15], 0
.LBB1_38:                               ;   Parent Loop BB1_3 Depth=1
                                        ; =>  This Inner Loop Header: Depth=2
	v_lshl_add_u64 v[24:25], v[10:11], 0, s[14:15]
	global_load_ubyte v0, v[24:25], off
	s_add_u32 s14, s14, 1
	v_mov_b32_e32 v25, s16
	s_addc_u32 s15, s15, 0
	v_cmp_eq_u32_e32 vcc, s14, v22
	s_waitcnt vmcnt(0)
	v_and_b32_e32 v24, 0xffff, v0
	v_lshlrev_b64 v[24:25], s12, v[24:25]
	s_add_u32 s12, s12, 8
	s_addc_u32 s13, s13, 0
	v_or_b32_e32 v21, v25, v21
	s_or_b64 s[10:11], vcc, s[10:11]
	v_or_b32_e32 v20, v24, v20
	s_andn2_b64 exec, exec, s[10:11]
	s_cbranch_execnz .LBB1_38
; %bb.39:                               ;   in Loop: Header=BB1_3 Depth=1
	s_or_b64 exec, exec, s[10:11]
.LBB1_40:                               ;   in Loop: Header=BB1_3 Depth=1
	s_or_b64 exec, exec, s[6:7]
	v_mov_b64_e32 v[24:25], v[10:11]
                                        ; implicit-def: $vgpr22
.LBB1_41:                               ;   in Loop: Header=BB1_3 Depth=1
	s_or_saveexec_b64 s[0:1], s[0:1]
	v_mov_b32_e32 v0, 0
	s_xor_b64 exec, exec, s[0:1]
	s_cbranch_execz .LBB1_43
; %bb.42:                               ;   in Loop: Header=BB1_3 Depth=1
	global_load_dwordx2 v[20:21], v[10:11], off
	v_add_u32_e32 v0, -8, v22
.LBB1_43:                               ;   in Loop: Header=BB1_3 Depth=1
	s_or_b64 exec, exec, s[0:1]
	v_cmp_gt_u32_e32 vcc, 8, v0
	v_lshl_add_u64 v[10:11], v[24:25], 0, 8
                                        ; implicit-def: $vgpr22_vgpr23
	s_and_saveexec_b64 s[0:1], vcc
	s_xor_b64 s[0:1], exec, s[0:1]
	s_cbranch_execz .LBB1_49
; %bb.44:                               ;   in Loop: Header=BB1_3 Depth=1
	v_cmp_ne_u32_e32 vcc, 0, v0
	v_mov_b64_e32 v[22:23], 0
	s_and_saveexec_b64 s[6:7], vcc
	s_cbranch_execz .LBB1_48
; %bb.45:                               ;   in Loop: Header=BB1_3 Depth=1
	s_mov_b64 s[10:11], 0
	v_mov_b64_e32 v[22:23], 0
	s_mov_b64 s[12:13], 0
	s_mov_b64 s[14:15], 0
.LBB1_46:                               ;   Parent Loop BB1_3 Depth=1
                                        ; =>  This Inner Loop Header: Depth=2
	v_lshl_add_u64 v[10:11], v[24:25], 0, s[14:15]
	global_load_ubyte v10, v[10:11], off
	s_add_u32 s14, s14, 1
	v_mov_b32_e32 v11, s16
	s_addc_u32 s15, s15, 0
	v_cmp_eq_u32_e32 vcc, s14, v0
	s_waitcnt vmcnt(0)
	v_and_b32_e32 v10, 0xffff, v10
	v_lshlrev_b64 v[10:11], s12, v[10:11]
	s_add_u32 s12, s12, 8
	s_addc_u32 s13, s13, 0
	v_or_b32_e32 v23, v11, v23
	s_or_b64 s[10:11], vcc, s[10:11]
	v_or_b32_e32 v22, v10, v22
	s_andn2_b64 exec, exec, s[10:11]
	s_cbranch_execnz .LBB1_46
; %bb.47:                               ;   in Loop: Header=BB1_3 Depth=1
	s_or_b64 exec, exec, s[10:11]
.LBB1_48:                               ;   in Loop: Header=BB1_3 Depth=1
	s_or_b64 exec, exec, s[6:7]
	v_mov_b64_e32 v[10:11], v[24:25]
                                        ; implicit-def: $vgpr0
.LBB1_49:                               ;   in Loop: Header=BB1_3 Depth=1
	s_or_saveexec_b64 s[0:1], s[0:1]
	v_mov_b32_e32 v26, 0
	s_xor_b64 exec, exec, s[0:1]
	s_cbranch_execz .LBB1_51
; %bb.50:                               ;   in Loop: Header=BB1_3 Depth=1
	global_load_dwordx2 v[22:23], v[24:25], off
	v_add_u32_e32 v26, -8, v0
.LBB1_51:                               ;   in Loop: Header=BB1_3 Depth=1
	s_or_b64 exec, exec, s[0:1]
	v_cmp_gt_u32_e32 vcc, 8, v26
	s_and_saveexec_b64 s[0:1], vcc
	s_xor_b64 s[0:1], exec, s[0:1]
	s_cbranch_execz .LBB1_57
; %bb.52:                               ;   in Loop: Header=BB1_3 Depth=1
	v_cmp_ne_u32_e32 vcc, 0, v26
	v_mov_b64_e32 v[24:25], 0
	s_and_saveexec_b64 s[6:7], vcc
	s_cbranch_execz .LBB1_56
; %bb.53:                               ;   in Loop: Header=BB1_3 Depth=1
	s_mov_b64 s[10:11], 0
	v_mov_b64_e32 v[24:25], 0
	s_mov_b64 s[12:13], 0
.LBB1_54:                               ;   Parent Loop BB1_3 Depth=1
                                        ; =>  This Inner Loop Header: Depth=2
	global_load_ubyte v0, v[10:11], off
	v_mov_b32_e32 v29, s16
	v_add_u32_e32 v26, -1, v26
	v_cmp_eq_u32_e32 vcc, 0, v26
	v_lshl_add_u64 v[10:11], v[10:11], 0, 1
	s_waitcnt vmcnt(0)
	v_and_b32_e32 v28, 0xffff, v0
	v_lshlrev_b64 v[28:29], s12, v[28:29]
	s_add_u32 s12, s12, 8
	s_addc_u32 s13, s13, 0
	v_or_b32_e32 v25, v29, v25
	s_or_b64 s[10:11], vcc, s[10:11]
	v_or_b32_e32 v24, v28, v24
	s_andn2_b64 exec, exec, s[10:11]
	s_cbranch_execnz .LBB1_54
; %bb.55:                               ;   in Loop: Header=BB1_3 Depth=1
	s_or_b64 exec, exec, s[10:11]
.LBB1_56:                               ;   in Loop: Header=BB1_3 Depth=1
	s_or_b64 exec, exec, s[6:7]
                                        ; implicit-def: $vgpr10_vgpr11
.LBB1_57:                               ;   in Loop: Header=BB1_3 Depth=1
	s_andn2_saveexec_b64 s[0:1], s[0:1]
	s_cbranch_execz .LBB1_59
; %bb.58:                               ;   in Loop: Header=BB1_3 Depth=1
	global_load_dwordx2 v[24:25], v[10:11], off
.LBB1_59:                               ;   in Loop: Header=BB1_3 Depth=1
	s_or_b64 exec, exec, s[0:1]
	v_readfirstlane_b32 s0, v34
	v_mov_b64_e32 v[10:11], 0
	s_nop 0
	v_cmp_eq_u32_e64 s[0:1], s0, v34
	s_and_saveexec_b64 s[6:7], s[0:1]
	s_cbranch_execz .LBB1_65
; %bb.60:                               ;   in Loop: Header=BB1_3 Depth=1
	s_waitcnt lgkmcnt(0)
	global_load_dwordx2 v[28:29], v33, s[4:5] offset:24 sc0 sc1
	s_waitcnt vmcnt(0)
	buffer_inv sc0 sc1
	global_load_dwordx2 v[10:11], v33, s[4:5] offset:40
	global_load_dwordx2 v[26:27], v33, s[4:5]
	s_waitcnt vmcnt(1)
	v_and_b32_e32 v0, v10, v28
	v_and_b32_e32 v10, v11, v29
	v_mul_lo_u32 v10, v10, 24
	v_mul_hi_u32 v11, v0, 24
	v_add_u32_e32 v11, v11, v10
	v_mul_lo_u32 v10, v0, 24
	s_waitcnt vmcnt(0)
	v_lshl_add_u64 v[10:11], v[26:27], 0, v[10:11]
	global_load_dwordx2 v[26:27], v[10:11], off sc0 sc1
	s_waitcnt vmcnt(0)
	global_atomic_cmpswap_x2 v[10:11], v33, v[26:29], s[4:5] offset:24 sc0 sc1
	s_waitcnt vmcnt(0)
	buffer_inv sc0 sc1
	v_cmp_ne_u64_e32 vcc, v[10:11], v[28:29]
	s_and_saveexec_b64 s[10:11], vcc
	s_cbranch_execz .LBB1_64
; %bb.61:                               ;   in Loop: Header=BB1_3 Depth=1
	s_mov_b64 s[12:13], 0
.LBB1_62:                               ;   Parent Loop BB1_3 Depth=1
                                        ; =>  This Inner Loop Header: Depth=2
	s_sleep 1
	global_load_dwordx2 v[26:27], v33, s[4:5] offset:40
	global_load_dwordx2 v[48:49], v33, s[4:5]
	v_mov_b64_e32 v[28:29], v[10:11]
	s_waitcnt vmcnt(1)
	v_and_b32_e32 v0, v26, v28
	s_waitcnt vmcnt(0)
	v_mad_u64_u32 v[10:11], s[14:15], v0, 24, v[48:49]
	v_and_b32_e32 v27, v27, v29
	v_mov_b32_e32 v0, v11
	v_mad_u64_u32 v[26:27], s[14:15], v27, 24, v[0:1]
	v_mov_b32_e32 v11, v26
	global_load_dwordx2 v[26:27], v[10:11], off sc0 sc1
	s_waitcnt vmcnt(0)
	global_atomic_cmpswap_x2 v[10:11], v33, v[26:29], s[4:5] offset:24 sc0 sc1
	s_waitcnt vmcnt(0)
	buffer_inv sc0 sc1
	v_cmp_eq_u64_e32 vcc, v[10:11], v[28:29]
	s_or_b64 s[12:13], vcc, s[12:13]
	s_andn2_b64 exec, exec, s[12:13]
	s_cbranch_execnz .LBB1_62
; %bb.63:                               ;   in Loop: Header=BB1_3 Depth=1
	s_or_b64 exec, exec, s[12:13]
.LBB1_64:                               ;   in Loop: Header=BB1_3 Depth=1
	s_or_b64 exec, exec, s[10:11]
.LBB1_65:                               ;   in Loop: Header=BB1_3 Depth=1
	s_or_b64 exec, exec, s[6:7]
	s_waitcnt lgkmcnt(0)
	global_load_dwordx2 v[48:49], v33, s[4:5] offset:40
	global_load_dwordx4 v[26:29], v33, s[4:5]
	v_readfirstlane_b32 s7, v11
	v_readfirstlane_b32 s6, v10
	s_mov_b64 s[10:11], exec
	s_waitcnt vmcnt(1)
	v_readfirstlane_b32 s12, v48
	v_readfirstlane_b32 s13, v49
	s_and_b64 s[12:13], s[12:13], s[6:7]
	s_mul_i32 s14, s13, 24
	s_mul_hi_u32 s15, s12, 24
	s_add_i32 s15, s15, s14
	s_mul_i32 s14, s12, 24
	s_waitcnt vmcnt(0)
	v_lshl_add_u64 v[48:49], v[26:27], 0, s[14:15]
	s_and_saveexec_b64 s[14:15], s[0:1]
	s_cbranch_execz .LBB1_67
; %bb.66:                               ;   in Loop: Header=BB1_3 Depth=1
	v_mov_b64_e32 v[10:11], s[10:11]
	global_store_dwordx4 v[48:49], v[10:13], off offset:8
.LBB1_67:                               ;   in Loop: Header=BB1_3 Depth=1
	s_or_b64 exec, exec, s[14:15]
	v_cmp_gt_u64_e32 vcc, 57, v[4:5]
	s_lshl_b64 s[10:11], s[12:13], 12
	v_and_b32_e32 v6, 0xffffff1f, v6
	v_cndmask_b32_e32 v0, 0, v30, vcc
	v_lshl_add_u64 v[10:11], v[28:29], 0, s[10:11]
	v_lshl_add_u32 v28, v38, 2, 28
	v_or_b32_e32 v0, v6, v0
	v_and_or_b32 v6, v28, s17, v0
	v_lshlrev_b32_e32 v32, 6, v34
	v_readfirstlane_b32 s10, v10
	v_readfirstlane_b32 s11, v11
	s_nop 4
	global_store_dwordx4 v32, v[6:9], s[10:11]
	global_store_dwordx4 v32, v[14:17], s[10:11] offset:16
	global_store_dwordx4 v32, v[18:21], s[10:11] offset:32
	;; [unrolled: 1-line block ×3, first 2 shown]
	s_and_saveexec_b64 s[10:11], s[0:1]
	s_cbranch_execz .LBB1_75
; %bb.68:                               ;   in Loop: Header=BB1_3 Depth=1
	global_load_dwordx2 v[18:19], v33, s[4:5] offset:32 sc0 sc1
	global_load_dwordx2 v[6:7], v33, s[4:5] offset:40
	v_mov_b32_e32 v16, s6
	v_mov_b32_e32 v17, s7
	s_waitcnt vmcnt(0)
	v_readfirstlane_b32 s12, v6
	v_readfirstlane_b32 s13, v7
	s_and_b64 s[12:13], s[12:13], s[6:7]
	s_mul_i32 s13, s13, 24
	s_mul_hi_u32 s14, s12, 24
	s_mul_i32 s12, s12, 24
	s_add_i32 s13, s14, s13
	v_lshl_add_u64 v[14:15], v[26:27], 0, s[12:13]
	global_store_dwordx2 v[14:15], v[18:19], off
	buffer_wbl2 sc0 sc1
	s_waitcnt vmcnt(0)
	global_atomic_cmpswap_x2 v[8:9], v33, v[16:19], s[4:5] offset:32 sc0 sc1
	s_waitcnt vmcnt(0)
	v_cmp_ne_u64_e32 vcc, v[8:9], v[18:19]
	s_and_saveexec_b64 s[12:13], vcc
	s_cbranch_execz .LBB1_71
; %bb.69:                               ;   in Loop: Header=BB1_3 Depth=1
	s_mov_b64 s[14:15], 0
.LBB1_70:                               ;   Parent Loop BB1_3 Depth=1
                                        ; =>  This Inner Loop Header: Depth=2
	s_sleep 1
	global_store_dwordx2 v[14:15], v[8:9], off
	v_mov_b32_e32 v6, s6
	v_mov_b32_e32 v7, s7
	buffer_wbl2 sc0 sc1
	s_waitcnt vmcnt(0)
	global_atomic_cmpswap_x2 v[6:7], v33, v[6:9], s[4:5] offset:32 sc0 sc1
	s_waitcnt vmcnt(0)
	v_cmp_eq_u64_e32 vcc, v[6:7], v[8:9]
	s_or_b64 s[14:15], vcc, s[14:15]
	v_mov_b64_e32 v[8:9], v[6:7]
	s_andn2_b64 exec, exec, s[14:15]
	s_cbranch_execnz .LBB1_70
.LBB1_71:                               ;   in Loop: Header=BB1_3 Depth=1
	s_or_b64 exec, exec, s[12:13]
	global_load_dwordx2 v[6:7], v33, s[4:5] offset:16
	s_mov_b64 s[14:15], exec
	v_mbcnt_lo_u32_b32 v0, s14, 0
	v_mbcnt_hi_u32_b32 v0, s15, v0
	v_cmp_eq_u32_e32 vcc, 0, v0
	s_and_saveexec_b64 s[12:13], vcc
	s_cbranch_execz .LBB1_73
; %bb.72:                               ;   in Loop: Header=BB1_3 Depth=1
	s_bcnt1_i32_b64 s14, s[14:15]
	v_mov_b32_e32 v8, s14
	v_mov_b32_e32 v9, v33
	buffer_wbl2 sc0 sc1
	s_waitcnt vmcnt(0)
	global_atomic_add_x2 v[6:7], v[8:9], off offset:8 sc1
.LBB1_73:                               ;   in Loop: Header=BB1_3 Depth=1
	s_or_b64 exec, exec, s[12:13]
	s_waitcnt vmcnt(0)
	global_load_dwordx2 v[8:9], v[6:7], off offset:16
	s_waitcnt vmcnt(0)
	v_cmp_eq_u64_e32 vcc, 0, v[8:9]
	s_cbranch_vccnz .LBB1_75
; %bb.74:                               ;   in Loop: Header=BB1_3 Depth=1
	global_load_dword v6, v[6:7], off offset:24
	v_mov_b32_e32 v7, v33
	s_waitcnt vmcnt(0)
	v_readfirstlane_b32 s12, v6
	s_and_b32 m0, s12, 0xffffff
	buffer_wbl2 sc0 sc1
	global_store_dwordx2 v[8:9], v[6:7], off sc0 sc1
	s_sendmsg sendmsg(MSG_INTERRUPT)
.LBB1_75:                               ;   in Loop: Header=BB1_3 Depth=1
	s_or_b64 exec, exec, s[10:11]
	v_lshl_add_u64 v[6:7], v[10:11], 0, v[32:33]
	s_branch .LBB1_79
.LBB1_76:                               ;   in Loop: Header=BB1_79 Depth=2
	s_or_b64 exec, exec, s[10:11]
	v_readfirstlane_b32 s10, v0
	s_cmp_eq_u32 s10, 0
	s_cbranch_scc1 .LBB1_78
; %bb.77:                               ;   in Loop: Header=BB1_79 Depth=2
	s_sleep 1
	s_cbranch_execnz .LBB1_79
	s_branch .LBB1_81
.LBB1_78:                               ;   in Loop: Header=BB1_3 Depth=1
	s_branch .LBB1_81
.LBB1_79:                               ;   Parent Loop BB1_3 Depth=1
                                        ; =>  This Inner Loop Header: Depth=2
	v_mov_b32_e32 v0, 1
	s_and_saveexec_b64 s[10:11], s[0:1]
	s_cbranch_execz .LBB1_76
; %bb.80:                               ;   in Loop: Header=BB1_79 Depth=2
	global_load_dword v0, v[48:49], off offset:20 sc0 sc1
	s_waitcnt vmcnt(0)
	buffer_inv sc0 sc1
	v_and_b32_e32 v0, 1, v0
	s_branch .LBB1_76
.LBB1_81:                               ;   in Loop: Header=BB1_3 Depth=1
	global_load_dwordx2 v[6:7], v[6:7], off
	s_and_saveexec_b64 s[10:11], s[0:1]
	s_cbranch_execz .LBB1_2
; %bb.82:                               ;   in Loop: Header=BB1_3 Depth=1
	global_load_dwordx2 v[8:9], v33, s[4:5] offset:40
	global_load_dwordx2 v[18:19], v33, s[4:5] offset:24 sc0 sc1
	global_load_dwordx2 v[10:11], v33, s[4:5]
	s_waitcnt vmcnt(2)
	v_readfirstlane_b32 s12, v8
	v_readfirstlane_b32 s13, v9
	s_add_u32 s14, s12, 1
	s_addc_u32 s15, s13, 0
	s_add_u32 s0, s14, s6
	s_addc_u32 s1, s15, s7
	s_cmp_eq_u64 s[0:1], 0
	s_cselect_b32 s1, s15, s1
	s_cselect_b32 s0, s14, s0
	s_and_b64 s[6:7], s[0:1], s[12:13]
	s_mul_i32 s7, s7, 24
	s_mul_hi_u32 s12, s6, 24
	s_mul_i32 s6, s6, 24
	s_add_i32 s7, s12, s7
	s_waitcnt vmcnt(0)
	v_lshl_add_u64 v[14:15], v[10:11], 0, s[6:7]
	v_mov_b32_e32 v16, s0
	global_store_dwordx2 v[14:15], v[18:19], off
	v_mov_b32_e32 v17, s1
	buffer_wbl2 sc0 sc1
	s_waitcnt vmcnt(0)
	global_atomic_cmpswap_x2 v[10:11], v33, v[16:19], s[4:5] offset:24 sc0 sc1
	s_waitcnt vmcnt(0)
	v_cmp_ne_u64_e32 vcc, v[10:11], v[18:19]
	s_and_b64 exec, exec, vcc
	s_cbranch_execz .LBB1_2
; %bb.83:                               ;   in Loop: Header=BB1_3 Depth=1
	s_mov_b64 s[6:7], 0
.LBB1_84:                               ;   Parent Loop BB1_3 Depth=1
                                        ; =>  This Inner Loop Header: Depth=2
	s_sleep 1
	global_store_dwordx2 v[14:15], v[10:11], off
	v_mov_b32_e32 v8, s0
	v_mov_b32_e32 v9, s1
	buffer_wbl2 sc0 sc1
	s_waitcnt vmcnt(0)
	global_atomic_cmpswap_x2 v[8:9], v33, v[8:11], s[4:5] offset:24 sc0 sc1
	s_waitcnt vmcnt(0)
	v_cmp_eq_u64_e32 vcc, v[8:9], v[10:11]
	s_or_b64 s[6:7], vcc, s[6:7]
	v_mov_b64_e32 v[10:11], v[8:9]
	s_andn2_b64 exec, exec, s[6:7]
	s_cbranch_execnz .LBB1_84
	s_branch .LBB1_2
.LBB1_85:
	s_or_b64 exec, exec, s[2:3]
.LBB1_86:
	s_waitcnt vmcnt(0)
	v_mov_b32_e32 v0, v6
	v_mov_b32_e32 v1, v7
	s_waitcnt lgkmcnt(0)
	s_setpc_b64 s[30:31]
.LBB1_87:
                                        ; implicit-def: $vgpr6_vgpr7
	s_cbranch_execz .LBB1_86
; %bb.88:
	s_load_dwordx2 s[2:3], s[8:9], 0x50
	v_mbcnt_hi_u32_b32 v3, -1, v3
	v_mov_b64_e32 v[8:9], 0
	v_readfirstlane_b32 s0, v3
	s_nop 1
	v_cmp_eq_u32_e64 s[0:1], s0, v3
	s_and_saveexec_b64 s[4:5], s[0:1]
	s_cbranch_execz .LBB1_94
; %bb.89:
	v_mov_b32_e32 v0, 0
	s_waitcnt lgkmcnt(0)
	global_load_dwordx2 v[6:7], v0, s[2:3] offset:24 sc0 sc1
	s_waitcnt vmcnt(0)
	buffer_inv sc0 sc1
	global_load_dwordx2 v[4:5], v0, s[2:3] offset:40
	global_load_dwordx2 v[8:9], v0, s[2:3]
	s_waitcnt vmcnt(1)
	v_and_b32_e32 v4, v4, v6
	v_and_b32_e32 v5, v5, v7
	v_mul_lo_u32 v5, v5, 24
	v_mul_hi_u32 v10, v4, 24
	v_add_u32_e32 v5, v10, v5
	v_mul_lo_u32 v4, v4, 24
	s_waitcnt vmcnt(0)
	v_lshl_add_u64 v[4:5], v[8:9], 0, v[4:5]
	global_load_dwordx2 v[4:5], v[4:5], off sc0 sc1
	s_waitcnt vmcnt(0)
	global_atomic_cmpswap_x2 v[8:9], v0, v[4:7], s[2:3] offset:24 sc0 sc1
	s_waitcnt vmcnt(0)
	buffer_inv sc0 sc1
	v_cmp_ne_u64_e32 vcc, v[8:9], v[6:7]
	s_and_saveexec_b64 s[6:7], vcc
	s_cbranch_execz .LBB1_93
; %bb.90:
	s_mov_b64 s[8:9], 0
.LBB1_91:                               ; =>This Inner Loop Header: Depth=1
	s_sleep 1
	global_load_dwordx2 v[4:5], v0, s[2:3] offset:40
	global_load_dwordx2 v[10:11], v0, s[2:3]
	v_mov_b64_e32 v[6:7], v[8:9]
	s_waitcnt vmcnt(1)
	v_and_b32_e32 v4, v4, v6
	v_and_b32_e32 v9, v5, v7
	s_waitcnt vmcnt(0)
	v_mad_u64_u32 v[4:5], s[10:11], v4, 24, v[10:11]
	v_mov_b32_e32 v8, v5
	v_mad_u64_u32 v[8:9], s[10:11], v9, 24, v[8:9]
	v_mov_b32_e32 v5, v8
	global_load_dwordx2 v[4:5], v[4:5], off sc0 sc1
	s_waitcnt vmcnt(0)
	global_atomic_cmpswap_x2 v[8:9], v0, v[4:7], s[2:3] offset:24 sc0 sc1
	s_waitcnt vmcnt(0)
	buffer_inv sc0 sc1
	v_cmp_eq_u64_e32 vcc, v[8:9], v[6:7]
	s_or_b64 s[8:9], vcc, s[8:9]
	s_andn2_b64 exec, exec, s[8:9]
	s_cbranch_execnz .LBB1_91
; %bb.92:
	s_or_b64 exec, exec, s[8:9]
.LBB1_93:
	s_or_b64 exec, exec, s[6:7]
.LBB1_94:
	s_or_b64 exec, exec, s[4:5]
	v_mov_b32_e32 v11, 0
	s_waitcnt lgkmcnt(0)
	global_load_dwordx2 v[12:13], v11, s[2:3] offset:40
	global_load_dwordx4 v[4:7], v11, s[2:3]
	v_readfirstlane_b32 s5, v9
	v_readfirstlane_b32 s4, v8
	s_mov_b64 s[6:7], exec
	s_waitcnt vmcnt(1)
	v_readfirstlane_b32 s8, v12
	v_readfirstlane_b32 s9, v13
	s_and_b64 s[8:9], s[8:9], s[4:5]
	s_mul_i32 s10, s9, 24
	s_mul_hi_u32 s11, s8, 24
	s_add_i32 s11, s11, s10
	s_mul_i32 s10, s8, 24
	s_waitcnt vmcnt(0)
	v_lshl_add_u64 v[8:9], v[4:5], 0, s[10:11]
	s_and_saveexec_b64 s[10:11], s[0:1]
	s_cbranch_execz .LBB1_96
; %bb.95:
	v_mov_b64_e32 v[12:13], s[6:7]
	v_mov_b32_e32 v14, 2
	v_mov_b32_e32 v15, 1
	global_store_dwordx4 v[8:9], v[12:15], off offset:8
.LBB1_96:
	s_or_b64 exec, exec, s[10:11]
	s_lshl_b64 s[6:7], s[8:9], 12
	v_lshl_add_u64 v[6:7], v[6:7], 0, s[6:7]
	s_movk_i32 s6, 0xff1f
	s_mov_b32 s8, 0
	v_and_or_b32 v0, v2, s6, 32
	v_lshlrev_b32_e32 v10, 6, v3
	v_mov_b32_e32 v2, v11
	v_mov_b32_e32 v3, v11
	v_readfirstlane_b32 s6, v6
	v_readfirstlane_b32 s7, v7
	s_mov_b32 s9, s8
	s_mov_b32 s10, s8
	s_mov_b32 s11, s8
	s_nop 1
	global_store_dwordx4 v10, v[0:3], s[6:7]
	s_nop 1
	v_mov_b64_e32 v[0:1], s[8:9]
	v_mov_b64_e32 v[2:3], s[10:11]
	global_store_dwordx4 v10, v[0:3], s[6:7] offset:16
	global_store_dwordx4 v10, v[0:3], s[6:7] offset:32
	;; [unrolled: 1-line block ×3, first 2 shown]
	s_and_saveexec_b64 s[6:7], s[0:1]
	s_cbranch_execz .LBB1_104
; %bb.97:
	v_mov_b32_e32 v12, 0
	global_load_dwordx2 v[16:17], v12, s[2:3] offset:32 sc0 sc1
	global_load_dwordx2 v[0:1], v12, s[2:3] offset:40
	v_mov_b32_e32 v14, s4
	v_mov_b32_e32 v15, s5
	s_waitcnt vmcnt(0)
	v_and_b32_e32 v0, s4, v0
	v_and_b32_e32 v1, s5, v1
	v_mul_lo_u32 v1, v1, 24
	v_mul_hi_u32 v2, v0, 24
	v_mul_lo_u32 v0, v0, 24
	v_add_u32_e32 v1, v2, v1
	v_lshl_add_u64 v[4:5], v[4:5], 0, v[0:1]
	global_store_dwordx2 v[4:5], v[16:17], off
	buffer_wbl2 sc0 sc1
	s_waitcnt vmcnt(0)
	global_atomic_cmpswap_x2 v[2:3], v12, v[14:17], s[2:3] offset:32 sc0 sc1
	s_waitcnt vmcnt(0)
	v_cmp_ne_u64_e32 vcc, v[2:3], v[16:17]
	s_and_saveexec_b64 s[8:9], vcc
	s_cbranch_execz .LBB1_100
; %bb.98:
	s_mov_b64 s[10:11], 0
.LBB1_99:                               ; =>This Inner Loop Header: Depth=1
	s_sleep 1
	global_store_dwordx2 v[4:5], v[2:3], off
	v_mov_b32_e32 v0, s4
	v_mov_b32_e32 v1, s5
	buffer_wbl2 sc0 sc1
	s_waitcnt vmcnt(0)
	global_atomic_cmpswap_x2 v[0:1], v12, v[0:3], s[2:3] offset:32 sc0 sc1
	s_waitcnt vmcnt(0)
	v_cmp_eq_u64_e32 vcc, v[0:1], v[2:3]
	s_or_b64 s[10:11], vcc, s[10:11]
	v_mov_b64_e32 v[2:3], v[0:1]
	s_andn2_b64 exec, exec, s[10:11]
	s_cbranch_execnz .LBB1_99
.LBB1_100:
	s_or_b64 exec, exec, s[8:9]
	v_mov_b32_e32 v3, 0
	global_load_dwordx2 v[0:1], v3, s[2:3] offset:16
	s_mov_b64 s[8:9], exec
	v_mbcnt_lo_u32_b32 v2, s8, 0
	v_mbcnt_hi_u32_b32 v2, s9, v2
	v_cmp_eq_u32_e32 vcc, 0, v2
	s_and_saveexec_b64 s[10:11], vcc
	s_cbranch_execz .LBB1_102
; %bb.101:
	s_bcnt1_i32_b64 s8, s[8:9]
	v_mov_b32_e32 v2, s8
	buffer_wbl2 sc0 sc1
	s_waitcnt vmcnt(0)
	global_atomic_add_x2 v[0:1], v[2:3], off offset:8 sc1
.LBB1_102:
	s_or_b64 exec, exec, s[10:11]
	s_waitcnt vmcnt(0)
	global_load_dwordx2 v[2:3], v[0:1], off offset:16
	s_waitcnt vmcnt(0)
	v_cmp_eq_u64_e32 vcc, 0, v[2:3]
	s_cbranch_vccnz .LBB1_104
; %bb.103:
	global_load_dword v0, v[0:1], off offset:24
	v_mov_b32_e32 v1, 0
	s_waitcnt vmcnt(0)
	v_readfirstlane_b32 s8, v0
	s_and_b32 m0, s8, 0xffffff
	buffer_wbl2 sc0 sc1
	global_store_dwordx2 v[2:3], v[0:1], off sc0 sc1
	s_sendmsg sendmsg(MSG_INTERRUPT)
.LBB1_104:
	s_or_b64 exec, exec, s[6:7]
	v_lshl_add_u64 v[0:1], v[6:7], 0, v[10:11]
	s_branch .LBB1_108
.LBB1_105:                              ;   in Loop: Header=BB1_108 Depth=1
	s_or_b64 exec, exec, s[6:7]
	v_readfirstlane_b32 s6, v2
	s_cmp_eq_u32 s6, 0
	s_cbranch_scc1 .LBB1_107
; %bb.106:                              ;   in Loop: Header=BB1_108 Depth=1
	s_sleep 1
	s_cbranch_execnz .LBB1_108
	s_branch .LBB1_110
.LBB1_107:
	s_branch .LBB1_110
.LBB1_108:                              ; =>This Inner Loop Header: Depth=1
	v_mov_b32_e32 v2, 1
	s_and_saveexec_b64 s[6:7], s[0:1]
	s_cbranch_execz .LBB1_105
; %bb.109:                              ;   in Loop: Header=BB1_108 Depth=1
	global_load_dword v2, v[8:9], off offset:20 sc0 sc1
	s_waitcnt vmcnt(0)
	buffer_inv sc0 sc1
	v_and_b32_e32 v2, 1, v2
	s_branch .LBB1_105
.LBB1_110:
	global_load_dwordx2 v[6:7], v[0:1], off
	s_and_saveexec_b64 s[6:7], s[0:1]
	s_cbranch_execz .LBB1_113
; %bb.111:
	v_mov_b32_e32 v8, 0
	global_load_dwordx2 v[0:1], v8, s[2:3] offset:40
	global_load_dwordx2 v[12:13], v8, s[2:3] offset:24 sc0 sc1
	global_load_dwordx2 v[2:3], v8, s[2:3]
	s_waitcnt vmcnt(2)
	v_readfirstlane_b32 s8, v0
	v_readfirstlane_b32 s9, v1
	s_add_u32 s10, s8, 1
	s_addc_u32 s11, s9, 0
	s_add_u32 s0, s10, s4
	s_addc_u32 s1, s11, s5
	s_cmp_eq_u64 s[0:1], 0
	s_cselect_b32 s1, s11, s1
	s_cselect_b32 s0, s10, s0
	s_and_b64 s[4:5], s[0:1], s[8:9]
	s_mul_i32 s5, s5, 24
	s_mul_hi_u32 s8, s4, 24
	s_mul_i32 s4, s4, 24
	s_add_i32 s5, s8, s5
	s_waitcnt vmcnt(0)
	v_lshl_add_u64 v[4:5], v[2:3], 0, s[4:5]
	v_mov_b32_e32 v10, s0
	global_store_dwordx2 v[4:5], v[12:13], off
	v_mov_b32_e32 v11, s1
	buffer_wbl2 sc0 sc1
	s_waitcnt vmcnt(0)
	global_atomic_cmpswap_x2 v[2:3], v8, v[10:13], s[2:3] offset:24 sc0 sc1
	s_mov_b64 s[4:5], 0
	s_waitcnt vmcnt(0)
	v_cmp_ne_u64_e32 vcc, v[2:3], v[12:13]
	s_and_b64 exec, exec, vcc
	s_cbranch_execz .LBB1_113
.LBB1_112:                              ; =>This Inner Loop Header: Depth=1
	s_sleep 1
	global_store_dwordx2 v[4:5], v[2:3], off
	v_mov_b32_e32 v0, s0
	v_mov_b32_e32 v1, s1
	buffer_wbl2 sc0 sc1
	s_waitcnt vmcnt(0)
	global_atomic_cmpswap_x2 v[0:1], v8, v[0:3], s[2:3] offset:24 sc0 sc1
	s_waitcnt vmcnt(0)
	v_cmp_eq_u64_e32 vcc, v[0:1], v[2:3]
	s_or_b64 s[4:5], vcc, s[4:5]
	v_mov_b64_e32 v[2:3], v[0:1]
	s_andn2_b64 exec, exec, s[4:5]
	s_cbranch_execnz .LBB1_112
.LBB1_113:
	s_or_b64 exec, exec, s[6:7]
	s_waitcnt vmcnt(0)
	v_mov_b32_e32 v0, v6
	v_mov_b32_e32 v1, v7
	s_waitcnt lgkmcnt(0)
	s_setpc_b64 s[30:31]
.Lfunc_end1:
	.size	__ockl_printf_append_string_n, .Lfunc_end1-__ockl_printf_append_string_n
                                        ; -- End function
	.set .L__ockl_printf_append_string_n.num_vgpr, 50
	.set .L__ockl_printf_append_string_n.num_agpr, 0
	.set .L__ockl_printf_append_string_n.numbered_sgpr, 32
	.set .L__ockl_printf_append_string_n.num_named_barrier, 0
	.set .L__ockl_printf_append_string_n.private_seg_size, 0
	.set .L__ockl_printf_append_string_n.uses_vcc, 1
	.set .L__ockl_printf_append_string_n.uses_flat_scratch, 0
	.set .L__ockl_printf_append_string_n.has_dyn_sized_stack, 0
	.set .L__ockl_printf_append_string_n.has_recursion, 0
	.set .L__ockl_printf_append_string_n.has_indirect_call, 0
	.section	.AMDGPU.csdata,"",@progbits
; Function info:
; codeLenInByte = 3812
; TotalNumSgprs: 38
; NumVgprs: 50
; NumAgprs: 0
; TotalNumVgprs: 50
; ScratchSize: 0
; MemoryBound: 0
	.text
	.p2align	2                               ; -- Begin function __ockl_printf_append_args
	.type	__ockl_printf_append_args,@function
__ockl_printf_append_args:              ; @__ockl_printf_append_args
; %bb.0:
	s_waitcnt vmcnt(0) expcnt(0) lgkmcnt(0)
	s_load_dwordx2 s[2:3], s[8:9], 0x50
	v_mbcnt_lo_u32_b32 v5, -1, 0
	v_mbcnt_hi_u32_b32 v5, -1, v5
	v_mov_b64_e32 v[10:11], 0
	v_readfirstlane_b32 s0, v5
	s_nop 1
	v_cmp_eq_u32_e64 s[0:1], s0, v5
	s_and_saveexec_b64 s[4:5], s[0:1]
	s_cbranch_execz .LBB2_6
; %bb.1:
	v_mov_b32_e32 v6, 0
	s_waitcnt lgkmcnt(0)
	global_load_dwordx2 v[12:13], v6, s[2:3] offset:24 sc0 sc1
	s_waitcnt vmcnt(0)
	buffer_inv sc0 sc1
	global_load_dwordx2 v[8:9], v6, s[2:3] offset:40
	global_load_dwordx2 v[10:11], v6, s[2:3]
	s_waitcnt vmcnt(1)
	v_and_b32_e32 v7, v8, v12
	v_and_b32_e32 v8, v9, v13
	v_mul_lo_u32 v8, v8, 24
	v_mul_hi_u32 v9, v7, 24
	v_add_u32_e32 v9, v9, v8
	v_mul_lo_u32 v8, v7, 24
	s_waitcnt vmcnt(0)
	v_lshl_add_u64 v[8:9], v[10:11], 0, v[8:9]
	global_load_dwordx2 v[10:11], v[8:9], off sc0 sc1
	s_waitcnt vmcnt(0)
	global_atomic_cmpswap_x2 v[10:11], v6, v[10:13], s[2:3] offset:24 sc0 sc1
	s_waitcnt vmcnt(0)
	buffer_inv sc0 sc1
	v_cmp_ne_u64_e32 vcc, v[10:11], v[12:13]
	s_and_saveexec_b64 s[6:7], vcc
	s_cbranch_execz .LBB2_5
; %bb.2:
	s_mov_b64 s[8:9], 0
.LBB2_3:                                ; =>This Inner Loop Header: Depth=1
	s_sleep 1
	global_load_dwordx2 v[8:9], v6, s[2:3] offset:40
	global_load_dwordx2 v[14:15], v6, s[2:3]
	v_mov_b64_e32 v[12:13], v[10:11]
	s_waitcnt vmcnt(1)
	v_and_b32_e32 v8, v8, v12
	v_and_b32_e32 v7, v9, v13
	s_waitcnt vmcnt(0)
	v_mad_u64_u32 v[8:9], s[10:11], v8, 24, v[14:15]
	v_mov_b32_e32 v10, v9
	v_mad_u64_u32 v[10:11], s[10:11], v7, 24, v[10:11]
	v_mov_b32_e32 v9, v10
	global_load_dwordx2 v[10:11], v[8:9], off sc0 sc1
	s_waitcnt vmcnt(0)
	global_atomic_cmpswap_x2 v[10:11], v6, v[10:13], s[2:3] offset:24 sc0 sc1
	s_waitcnt vmcnt(0)
	buffer_inv sc0 sc1
	v_cmp_eq_u64_e32 vcc, v[10:11], v[12:13]
	s_or_b64 s[8:9], vcc, s[8:9]
	s_andn2_b64 exec, exec, s[8:9]
	s_cbranch_execnz .LBB2_3
; %bb.4:
	s_or_b64 exec, exec, s[8:9]
.LBB2_5:
	s_or_b64 exec, exec, s[6:7]
.LBB2_6:
	s_or_b64 exec, exec, s[4:5]
	v_mov_b32_e32 v14, 0
	s_waitcnt lgkmcnt(0)
	global_load_dwordx2 v[12:13], v14, s[2:3] offset:40
	global_load_dwordx4 v[6:9], v14, s[2:3]
	v_readfirstlane_b32 s5, v11
	v_readfirstlane_b32 s4, v10
	s_mov_b64 s[6:7], exec
	s_waitcnt vmcnt(1)
	v_readfirstlane_b32 s8, v12
	v_readfirstlane_b32 s9, v13
	s_and_b64 s[8:9], s[8:9], s[4:5]
	s_mul_i32 s10, s9, 24
	s_mul_hi_u32 s11, s8, 24
	s_add_i32 s11, s11, s10
	s_mul_i32 s10, s8, 24
	s_waitcnt vmcnt(0)
	v_lshl_add_u64 v[10:11], v[6:7], 0, s[10:11]
	s_and_saveexec_b64 s[10:11], s[0:1]
	s_cbranch_execz .LBB2_8
; %bb.7:
	v_mov_b64_e32 v[12:13], s[6:7]
	v_mov_b32_e32 v14, 2
	v_mov_b32_e32 v15, 1
	global_store_dwordx4 v[10:11], v[12:15], off offset:8
.LBB2_8:
	s_or_b64 exec, exec, s[10:11]
	s_lshl_b64 s[6:7], s[8:9], 12
	v_or_b32_e32 v12, 2, v0
	v_cmp_eq_u32_e32 vcc, 0, v4
	v_lshl_add_u64 v[8:9], v[8:9], 0, s[6:7]
	s_mov_b32 s8, 0
	v_cndmask_b32_e32 v0, v12, v0, vcc
	s_movk_i32 s6, 0xff1f
	v_and_or_b32 v0, v0, s6, 32
	v_lshlrev_b32_e32 v4, 6, v5
	v_readfirstlane_b32 s6, v8
	v_readfirstlane_b32 s7, v9
	s_mov_b32 s9, s8
	s_mov_b32 s10, s8
	;; [unrolled: 1-line block ×3, first 2 shown]
	s_nop 1
	global_store_dwordx4 v4, v[0:3], s[6:7]
	s_nop 1
	v_mov_b64_e32 v[0:1], s[8:9]
	v_mov_b64_e32 v[2:3], s[10:11]
	global_store_dwordx4 v4, v[0:3], s[6:7] offset:16
	global_store_dwordx4 v4, v[0:3], s[6:7] offset:32
	;; [unrolled: 1-line block ×3, first 2 shown]
	s_and_saveexec_b64 s[6:7], s[0:1]
	s_cbranch_execz .LBB2_16
; %bb.9:
	v_mov_b32_e32 v8, 0
	global_load_dwordx2 v[14:15], v8, s[2:3] offset:32 sc0 sc1
	global_load_dwordx2 v[0:1], v8, s[2:3] offset:40
	v_mov_b32_e32 v12, s4
	v_mov_b32_e32 v13, s5
	s_waitcnt vmcnt(0)
	v_and_b32_e32 v0, s4, v0
	v_and_b32_e32 v1, s5, v1
	v_mul_lo_u32 v1, v1, 24
	v_mul_hi_u32 v2, v0, 24
	v_mul_lo_u32 v0, v0, 24
	v_add_u32_e32 v1, v2, v1
	v_lshl_add_u64 v[4:5], v[6:7], 0, v[0:1]
	global_store_dwordx2 v[4:5], v[14:15], off
	buffer_wbl2 sc0 sc1
	s_waitcnt vmcnt(0)
	global_atomic_cmpswap_x2 v[2:3], v8, v[12:15], s[2:3] offset:32 sc0 sc1
	s_waitcnt vmcnt(0)
	v_cmp_ne_u64_e32 vcc, v[2:3], v[14:15]
	s_and_saveexec_b64 s[8:9], vcc
	s_cbranch_execz .LBB2_12
; %bb.10:
	s_mov_b64 s[10:11], 0
.LBB2_11:                               ; =>This Inner Loop Header: Depth=1
	s_sleep 1
	global_store_dwordx2 v[4:5], v[2:3], off
	v_mov_b32_e32 v0, s4
	v_mov_b32_e32 v1, s5
	buffer_wbl2 sc0 sc1
	s_waitcnt vmcnt(0)
	global_atomic_cmpswap_x2 v[0:1], v8, v[0:3], s[2:3] offset:32 sc0 sc1
	s_waitcnt vmcnt(0)
	v_cmp_eq_u64_e32 vcc, v[0:1], v[2:3]
	s_or_b64 s[10:11], vcc, s[10:11]
	v_mov_b64_e32 v[2:3], v[0:1]
	s_andn2_b64 exec, exec, s[10:11]
	s_cbranch_execnz .LBB2_11
.LBB2_12:
	s_or_b64 exec, exec, s[8:9]
	v_mov_b32_e32 v3, 0
	global_load_dwordx2 v[0:1], v3, s[2:3] offset:16
	s_mov_b64 s[8:9], exec
	v_mbcnt_lo_u32_b32 v2, s8, 0
	v_mbcnt_hi_u32_b32 v2, s9, v2
	v_cmp_eq_u32_e32 vcc, 0, v2
	s_and_saveexec_b64 s[10:11], vcc
	s_cbranch_execz .LBB2_14
; %bb.13:
	s_bcnt1_i32_b64 s8, s[8:9]
	v_mov_b32_e32 v2, s8
	buffer_wbl2 sc0 sc1
	s_waitcnt vmcnt(0)
	global_atomic_add_x2 v[0:1], v[2:3], off offset:8 sc1
.LBB2_14:
	s_or_b64 exec, exec, s[10:11]
	s_waitcnt vmcnt(0)
	global_load_dwordx2 v[2:3], v[0:1], off offset:16
	s_waitcnt vmcnt(0)
	v_cmp_eq_u64_e32 vcc, 0, v[2:3]
	s_cbranch_vccnz .LBB2_16
; %bb.15:
	global_load_dword v0, v[0:1], off offset:24
	v_mov_b32_e32 v1, 0
	s_waitcnt vmcnt(0)
	v_readfirstlane_b32 s8, v0
	s_and_b32 m0, s8, 0xffffff
	buffer_wbl2 sc0 sc1
	global_store_dwordx2 v[2:3], v[0:1], off sc0 sc1
	s_sendmsg sendmsg(MSG_INTERRUPT)
.LBB2_16:
	s_or_b64 exec, exec, s[6:7]
	s_branch .LBB2_20
.LBB2_17:                               ;   in Loop: Header=BB2_20 Depth=1
	s_or_b64 exec, exec, s[6:7]
	v_readfirstlane_b32 s6, v0
	s_cmp_eq_u32 s6, 0
	s_cbranch_scc1 .LBB2_19
; %bb.18:                               ;   in Loop: Header=BB2_20 Depth=1
	s_sleep 1
	s_cbranch_execnz .LBB2_20
	s_branch .LBB2_22
.LBB2_19:
	s_branch .LBB2_22
.LBB2_20:                               ; =>This Inner Loop Header: Depth=1
	v_mov_b32_e32 v0, 1
	s_and_saveexec_b64 s[6:7], s[0:1]
	s_cbranch_execz .LBB2_17
; %bb.21:                               ;   in Loop: Header=BB2_20 Depth=1
	global_load_dword v0, v[10:11], off offset:20 sc0 sc1
	s_waitcnt vmcnt(0)
	buffer_inv sc0 sc1
	v_and_b32_e32 v0, 1, v0
	s_branch .LBB2_17
.LBB2_22:
	s_and_saveexec_b64 s[6:7], s[0:1]
	s_cbranch_execz .LBB2_25
; %bb.23:
	v_mov_b32_e32 v6, 0
	global_load_dwordx2 v[0:1], v6, s[2:3] offset:40
	global_load_dwordx2 v[10:11], v6, s[2:3] offset:24 sc0 sc1
	global_load_dwordx2 v[2:3], v6, s[2:3]
	s_waitcnt vmcnt(2)
	v_readfirstlane_b32 s8, v0
	v_readfirstlane_b32 s9, v1
	s_add_u32 s10, s8, 1
	s_addc_u32 s11, s9, 0
	s_add_u32 s0, s10, s4
	s_addc_u32 s1, s11, s5
	s_cmp_eq_u64 s[0:1], 0
	s_cselect_b32 s1, s11, s1
	s_cselect_b32 s0, s10, s0
	s_and_b64 s[4:5], s[0:1], s[8:9]
	s_mul_i32 s5, s5, 24
	s_mul_hi_u32 s8, s4, 24
	s_mul_i32 s4, s4, 24
	s_add_i32 s5, s8, s5
	s_waitcnt vmcnt(0)
	v_lshl_add_u64 v[4:5], v[2:3], 0, s[4:5]
	v_mov_b32_e32 v8, s0
	global_store_dwordx2 v[4:5], v[10:11], off
	v_mov_b32_e32 v9, s1
	buffer_wbl2 sc0 sc1
	s_waitcnt vmcnt(0)
	global_atomic_cmpswap_x2 v[2:3], v6, v[8:11], s[2:3] offset:24 sc0 sc1
	s_mov_b64 s[4:5], 0
	s_waitcnt vmcnt(0)
	v_cmp_ne_u64_e32 vcc, v[2:3], v[10:11]
	s_and_b64 exec, exec, vcc
	s_cbranch_execz .LBB2_25
.LBB2_24:                               ; =>This Inner Loop Header: Depth=1
	s_sleep 1
	global_store_dwordx2 v[4:5], v[2:3], off
	v_mov_b32_e32 v0, s0
	v_mov_b32_e32 v1, s1
	buffer_wbl2 sc0 sc1
	s_waitcnt vmcnt(0)
	global_atomic_cmpswap_x2 v[0:1], v6, v[0:3], s[2:3] offset:24 sc0 sc1
	s_waitcnt vmcnt(0)
	v_cmp_eq_u64_e32 vcc, v[0:1], v[2:3]
	s_or_b64 s[4:5], vcc, s[4:5]
	v_mov_b64_e32 v[2:3], v[0:1]
	s_andn2_b64 exec, exec, s[4:5]
	s_cbranch_execnz .LBB2_24
.LBB2_25:
	s_or_b64 exec, exec, s[6:7]
	s_waitcnt vmcnt(0) lgkmcnt(0)
	s_setpc_b64 s[30:31]
.Lfunc_end2:
	.size	__ockl_printf_append_args, .Lfunc_end2-__ockl_printf_append_args
                                        ; -- End function
	.set .L__ockl_printf_append_args.num_vgpr, 16
	.set .L__ockl_printf_append_args.num_agpr, 0
	.set .L__ockl_printf_append_args.numbered_sgpr, 32
	.set .L__ockl_printf_append_args.num_named_barrier, 0
	.set .L__ockl_printf_append_args.private_seg_size, 0
	.set .L__ockl_printf_append_args.uses_vcc, 1
	.set .L__ockl_printf_append_args.uses_flat_scratch, 0
	.set .L__ockl_printf_append_args.has_dyn_sized_stack, 0
	.set .L__ockl_printf_append_args.has_recursion, 0
	.set .L__ockl_printf_append_args.has_indirect_call, 0
	.section	.AMDGPU.csdata,"",@progbits
; Function info:
; codeLenInByte = 1216
; TotalNumSgprs: 38
; NumVgprs: 16
; NumAgprs: 0
; TotalNumVgprs: 16
; ScratchSize: 0
; MemoryBound: 0
	.text
	.p2align	2                               ; -- Begin function _ZL14no_device_codePKciS0_iS0_
	.type	_ZL14no_device_codePKciS0_iS0_,@function
_ZL14no_device_codePKciS0_iS0_:         ; @_ZL14no_device_codePKciS0_iS0_
; %bb.0:
	s_waitcnt vmcnt(0) expcnt(0) lgkmcnt(0)
	s_mov_b32 s20, s33
	s_mov_b32 s33, s32
	s_xor_saveexec_b64 s[0:1], -1
	scratch_store_dword off, v35, s33       ; 4-byte Folded Spill
	s_mov_b64 exec, s[0:1]
	v_writelane_b32 v35, s30, 0
	s_add_i32 s32, s32, 16
	s_nop 0
	v_writelane_b32 v35, s31, 1
	s_load_dwordx2 s[2:3], s[8:9], 0x50
	v_mbcnt_lo_u32_b32 v0, -1, 0
	v_mbcnt_hi_u32_b32 v29, -1, v0
	v_mov_b64_e32 v[4:5], 0
	v_readfirstlane_b32 s0, v29
	s_nop 1
	v_cmp_eq_u32_e64 s[0:1], s0, v29
	s_and_saveexec_b64 s[4:5], s[0:1]
	s_cbranch_execz .LBB3_6
; %bb.1:
	v_mov_b32_e32 v0, 0
	s_waitcnt lgkmcnt(0)
	global_load_dwordx2 v[6:7], v0, s[2:3] offset:24 sc0 sc1
	s_waitcnt vmcnt(0)
	buffer_inv sc0 sc1
	global_load_dwordx2 v[2:3], v0, s[2:3] offset:40
	global_load_dwordx2 v[4:5], v0, s[2:3]
	s_waitcnt vmcnt(1)
	v_and_b32_e32 v1, v2, v6
	v_and_b32_e32 v2, v3, v7
	v_mul_lo_u32 v2, v2, 24
	v_mul_hi_u32 v3, v1, 24
	v_add_u32_e32 v3, v3, v2
	v_mul_lo_u32 v2, v1, 24
	s_waitcnt vmcnt(0)
	v_lshl_add_u64 v[2:3], v[4:5], 0, v[2:3]
	global_load_dwordx2 v[4:5], v[2:3], off sc0 sc1
	s_waitcnt vmcnt(0)
	global_atomic_cmpswap_x2 v[4:5], v0, v[4:7], s[2:3] offset:24 sc0 sc1
	s_waitcnt vmcnt(0)
	buffer_inv sc0 sc1
	v_cmp_ne_u64_e32 vcc, v[4:5], v[6:7]
	s_and_saveexec_b64 s[6:7], vcc
	s_cbranch_execz .LBB3_5
; %bb.2:
	s_mov_b64 s[10:11], 0
.LBB3_3:                                ; =>This Inner Loop Header: Depth=1
	s_sleep 1
	global_load_dwordx2 v[2:3], v0, s[2:3] offset:40
	global_load_dwordx2 v[8:9], v0, s[2:3]
	v_mov_b64_e32 v[6:7], v[4:5]
	s_waitcnt vmcnt(1)
	v_and_b32_e32 v2, v2, v6
	v_and_b32_e32 v1, v3, v7
	s_waitcnt vmcnt(0)
	v_mad_u64_u32 v[2:3], s[12:13], v2, 24, v[8:9]
	v_mov_b32_e32 v4, v3
	v_mad_u64_u32 v[4:5], s[12:13], v1, 24, v[4:5]
	v_mov_b32_e32 v3, v4
	global_load_dwordx2 v[4:5], v[2:3], off sc0 sc1
	s_waitcnt vmcnt(0)
	global_atomic_cmpswap_x2 v[4:5], v0, v[4:7], s[2:3] offset:24 sc0 sc1
	s_waitcnt vmcnt(0)
	buffer_inv sc0 sc1
	v_cmp_eq_u64_e32 vcc, v[4:5], v[6:7]
	s_or_b64 s[10:11], vcc, s[10:11]
	s_andn2_b64 exec, exec, s[10:11]
	s_cbranch_execnz .LBB3_3
; %bb.4:
	s_or_b64 exec, exec, s[10:11]
.LBB3_5:
	s_or_b64 exec, exec, s[6:7]
.LBB3_6:
	s_or_b64 exec, exec, s[4:5]
	v_mov_b32_e32 v27, 0
	s_waitcnt lgkmcnt(0)
	global_load_dwordx2 v[6:7], v27, s[2:3] offset:40
	global_load_dwordx4 v[0:3], v27, s[2:3]
	v_readfirstlane_b32 s5, v5
	v_readfirstlane_b32 s4, v4
	s_mov_b64 s[6:7], exec
	s_waitcnt vmcnt(1)
	v_readfirstlane_b32 s10, v6
	v_readfirstlane_b32 s11, v7
	s_and_b64 s[10:11], s[10:11], s[4:5]
	s_mul_i32 s12, s11, 24
	s_mul_hi_u32 s13, s10, 24
	s_add_i32 s13, s13, s12
	s_mul_i32 s12, s10, 24
	s_waitcnt vmcnt(0)
	v_lshl_add_u64 v[4:5], v[0:1], 0, s[12:13]
	s_and_saveexec_b64 s[12:13], s[0:1]
	s_cbranch_execz .LBB3_8
; %bb.7:
	v_mov_b64_e32 v[6:7], s[6:7]
	v_mov_b32_e32 v8, 2
	v_mov_b32_e32 v9, 1
	global_store_dwordx4 v[4:5], v[6:9], off offset:8
.LBB3_8:
	s_or_b64 exec, exec, s[12:13]
	s_lshl_b64 s[6:7], s[10:11], 12
	v_lshl_add_u64 v[6:7], v[2:3], 0, s[6:7]
	s_mov_b32 s12, 0
	v_lshlrev_b32_e32 v26, 6, v29
	v_mov_b32_e32 v8, 33
	v_mov_b32_e32 v9, v27
	;; [unrolled: 1-line block ×4, first 2 shown]
	v_readfirstlane_b32 s6, v6
	v_readfirstlane_b32 s7, v7
	s_mov_b32 s13, s12
	s_mov_b32 s14, s12
	;; [unrolled: 1-line block ×3, first 2 shown]
	s_nop 1
	global_store_dwordx4 v26, v[8:11], s[6:7]
	s_nop 1
	v_mov_b64_e32 v[8:9], s[12:13]
	v_mov_b64_e32 v[10:11], s[14:15]
	global_store_dwordx4 v26, v[8:11], s[6:7] offset:16
	global_store_dwordx4 v26, v[8:11], s[6:7] offset:32
	;; [unrolled: 1-line block ×3, first 2 shown]
	s_and_saveexec_b64 s[6:7], s[0:1]
	s_cbranch_execz .LBB3_16
; %bb.9:
	v_mov_b32_e32 v10, 0
	global_load_dwordx2 v[14:15], v10, s[2:3] offset:32 sc0 sc1
	global_load_dwordx2 v[2:3], v10, s[2:3] offset:40
	v_mov_b32_e32 v12, s4
	v_mov_b32_e32 v13, s5
	s_waitcnt vmcnt(0)
	v_and_b32_e32 v2, s4, v2
	v_and_b32_e32 v3, s5, v3
	v_mul_lo_u32 v3, v3, 24
	v_mul_hi_u32 v8, v2, 24
	v_mul_lo_u32 v2, v2, 24
	v_add_u32_e32 v3, v8, v3
	v_lshl_add_u64 v[8:9], v[0:1], 0, v[2:3]
	global_store_dwordx2 v[8:9], v[14:15], off
	buffer_wbl2 sc0 sc1
	s_waitcnt vmcnt(0)
	global_atomic_cmpswap_x2 v[2:3], v10, v[12:15], s[2:3] offset:32 sc0 sc1
	s_waitcnt vmcnt(0)
	v_cmp_ne_u64_e32 vcc, v[2:3], v[14:15]
	s_and_saveexec_b64 s[10:11], vcc
	s_cbranch_execz .LBB3_12
; %bb.10:
	s_mov_b64 s[12:13], 0
.LBB3_11:                               ; =>This Inner Loop Header: Depth=1
	s_sleep 1
	global_store_dwordx2 v[8:9], v[2:3], off
	v_mov_b32_e32 v0, s4
	v_mov_b32_e32 v1, s5
	buffer_wbl2 sc0 sc1
	s_waitcnt vmcnt(0)
	global_atomic_cmpswap_x2 v[0:1], v10, v[0:3], s[2:3] offset:32 sc0 sc1
	s_waitcnt vmcnt(0)
	v_cmp_eq_u64_e32 vcc, v[0:1], v[2:3]
	s_or_b64 s[12:13], vcc, s[12:13]
	v_mov_b64_e32 v[2:3], v[0:1]
	s_andn2_b64 exec, exec, s[12:13]
	s_cbranch_execnz .LBB3_11
.LBB3_12:
	s_or_b64 exec, exec, s[10:11]
	v_mov_b32_e32 v3, 0
	global_load_dwordx2 v[0:1], v3, s[2:3] offset:16
	s_mov_b64 s[10:11], exec
	v_mbcnt_lo_u32_b32 v2, s10, 0
	v_mbcnt_hi_u32_b32 v2, s11, v2
	v_cmp_eq_u32_e32 vcc, 0, v2
	s_and_saveexec_b64 s[12:13], vcc
	s_cbranch_execz .LBB3_14
; %bb.13:
	s_bcnt1_i32_b64 s10, s[10:11]
	v_mov_b32_e32 v2, s10
	buffer_wbl2 sc0 sc1
	s_waitcnt vmcnt(0)
	global_atomic_add_x2 v[0:1], v[2:3], off offset:8 sc1
.LBB3_14:
	s_or_b64 exec, exec, s[12:13]
	s_waitcnt vmcnt(0)
	global_load_dwordx2 v[2:3], v[0:1], off offset:16
	s_waitcnt vmcnt(0)
	v_cmp_eq_u64_e32 vcc, 0, v[2:3]
	s_cbranch_vccnz .LBB3_16
; %bb.15:
	global_load_dword v0, v[0:1], off offset:24
	v_mov_b32_e32 v1, 0
	s_waitcnt vmcnt(0)
	v_readfirstlane_b32 s10, v0
	s_and_b32 m0, s10, 0xffffff
	buffer_wbl2 sc0 sc1
	global_store_dwordx2 v[2:3], v[0:1], off sc0 sc1
	s_sendmsg sendmsg(MSG_INTERRUPT)
.LBB3_16:
	s_or_b64 exec, exec, s[6:7]
	v_lshl_add_u64 v[0:1], v[6:7], 0, v[26:27]
	s_branch .LBB3_20
.LBB3_17:                               ;   in Loop: Header=BB3_20 Depth=1
	s_or_b64 exec, exec, s[6:7]
	v_readfirstlane_b32 s6, v2
	s_cmp_eq_u32 s6, 0
	s_cbranch_scc1 .LBB3_19
; %bb.18:                               ;   in Loop: Header=BB3_20 Depth=1
	s_sleep 1
	s_cbranch_execnz .LBB3_20
	s_branch .LBB3_22
.LBB3_19:
	s_branch .LBB3_22
.LBB3_20:                               ; =>This Inner Loop Header: Depth=1
	v_mov_b32_e32 v2, 1
	s_and_saveexec_b64 s[6:7], s[0:1]
	s_cbranch_execz .LBB3_17
; %bb.21:                               ;   in Loop: Header=BB3_20 Depth=1
	global_load_dword v2, v[4:5], off offset:20 sc0 sc1
	s_waitcnt vmcnt(0)
	buffer_inv sc0 sc1
	v_and_b32_e32 v2, 1, v2
	s_branch .LBB3_17
.LBB3_22:
	global_load_dwordx2 v[4:5], v[0:1], off
	s_and_saveexec_b64 s[6:7], s[0:1]
	s_cbranch_execz .LBB3_25
; %bb.23:
	v_mov_b32_e32 v8, 0
	global_load_dwordx2 v[0:1], v8, s[2:3] offset:40
	global_load_dwordx2 v[12:13], v8, s[2:3] offset:24 sc0 sc1
	global_load_dwordx2 v[2:3], v8, s[2:3]
	s_waitcnt vmcnt(2)
	v_readfirstlane_b32 s10, v0
	v_readfirstlane_b32 s11, v1
	s_add_u32 s12, s10, 1
	s_addc_u32 s13, s11, 0
	s_add_u32 s0, s12, s4
	s_addc_u32 s1, s13, s5
	s_cmp_eq_u64 s[0:1], 0
	s_cselect_b32 s1, s13, s1
	s_cselect_b32 s0, s12, s0
	s_and_b64 s[4:5], s[0:1], s[10:11]
	s_mul_i32 s5, s5, 24
	s_mul_hi_u32 s10, s4, 24
	s_mul_i32 s4, s4, 24
	s_add_i32 s5, s10, s5
	s_waitcnt vmcnt(0)
	v_lshl_add_u64 v[6:7], v[2:3], 0, s[4:5]
	v_mov_b32_e32 v10, s0
	global_store_dwordx2 v[6:7], v[12:13], off
	v_mov_b32_e32 v11, s1
	buffer_wbl2 sc0 sc1
	s_waitcnt vmcnt(0)
	global_atomic_cmpswap_x2 v[2:3], v8, v[10:13], s[2:3] offset:24 sc0 sc1
	s_mov_b64 s[4:5], 0
	s_waitcnt vmcnt(0)
	v_cmp_ne_u64_e32 vcc, v[2:3], v[12:13]
	s_and_b64 exec, exec, vcc
	s_cbranch_execz .LBB3_25
.LBB3_24:                               ; =>This Inner Loop Header: Depth=1
	s_sleep 1
	global_store_dwordx2 v[6:7], v[2:3], off
	v_mov_b32_e32 v0, s0
	v_mov_b32_e32 v1, s1
	buffer_wbl2 sc0 sc1
	s_waitcnt vmcnt(0)
	global_atomic_cmpswap_x2 v[0:1], v8, v[0:3], s[2:3] offset:24 sc0 sc1
	s_waitcnt vmcnt(0)
	v_cmp_eq_u64_e32 vcc, v[0:1], v[2:3]
	s_or_b64 s[4:5], vcc, s[4:5]
	v_mov_b64_e32 v[2:3], v[0:1]
	s_andn2_b64 exec, exec, s[4:5]
	s_cbranch_execnz .LBB3_24
.LBB3_25:
	s_or_b64 exec, exec, s[6:7]
	s_getpc_b64 s[4:5]
	s_add_u32 s4, s4, .str.5@rel32@lo+4
	s_addc_u32 s5, s5, .str.5@rel32@hi+12
	s_cmp_lg_u64 s[4:5], 0
	s_cbranch_scc0 .LBB3_110
; %bb.26:
	s_waitcnt vmcnt(0)
	v_and_b32_e32 v28, 2, v4
	v_mov_b32_e32 v31, 0
	v_and_b32_e32 v0, -3, v4
	v_mov_b32_e32 v1, v5
	s_mov_b64 s[6:7], 0x4d
	v_mov_b32_e32 v8, 2
	v_mov_b32_e32 v9, 1
	s_branch .LBB3_28
.LBB3_27:                               ;   in Loop: Header=BB3_28 Depth=1
	s_or_b64 exec, exec, s[14:15]
	s_sub_u32 s6, s6, s10
	s_subb_u32 s7, s7, s11
	s_add_u32 s4, s4, s10
	s_addc_u32 s5, s5, s11
	s_cmp_lg_u64 s[6:7], 0
	s_cbranch_scc0 .LBB3_111
.LBB3_28:                               ; =>This Loop Header: Depth=1
                                        ;     Child Loop BB3_31 Depth 2
                                        ;     Child Loop BB3_39 Depth 2
	;; [unrolled: 1-line block ×11, first 2 shown]
	v_cmp_lt_u64_e64 s[0:1], s[6:7], 56
	s_and_b64 s[0:1], s[0:1], exec
	s_cselect_b32 s11, s7, 0
	s_cselect_b32 s10, s6, 56
	v_cmp_gt_u64_e64 s[12:13], s[6:7], 7
	s_add_u32 s0, s4, 8
	s_addc_u32 s1, s5, 0
	s_and_b64 vcc, exec, s[12:13]
	s_cbranch_vccnz .LBB3_32
; %bb.29:                               ;   in Loop: Header=BB3_28 Depth=1
	s_cmp_eq_u64 s[6:7], 0
	s_cbranch_scc1 .LBB3_33
; %bb.30:                               ;   in Loop: Header=BB3_28 Depth=1
	s_lshl_b64 s[0:1], s[10:11], 3
	s_mov_b64 s[12:13], 0
	v_mov_b64_e32 v[2:3], 0
	s_mov_b64 s[14:15], s[4:5]
.LBB3_31:                               ;   Parent Loop BB3_28 Depth=1
                                        ; =>  This Inner Loop Header: Depth=2
	global_load_ubyte v6, v31, s[14:15]
	s_waitcnt vmcnt(0)
	v_and_b32_e32 v30, 0xffff, v6
	v_lshlrev_b64 v[6:7], s12, v[30:31]
	s_add_u32 s12, s12, 8
	s_addc_u32 s13, s13, 0
	s_add_u32 s14, s14, 1
	s_addc_u32 s15, s15, 0
	v_or_b32_e32 v2, v6, v2
	s_cmp_lg_u32 s0, s12
	v_or_b32_e32 v3, v7, v3
	s_cbranch_scc1 .LBB3_31
	s_branch .LBB3_34
.LBB3_32:                               ;   in Loop: Header=BB3_28 Depth=1
	s_mov_b32 s16, 0
	s_branch .LBB3_35
.LBB3_33:                               ;   in Loop: Header=BB3_28 Depth=1
	v_mov_b64_e32 v[2:3], 0
.LBB3_34:                               ;   in Loop: Header=BB3_28 Depth=1
	s_mov_b64 s[0:1], s[4:5]
	s_mov_b32 s16, 0
	s_cbranch_execnz .LBB3_36
.LBB3_35:                               ;   in Loop: Header=BB3_28 Depth=1
	global_load_dwordx2 v[2:3], v31, s[4:5]
	s_add_i32 s16, s10, -8
.LBB3_36:                               ;   in Loop: Header=BB3_28 Depth=1
	s_add_u32 s12, s0, 8
	s_addc_u32 s13, s1, 0
	s_cmp_gt_u32 s16, 7
	s_cbranch_scc1 .LBB3_40
; %bb.37:                               ;   in Loop: Header=BB3_28 Depth=1
	s_cmp_eq_u32 s16, 0
	s_cbranch_scc1 .LBB3_41
; %bb.38:                               ;   in Loop: Header=BB3_28 Depth=1
	s_mov_b64 s[12:13], 0
	v_mov_b64_e32 v[10:11], 0
	s_mov_b64 s[14:15], 0
.LBB3_39:                               ;   Parent Loop BB3_28 Depth=1
                                        ; =>  This Inner Loop Header: Depth=2
	s_add_u32 s18, s0, s14
	s_addc_u32 s19, s1, s15
	global_load_ubyte v6, v31, s[18:19]
	s_add_u32 s14, s14, 1
	s_addc_u32 s15, s15, 0
	s_waitcnt vmcnt(0)
	v_and_b32_e32 v30, 0xffff, v6
	v_lshlrev_b64 v[6:7], s12, v[30:31]
	s_add_u32 s12, s12, 8
	s_addc_u32 s13, s13, 0
	v_or_b32_e32 v10, v6, v10
	s_cmp_lg_u32 s16, s14
	v_or_b32_e32 v11, v7, v11
	s_cbranch_scc1 .LBB3_39
	s_branch .LBB3_42
.LBB3_40:                               ;   in Loop: Header=BB3_28 Depth=1
                                        ; implicit-def: $vgpr10_vgpr11
	s_mov_b32 s17, 0
	s_branch .LBB3_43
.LBB3_41:                               ;   in Loop: Header=BB3_28 Depth=1
	v_mov_b64_e32 v[10:11], 0
.LBB3_42:                               ;   in Loop: Header=BB3_28 Depth=1
	s_mov_b64 s[12:13], s[0:1]
	s_mov_b32 s17, 0
	s_cbranch_execnz .LBB3_44
.LBB3_43:                               ;   in Loop: Header=BB3_28 Depth=1
	global_load_dwordx2 v[10:11], v31, s[0:1]
	s_add_i32 s17, s16, -8
.LBB3_44:                               ;   in Loop: Header=BB3_28 Depth=1
	s_add_u32 s0, s12, 8
	s_addc_u32 s1, s13, 0
	s_cmp_gt_u32 s17, 7
	s_cbranch_scc1 .LBB3_48
; %bb.45:                               ;   in Loop: Header=BB3_28 Depth=1
	s_cmp_eq_u32 s17, 0
	s_cbranch_scc1 .LBB3_49
; %bb.46:                               ;   in Loop: Header=BB3_28 Depth=1
	s_mov_b64 s[0:1], 0
	v_mov_b64_e32 v[12:13], 0
	s_mov_b64 s[14:15], 0
.LBB3_47:                               ;   Parent Loop BB3_28 Depth=1
                                        ; =>  This Inner Loop Header: Depth=2
	s_add_u32 s18, s12, s14
	s_addc_u32 s19, s13, s15
	global_load_ubyte v6, v31, s[18:19]
	s_add_u32 s14, s14, 1
	s_addc_u32 s15, s15, 0
	s_waitcnt vmcnt(0)
	v_and_b32_e32 v30, 0xffff, v6
	v_lshlrev_b64 v[6:7], s0, v[30:31]
	s_add_u32 s0, s0, 8
	s_addc_u32 s1, s1, 0
	v_or_b32_e32 v12, v6, v12
	s_cmp_lg_u32 s17, s14
	v_or_b32_e32 v13, v7, v13
	s_cbranch_scc1 .LBB3_47
	s_branch .LBB3_50
.LBB3_48:                               ;   in Loop: Header=BB3_28 Depth=1
	s_mov_b32 s16, 0
	s_branch .LBB3_51
.LBB3_49:                               ;   in Loop: Header=BB3_28 Depth=1
	v_mov_b64_e32 v[12:13], 0
.LBB3_50:                               ;   in Loop: Header=BB3_28 Depth=1
	s_mov_b64 s[0:1], s[12:13]
	s_mov_b32 s16, 0
	s_cbranch_execnz .LBB3_52
.LBB3_51:                               ;   in Loop: Header=BB3_28 Depth=1
	global_load_dwordx2 v[12:13], v31, s[12:13]
	s_add_i32 s16, s17, -8
.LBB3_52:                               ;   in Loop: Header=BB3_28 Depth=1
	s_add_u32 s12, s0, 8
	s_addc_u32 s13, s1, 0
	s_cmp_gt_u32 s16, 7
	s_cbranch_scc1 .LBB3_56
; %bb.53:                               ;   in Loop: Header=BB3_28 Depth=1
	s_cmp_eq_u32 s16, 0
	s_cbranch_scc1 .LBB3_57
; %bb.54:                               ;   in Loop: Header=BB3_28 Depth=1
	s_mov_b64 s[12:13], 0
	v_mov_b64_e32 v[14:15], 0
	s_mov_b64 s[14:15], 0
.LBB3_55:                               ;   Parent Loop BB3_28 Depth=1
                                        ; =>  This Inner Loop Header: Depth=2
	s_add_u32 s18, s0, s14
	s_addc_u32 s19, s1, s15
	global_load_ubyte v6, v31, s[18:19]
	s_add_u32 s14, s14, 1
	s_addc_u32 s15, s15, 0
	s_waitcnt vmcnt(0)
	v_and_b32_e32 v30, 0xffff, v6
	v_lshlrev_b64 v[6:7], s12, v[30:31]
	s_add_u32 s12, s12, 8
	s_addc_u32 s13, s13, 0
	v_or_b32_e32 v14, v6, v14
	s_cmp_lg_u32 s16, s14
	v_or_b32_e32 v15, v7, v15
	s_cbranch_scc1 .LBB3_55
	s_branch .LBB3_58
.LBB3_56:                               ;   in Loop: Header=BB3_28 Depth=1
                                        ; implicit-def: $vgpr14_vgpr15
	s_mov_b32 s17, 0
	s_branch .LBB3_59
.LBB3_57:                               ;   in Loop: Header=BB3_28 Depth=1
	v_mov_b64_e32 v[14:15], 0
.LBB3_58:                               ;   in Loop: Header=BB3_28 Depth=1
	s_mov_b64 s[12:13], s[0:1]
	s_mov_b32 s17, 0
	s_cbranch_execnz .LBB3_60
.LBB3_59:                               ;   in Loop: Header=BB3_28 Depth=1
	global_load_dwordx2 v[14:15], v31, s[0:1]
	s_add_i32 s17, s16, -8
.LBB3_60:                               ;   in Loop: Header=BB3_28 Depth=1
	s_add_u32 s0, s12, 8
	s_addc_u32 s1, s13, 0
	s_cmp_gt_u32 s17, 7
	s_cbranch_scc1 .LBB3_64
; %bb.61:                               ;   in Loop: Header=BB3_28 Depth=1
	s_cmp_eq_u32 s17, 0
	s_cbranch_scc1 .LBB3_65
; %bb.62:                               ;   in Loop: Header=BB3_28 Depth=1
	s_mov_b64 s[0:1], 0
	v_mov_b64_e32 v[16:17], 0
	s_mov_b64 s[14:15], 0
.LBB3_63:                               ;   Parent Loop BB3_28 Depth=1
                                        ; =>  This Inner Loop Header: Depth=2
	s_add_u32 s18, s12, s14
	s_addc_u32 s19, s13, s15
	global_load_ubyte v6, v31, s[18:19]
	s_add_u32 s14, s14, 1
	s_addc_u32 s15, s15, 0
	s_waitcnt vmcnt(0)
	v_and_b32_e32 v30, 0xffff, v6
	v_lshlrev_b64 v[6:7], s0, v[30:31]
	s_add_u32 s0, s0, 8
	s_addc_u32 s1, s1, 0
	v_or_b32_e32 v16, v6, v16
	s_cmp_lg_u32 s17, s14
	v_or_b32_e32 v17, v7, v17
	s_cbranch_scc1 .LBB3_63
	s_branch .LBB3_66
.LBB3_64:                               ;   in Loop: Header=BB3_28 Depth=1
	s_mov_b32 s16, 0
	s_branch .LBB3_67
.LBB3_65:                               ;   in Loop: Header=BB3_28 Depth=1
	v_mov_b64_e32 v[16:17], 0
.LBB3_66:                               ;   in Loop: Header=BB3_28 Depth=1
	s_mov_b64 s[0:1], s[12:13]
	s_mov_b32 s16, 0
	s_cbranch_execnz .LBB3_68
.LBB3_67:                               ;   in Loop: Header=BB3_28 Depth=1
	global_load_dwordx2 v[16:17], v31, s[12:13]
	s_add_i32 s16, s17, -8
.LBB3_68:                               ;   in Loop: Header=BB3_28 Depth=1
	s_add_u32 s12, s0, 8
	s_addc_u32 s13, s1, 0
	s_cmp_gt_u32 s16, 7
	s_cbranch_scc1 .LBB3_72
; %bb.69:                               ;   in Loop: Header=BB3_28 Depth=1
	s_cmp_eq_u32 s16, 0
	s_cbranch_scc1 .LBB3_73
; %bb.70:                               ;   in Loop: Header=BB3_28 Depth=1
	s_mov_b64 s[12:13], 0
	v_mov_b64_e32 v[18:19], 0
	s_mov_b64 s[14:15], 0
.LBB3_71:                               ;   Parent Loop BB3_28 Depth=1
                                        ; =>  This Inner Loop Header: Depth=2
	s_add_u32 s18, s0, s14
	s_addc_u32 s19, s1, s15
	global_load_ubyte v6, v31, s[18:19]
	s_add_u32 s14, s14, 1
	s_addc_u32 s15, s15, 0
	s_waitcnt vmcnt(0)
	v_and_b32_e32 v30, 0xffff, v6
	v_lshlrev_b64 v[6:7], s12, v[30:31]
	s_add_u32 s12, s12, 8
	s_addc_u32 s13, s13, 0
	v_or_b32_e32 v18, v6, v18
	s_cmp_lg_u32 s16, s14
	v_or_b32_e32 v19, v7, v19
	s_cbranch_scc1 .LBB3_71
	s_branch .LBB3_74
.LBB3_72:                               ;   in Loop: Header=BB3_28 Depth=1
                                        ; implicit-def: $vgpr18_vgpr19
	s_mov_b32 s17, 0
	s_branch .LBB3_75
.LBB3_73:                               ;   in Loop: Header=BB3_28 Depth=1
	v_mov_b64_e32 v[18:19], 0
.LBB3_74:                               ;   in Loop: Header=BB3_28 Depth=1
	s_mov_b64 s[12:13], s[0:1]
	s_mov_b32 s17, 0
	s_cbranch_execnz .LBB3_76
.LBB3_75:                               ;   in Loop: Header=BB3_28 Depth=1
	global_load_dwordx2 v[18:19], v31, s[0:1]
	s_add_i32 s17, s16, -8
.LBB3_76:                               ;   in Loop: Header=BB3_28 Depth=1
	s_cmp_gt_u32 s17, 7
	s_cbranch_scc1 .LBB3_80
; %bb.77:                               ;   in Loop: Header=BB3_28 Depth=1
	s_cmp_eq_u32 s17, 0
	s_cbranch_scc1 .LBB3_81
; %bb.78:                               ;   in Loop: Header=BB3_28 Depth=1
	s_mov_b64 s[0:1], 0
	v_mov_b64_e32 v[20:21], 0
	s_mov_b64 s[14:15], s[12:13]
.LBB3_79:                               ;   Parent Loop BB3_28 Depth=1
                                        ; =>  This Inner Loop Header: Depth=2
	global_load_ubyte v6, v31, s[14:15]
	s_add_i32 s17, s17, -1
	s_waitcnt vmcnt(0)
	v_and_b32_e32 v30, 0xffff, v6
	v_lshlrev_b64 v[6:7], s0, v[30:31]
	s_add_u32 s0, s0, 8
	s_addc_u32 s1, s1, 0
	s_add_u32 s14, s14, 1
	s_addc_u32 s15, s15, 0
	v_or_b32_e32 v20, v6, v20
	s_cmp_lg_u32 s17, 0
	v_or_b32_e32 v21, v7, v21
	s_cbranch_scc1 .LBB3_79
	s_branch .LBB3_82
.LBB3_80:                               ;   in Loop: Header=BB3_28 Depth=1
	s_branch .LBB3_83
.LBB3_81:                               ;   in Loop: Header=BB3_28 Depth=1
	v_mov_b64_e32 v[20:21], 0
.LBB3_82:                               ;   in Loop: Header=BB3_28 Depth=1
	s_cbranch_execnz .LBB3_84
.LBB3_83:                               ;   in Loop: Header=BB3_28 Depth=1
	global_load_dwordx2 v[20:21], v31, s[12:13]
.LBB3_84:                               ;   in Loop: Header=BB3_28 Depth=1
	v_readfirstlane_b32 s0, v29
	v_mov_b64_e32 v[6:7], 0
	s_nop 0
	v_cmp_eq_u32_e64 s[0:1], s0, v29
	s_and_saveexec_b64 s[12:13], s[0:1]
	s_cbranch_execz .LBB3_90
; %bb.85:                               ;   in Loop: Header=BB3_28 Depth=1
	global_load_dwordx2 v[24:25], v31, s[2:3] offset:24 sc0 sc1
	s_waitcnt vmcnt(0)
	buffer_inv sc0 sc1
	global_load_dwordx2 v[6:7], v31, s[2:3] offset:40
	global_load_dwordx2 v[22:23], v31, s[2:3]
	s_waitcnt vmcnt(1)
	v_and_b32_e32 v6, v6, v24
	v_and_b32_e32 v7, v7, v25
	v_mul_lo_u32 v7, v7, 24
	v_mul_hi_u32 v27, v6, 24
	v_add_u32_e32 v7, v27, v7
	v_mul_lo_u32 v6, v6, 24
	s_waitcnt vmcnt(0)
	v_lshl_add_u64 v[6:7], v[22:23], 0, v[6:7]
	global_load_dwordx2 v[22:23], v[6:7], off sc0 sc1
	s_waitcnt vmcnt(0)
	global_atomic_cmpswap_x2 v[6:7], v31, v[22:25], s[2:3] offset:24 sc0 sc1
	s_waitcnt vmcnt(0)
	buffer_inv sc0 sc1
	v_cmp_ne_u64_e32 vcc, v[6:7], v[24:25]
	s_and_saveexec_b64 s[14:15], vcc
	s_cbranch_execz .LBB3_89
; %bb.86:                               ;   in Loop: Header=BB3_28 Depth=1
	s_mov_b64 s[16:17], 0
.LBB3_87:                               ;   Parent Loop BB3_28 Depth=1
                                        ; =>  This Inner Loop Header: Depth=2
	s_sleep 1
	global_load_dwordx2 v[22:23], v31, s[2:3] offset:40
	global_load_dwordx2 v[32:33], v31, s[2:3]
	v_mov_b64_e32 v[24:25], v[6:7]
	s_waitcnt vmcnt(1)
	v_and_b32_e32 v6, v22, v24
	s_waitcnt vmcnt(0)
	v_mad_u64_u32 v[6:7], s[18:19], v6, 24, v[32:33]
	v_and_b32_e32 v23, v23, v25
	v_mov_b32_e32 v22, v7
	v_mad_u64_u32 v[22:23], s[18:19], v23, 24, v[22:23]
	v_mov_b32_e32 v7, v22
	global_load_dwordx2 v[22:23], v[6:7], off sc0 sc1
	s_waitcnt vmcnt(0)
	global_atomic_cmpswap_x2 v[6:7], v31, v[22:25], s[2:3] offset:24 sc0 sc1
	s_waitcnt vmcnt(0)
	buffer_inv sc0 sc1
	v_cmp_eq_u64_e32 vcc, v[6:7], v[24:25]
	s_or_b64 s[16:17], vcc, s[16:17]
	s_andn2_b64 exec, exec, s[16:17]
	s_cbranch_execnz .LBB3_87
; %bb.88:                               ;   in Loop: Header=BB3_28 Depth=1
	s_or_b64 exec, exec, s[16:17]
.LBB3_89:                               ;   in Loop: Header=BB3_28 Depth=1
	s_or_b64 exec, exec, s[14:15]
.LBB3_90:                               ;   in Loop: Header=BB3_28 Depth=1
	s_or_b64 exec, exec, s[12:13]
	global_load_dwordx2 v[32:33], v31, s[2:3] offset:40
	global_load_dwordx4 v[22:25], v31, s[2:3]
	v_readfirstlane_b32 s13, v7
	v_readfirstlane_b32 s12, v6
	s_mov_b64 s[14:15], exec
	s_waitcnt vmcnt(1)
	v_readfirstlane_b32 s16, v32
	v_readfirstlane_b32 s17, v33
	s_and_b64 s[16:17], s[16:17], s[12:13]
	s_mul_i32 s18, s17, 24
	s_mul_hi_u32 s19, s16, 24
	s_add_i32 s19, s19, s18
	s_mul_i32 s18, s16, 24
	s_waitcnt vmcnt(0)
	v_lshl_add_u64 v[32:33], v[22:23], 0, s[18:19]
	s_and_saveexec_b64 s[18:19], s[0:1]
	s_cbranch_execz .LBB3_92
; %bb.91:                               ;   in Loop: Header=BB3_28 Depth=1
	v_mov_b64_e32 v[6:7], s[14:15]
	global_store_dwordx4 v[32:33], v[6:9], off offset:8
.LBB3_92:                               ;   in Loop: Header=BB3_28 Depth=1
	s_or_b64 exec, exec, s[18:19]
	s_lshl_b64 s[14:15], s[16:17], 12
	v_lshl_add_u64 v[6:7], v[24:25], 0, s[14:15]
	v_cmp_lt_u64_e64 vcc, s[6:7], 57
	s_lshl_b32 s14, s10, 2
	s_add_i32 s14, s14, 28
	v_cndmask_b32_e32 v24, 0, v28, vcc
	v_and_b32_e32 v0, 0xffffff1f, v0
	s_and_b32 s14, s14, 0x1e0
	v_or_b32_e32 v0, v0, v24
	v_or_b32_e32 v0, s14, v0
	v_readfirstlane_b32 s14, v6
	v_readfirstlane_b32 s15, v7
	s_nop 4
	global_store_dwordx4 v26, v[0:3], s[14:15]
	global_store_dwordx4 v26, v[10:13], s[14:15] offset:16
	global_store_dwordx4 v26, v[14:17], s[14:15] offset:32
	global_store_dwordx4 v26, v[18:21], s[14:15] offset:48
	s_and_saveexec_b64 s[14:15], s[0:1]
	s_cbranch_execz .LBB3_100
; %bb.93:                               ;   in Loop: Header=BB3_28 Depth=1
	global_load_dwordx2 v[14:15], v31, s[2:3] offset:32 sc0 sc1
	global_load_dwordx2 v[0:1], v31, s[2:3] offset:40
	v_mov_b32_e32 v12, s12
	v_mov_b32_e32 v13, s13
	s_waitcnt vmcnt(0)
	v_readfirstlane_b32 s16, v0
	v_readfirstlane_b32 s17, v1
	s_and_b64 s[16:17], s[16:17], s[12:13]
	s_mul_i32 s17, s17, 24
	s_mul_hi_u32 s18, s16, 24
	s_mul_i32 s16, s16, 24
	s_add_i32 s17, s18, s17
	v_lshl_add_u64 v[10:11], v[22:23], 0, s[16:17]
	global_store_dwordx2 v[10:11], v[14:15], off
	buffer_wbl2 sc0 sc1
	s_waitcnt vmcnt(0)
	global_atomic_cmpswap_x2 v[2:3], v31, v[12:15], s[2:3] offset:32 sc0 sc1
	s_waitcnt vmcnt(0)
	v_cmp_ne_u64_e32 vcc, v[2:3], v[14:15]
	s_and_saveexec_b64 s[16:17], vcc
	s_cbranch_execz .LBB3_96
; %bb.94:                               ;   in Loop: Header=BB3_28 Depth=1
	s_mov_b64 s[18:19], 0
.LBB3_95:                               ;   Parent Loop BB3_28 Depth=1
                                        ; =>  This Inner Loop Header: Depth=2
	s_sleep 1
	global_store_dwordx2 v[10:11], v[2:3], off
	v_mov_b32_e32 v0, s12
	v_mov_b32_e32 v1, s13
	buffer_wbl2 sc0 sc1
	s_waitcnt vmcnt(0)
	global_atomic_cmpswap_x2 v[0:1], v31, v[0:3], s[2:3] offset:32 sc0 sc1
	s_waitcnt vmcnt(0)
	v_cmp_eq_u64_e32 vcc, v[0:1], v[2:3]
	s_or_b64 s[18:19], vcc, s[18:19]
	v_mov_b64_e32 v[2:3], v[0:1]
	s_andn2_b64 exec, exec, s[18:19]
	s_cbranch_execnz .LBB3_95
.LBB3_96:                               ;   in Loop: Header=BB3_28 Depth=1
	s_or_b64 exec, exec, s[16:17]
	global_load_dwordx2 v[0:1], v31, s[2:3] offset:16
	s_mov_b64 s[18:19], exec
	v_mbcnt_lo_u32_b32 v2, s18, 0
	v_mbcnt_hi_u32_b32 v2, s19, v2
	v_cmp_eq_u32_e32 vcc, 0, v2
	s_and_saveexec_b64 s[16:17], vcc
	s_cbranch_execz .LBB3_98
; %bb.97:                               ;   in Loop: Header=BB3_28 Depth=1
	s_bcnt1_i32_b64 s18, s[18:19]
	v_mov_b32_e32 v30, s18
	buffer_wbl2 sc0 sc1
	s_waitcnt vmcnt(0)
	global_atomic_add_x2 v[0:1], v[30:31], off offset:8 sc1
.LBB3_98:                               ;   in Loop: Header=BB3_28 Depth=1
	s_or_b64 exec, exec, s[16:17]
	s_waitcnt vmcnt(0)
	global_load_dwordx2 v[2:3], v[0:1], off offset:16
	s_waitcnt vmcnt(0)
	v_cmp_eq_u64_e32 vcc, 0, v[2:3]
	s_cbranch_vccnz .LBB3_100
; %bb.99:                               ;   in Loop: Header=BB3_28 Depth=1
	global_load_dword v30, v[0:1], off offset:24
	s_waitcnt vmcnt(0)
	v_readfirstlane_b32 s16, v30
	s_and_b32 m0, s16, 0xffffff
	buffer_wbl2 sc0 sc1
	global_store_dwordx2 v[2:3], v[30:31], off sc0 sc1
	s_sendmsg sendmsg(MSG_INTERRUPT)
.LBB3_100:                              ;   in Loop: Header=BB3_28 Depth=1
	s_or_b64 exec, exec, s[14:15]
	v_mov_b32_e32 v27, v31
	v_lshl_add_u64 v[0:1], v[6:7], 0, v[26:27]
	s_branch .LBB3_104
.LBB3_101:                              ;   in Loop: Header=BB3_104 Depth=2
	s_or_b64 exec, exec, s[14:15]
	v_readfirstlane_b32 s14, v2
	s_cmp_eq_u32 s14, 0
	s_cbranch_scc1 .LBB3_103
; %bb.102:                              ;   in Loop: Header=BB3_104 Depth=2
	s_sleep 1
	s_cbranch_execnz .LBB3_104
	s_branch .LBB3_106
.LBB3_103:                              ;   in Loop: Header=BB3_28 Depth=1
	s_branch .LBB3_106
.LBB3_104:                              ;   Parent Loop BB3_28 Depth=1
                                        ; =>  This Inner Loop Header: Depth=2
	v_mov_b32_e32 v2, 1
	s_and_saveexec_b64 s[14:15], s[0:1]
	s_cbranch_execz .LBB3_101
; %bb.105:                              ;   in Loop: Header=BB3_104 Depth=2
	global_load_dword v2, v[32:33], off offset:20 sc0 sc1
	s_waitcnt vmcnt(0)
	buffer_inv sc0 sc1
	v_and_b32_e32 v2, 1, v2
	s_branch .LBB3_101
.LBB3_106:                              ;   in Loop: Header=BB3_28 Depth=1
	global_load_dwordx2 v[0:1], v[0:1], off
	s_and_saveexec_b64 s[14:15], s[0:1]
	s_cbranch_execz .LBB3_27
; %bb.107:                              ;   in Loop: Header=BB3_28 Depth=1
	global_load_dwordx2 v[2:3], v31, s[2:3] offset:40
	global_load_dwordx2 v[14:15], v31, s[2:3] offset:24 sc0 sc1
	global_load_dwordx2 v[6:7], v31, s[2:3]
	s_waitcnt vmcnt(2)
	v_readfirstlane_b32 s16, v2
	v_readfirstlane_b32 s17, v3
	s_add_u32 s18, s16, 1
	s_addc_u32 s19, s17, 0
	s_add_u32 s0, s18, s12
	s_addc_u32 s1, s19, s13
	s_cmp_eq_u64 s[0:1], 0
	s_cselect_b32 s1, s19, s1
	s_cselect_b32 s0, s18, s0
	s_and_b64 s[12:13], s[0:1], s[16:17]
	s_mul_i32 s13, s13, 24
	s_mul_hi_u32 s16, s12, 24
	s_mul_i32 s12, s12, 24
	s_add_i32 s13, s16, s13
	s_waitcnt vmcnt(0)
	v_lshl_add_u64 v[2:3], v[6:7], 0, s[12:13]
	v_mov_b32_e32 v12, s0
	global_store_dwordx2 v[2:3], v[14:15], off
	v_mov_b32_e32 v13, s1
	buffer_wbl2 sc0 sc1
	s_waitcnt vmcnt(0)
	global_atomic_cmpswap_x2 v[12:13], v31, v[12:15], s[2:3] offset:24 sc0 sc1
	s_waitcnt vmcnt(0)
	v_cmp_ne_u64_e32 vcc, v[12:13], v[14:15]
	s_and_b64 exec, exec, vcc
	s_cbranch_execz .LBB3_27
; %bb.108:                              ;   in Loop: Header=BB3_28 Depth=1
	s_mov_b64 s[12:13], 0
.LBB3_109:                              ;   Parent Loop BB3_28 Depth=1
                                        ; =>  This Inner Loop Header: Depth=2
	s_sleep 1
	global_store_dwordx2 v[2:3], v[12:13], off
	v_mov_b32_e32 v10, s0
	v_mov_b32_e32 v11, s1
	buffer_wbl2 sc0 sc1
	s_waitcnt vmcnt(0)
	global_atomic_cmpswap_x2 v[6:7], v31, v[10:13], s[2:3] offset:24 sc0 sc1
	s_waitcnt vmcnt(0)
	v_cmp_eq_u64_e32 vcc, v[6:7], v[12:13]
	s_or_b64 s[12:13], vcc, s[12:13]
	v_mov_b64_e32 v[12:13], v[6:7]
	s_andn2_b64 exec, exec, s[12:13]
	s_cbranch_execnz .LBB3_109
	s_branch .LBB3_27
.LBB3_110:
                                        ; implicit-def: $vgpr0_vgpr1
	s_cbranch_execnz .LBB3_112
	s_branch .LBB3_138
.LBB3_111:
	s_branch .LBB3_138
.LBB3_112:
	v_readfirstlane_b32 s0, v29
	v_mov_b64_e32 v[6:7], 0
	s_nop 0
	v_cmp_eq_u32_e64 s[0:1], s0, v29
	s_and_saveexec_b64 s[4:5], s[0:1]
	s_cbranch_execz .LBB3_118
; %bb.113:
	s_waitcnt vmcnt(0)
	v_mov_b32_e32 v0, 0
	global_load_dwordx2 v[8:9], v0, s[2:3] offset:24 sc0 sc1
	s_waitcnt vmcnt(0)
	buffer_inv sc0 sc1
	global_load_dwordx2 v[2:3], v0, s[2:3] offset:40
	global_load_dwordx2 v[6:7], v0, s[2:3]
	s_waitcnt vmcnt(1)
	v_and_b32_e32 v1, v2, v8
	v_and_b32_e32 v2, v3, v9
	v_mul_lo_u32 v2, v2, 24
	v_mul_hi_u32 v3, v1, 24
	v_add_u32_e32 v3, v3, v2
	v_mul_lo_u32 v2, v1, 24
	s_waitcnt vmcnt(0)
	v_lshl_add_u64 v[2:3], v[6:7], 0, v[2:3]
	global_load_dwordx2 v[6:7], v[2:3], off sc0 sc1
	s_waitcnt vmcnt(0)
	global_atomic_cmpswap_x2 v[6:7], v0, v[6:9], s[2:3] offset:24 sc0 sc1
	s_waitcnt vmcnt(0)
	buffer_inv sc0 sc1
	v_cmp_ne_u64_e32 vcc, v[6:7], v[8:9]
	s_and_saveexec_b64 s[6:7], vcc
	s_cbranch_execz .LBB3_117
; %bb.114:
	s_mov_b64 s[10:11], 0
.LBB3_115:                              ; =>This Inner Loop Header: Depth=1
	s_sleep 1
	global_load_dwordx2 v[2:3], v0, s[2:3] offset:40
	global_load_dwordx2 v[10:11], v0, s[2:3]
	v_mov_b64_e32 v[8:9], v[6:7]
	s_waitcnt vmcnt(1)
	v_and_b32_e32 v2, v2, v8
	v_and_b32_e32 v1, v3, v9
	s_waitcnt vmcnt(0)
	v_mad_u64_u32 v[2:3], s[12:13], v2, 24, v[10:11]
	v_mov_b32_e32 v6, v3
	v_mad_u64_u32 v[6:7], s[12:13], v1, 24, v[6:7]
	v_mov_b32_e32 v3, v6
	global_load_dwordx2 v[6:7], v[2:3], off sc0 sc1
	s_waitcnt vmcnt(0)
	global_atomic_cmpswap_x2 v[6:7], v0, v[6:9], s[2:3] offset:24 sc0 sc1
	s_waitcnt vmcnt(0)
	buffer_inv sc0 sc1
	v_cmp_eq_u64_e32 vcc, v[6:7], v[8:9]
	s_or_b64 s[10:11], vcc, s[10:11]
	s_andn2_b64 exec, exec, s[10:11]
	s_cbranch_execnz .LBB3_115
; %bb.116:
	s_or_b64 exec, exec, s[10:11]
.LBB3_117:
	s_or_b64 exec, exec, s[6:7]
.LBB3_118:
	s_or_b64 exec, exec, s[4:5]
	v_mov_b32_e32 v27, 0
	global_load_dwordx2 v[8:9], v27, s[2:3] offset:40
	global_load_dwordx4 v[0:3], v27, s[2:3]
	v_readfirstlane_b32 s5, v7
	v_readfirstlane_b32 s4, v6
	s_mov_b64 s[6:7], exec
	s_waitcnt vmcnt(1)
	v_readfirstlane_b32 s10, v8
	v_readfirstlane_b32 s11, v9
	s_and_b64 s[10:11], s[10:11], s[4:5]
	s_mul_i32 s12, s11, 24
	s_mul_hi_u32 s13, s10, 24
	s_add_i32 s13, s13, s12
	s_mul_i32 s12, s10, 24
	s_waitcnt vmcnt(0)
	v_lshl_add_u64 v[8:9], v[0:1], 0, s[12:13]
	s_and_saveexec_b64 s[12:13], s[0:1]
	s_cbranch_execz .LBB3_120
; %bb.119:
	v_mov_b64_e32 v[10:11], s[6:7]
	v_mov_b32_e32 v12, 2
	v_mov_b32_e32 v13, 1
	global_store_dwordx4 v[8:9], v[10:13], off offset:8
.LBB3_120:
	s_or_b64 exec, exec, s[12:13]
	s_lshl_b64 s[6:7], s[10:11], 12
	v_lshl_add_u64 v[10:11], v[2:3], 0, s[6:7]
	s_movk_i32 s6, 0xff1f
	s_mov_b32 s12, 0
	v_and_or_b32 v4, v4, s6, 32
	v_mov_b32_e32 v6, v27
	v_mov_b32_e32 v7, v27
	v_readfirstlane_b32 s6, v10
	v_readfirstlane_b32 s7, v11
	s_mov_b32 s13, s12
	s_mov_b32 s14, s12
	;; [unrolled: 1-line block ×3, first 2 shown]
	s_nop 1
	global_store_dwordx4 v26, v[4:7], s[6:7]
	v_mov_b64_e32 v[2:3], s[12:13]
	s_nop 0
	v_mov_b64_e32 v[4:5], s[14:15]
	global_store_dwordx4 v26, v[2:5], s[6:7] offset:16
	global_store_dwordx4 v26, v[2:5], s[6:7] offset:32
	;; [unrolled: 1-line block ×3, first 2 shown]
	s_and_saveexec_b64 s[6:7], s[0:1]
	s_cbranch_execz .LBB3_128
; %bb.121:
	v_mov_b32_e32 v6, 0
	global_load_dwordx2 v[14:15], v6, s[2:3] offset:32 sc0 sc1
	global_load_dwordx2 v[2:3], v6, s[2:3] offset:40
	v_mov_b32_e32 v12, s4
	v_mov_b32_e32 v13, s5
	s_waitcnt vmcnt(0)
	v_readfirstlane_b32 s10, v2
	v_readfirstlane_b32 s11, v3
	s_and_b64 s[10:11], s[10:11], s[4:5]
	s_mul_i32 s11, s11, 24
	s_mul_hi_u32 s12, s10, 24
	s_mul_i32 s10, s10, 24
	s_add_i32 s11, s12, s11
	v_lshl_add_u64 v[4:5], v[0:1], 0, s[10:11]
	global_store_dwordx2 v[4:5], v[14:15], off
	buffer_wbl2 sc0 sc1
	s_waitcnt vmcnt(0)
	global_atomic_cmpswap_x2 v[2:3], v6, v[12:15], s[2:3] offset:32 sc0 sc1
	s_waitcnt vmcnt(0)
	v_cmp_ne_u64_e32 vcc, v[2:3], v[14:15]
	s_and_saveexec_b64 s[10:11], vcc
	s_cbranch_execz .LBB3_124
; %bb.122:
	s_mov_b64 s[12:13], 0
.LBB3_123:                              ; =>This Inner Loop Header: Depth=1
	s_sleep 1
	global_store_dwordx2 v[4:5], v[2:3], off
	v_mov_b32_e32 v0, s4
	v_mov_b32_e32 v1, s5
	buffer_wbl2 sc0 sc1
	s_waitcnt vmcnt(0)
	global_atomic_cmpswap_x2 v[0:1], v6, v[0:3], s[2:3] offset:32 sc0 sc1
	s_waitcnt vmcnt(0)
	v_cmp_eq_u64_e32 vcc, v[0:1], v[2:3]
	s_or_b64 s[12:13], vcc, s[12:13]
	v_mov_b64_e32 v[2:3], v[0:1]
	s_andn2_b64 exec, exec, s[12:13]
	s_cbranch_execnz .LBB3_123
.LBB3_124:
	s_or_b64 exec, exec, s[10:11]
	v_mov_b32_e32 v3, 0
	global_load_dwordx2 v[0:1], v3, s[2:3] offset:16
	s_mov_b64 s[10:11], exec
	v_mbcnt_lo_u32_b32 v2, s10, 0
	v_mbcnt_hi_u32_b32 v2, s11, v2
	v_cmp_eq_u32_e32 vcc, 0, v2
	s_and_saveexec_b64 s[12:13], vcc
	s_cbranch_execz .LBB3_126
; %bb.125:
	s_bcnt1_i32_b64 s10, s[10:11]
	v_mov_b32_e32 v2, s10
	buffer_wbl2 sc0 sc1
	s_waitcnt vmcnt(0)
	global_atomic_add_x2 v[0:1], v[2:3], off offset:8 sc1
.LBB3_126:
	s_or_b64 exec, exec, s[12:13]
	s_waitcnt vmcnt(0)
	global_load_dwordx2 v[2:3], v[0:1], off offset:16
	s_waitcnt vmcnt(0)
	v_cmp_eq_u64_e32 vcc, 0, v[2:3]
	s_cbranch_vccnz .LBB3_128
; %bb.127:
	global_load_dword v0, v[0:1], off offset:24
	v_mov_b32_e32 v1, 0
	s_waitcnt vmcnt(0)
	v_readfirstlane_b32 s10, v0
	s_and_b32 m0, s10, 0xffffff
	buffer_wbl2 sc0 sc1
	global_store_dwordx2 v[2:3], v[0:1], off sc0 sc1
	s_sendmsg sendmsg(MSG_INTERRUPT)
.LBB3_128:
	s_or_b64 exec, exec, s[6:7]
	v_lshl_add_u64 v[0:1], v[10:11], 0, v[26:27]
	s_branch .LBB3_132
.LBB3_129:                              ;   in Loop: Header=BB3_132 Depth=1
	s_or_b64 exec, exec, s[6:7]
	v_readfirstlane_b32 s6, v2
	s_cmp_eq_u32 s6, 0
	s_cbranch_scc1 .LBB3_131
; %bb.130:                              ;   in Loop: Header=BB3_132 Depth=1
	s_sleep 1
	s_cbranch_execnz .LBB3_132
	s_branch .LBB3_134
.LBB3_131:
	s_branch .LBB3_134
.LBB3_132:                              ; =>This Inner Loop Header: Depth=1
	v_mov_b32_e32 v2, 1
	s_and_saveexec_b64 s[6:7], s[0:1]
	s_cbranch_execz .LBB3_129
; %bb.133:                              ;   in Loop: Header=BB3_132 Depth=1
	global_load_dword v2, v[8:9], off offset:20 sc0 sc1
	s_waitcnt vmcnt(0)
	buffer_inv sc0 sc1
	v_and_b32_e32 v2, 1, v2
	s_branch .LBB3_129
.LBB3_134:
	global_load_dwordx2 v[0:1], v[0:1], off
	s_and_saveexec_b64 s[6:7], s[0:1]
	s_cbranch_execz .LBB3_137
; %bb.135:
	v_mov_b32_e32 v8, 0
	global_load_dwordx2 v[2:3], v8, s[2:3] offset:40
	global_load_dwordx2 v[12:13], v8, s[2:3] offset:24 sc0 sc1
	global_load_dwordx2 v[4:5], v8, s[2:3]
	s_waitcnt vmcnt(2)
	v_readfirstlane_b32 s10, v2
	v_readfirstlane_b32 s11, v3
	s_add_u32 s12, s10, 1
	s_addc_u32 s13, s11, 0
	s_add_u32 s0, s12, s4
	s_addc_u32 s1, s13, s5
	s_cmp_eq_u64 s[0:1], 0
	s_cselect_b32 s1, s13, s1
	s_cselect_b32 s0, s12, s0
	s_and_b64 s[4:5], s[0:1], s[10:11]
	s_mul_i32 s5, s5, 24
	s_mul_hi_u32 s10, s4, 24
	s_mul_i32 s4, s4, 24
	s_add_i32 s5, s10, s5
	s_waitcnt vmcnt(0)
	v_lshl_add_u64 v[6:7], v[4:5], 0, s[4:5]
	v_mov_b32_e32 v10, s0
	global_store_dwordx2 v[6:7], v[12:13], off
	v_mov_b32_e32 v11, s1
	buffer_wbl2 sc0 sc1
	s_waitcnt vmcnt(0)
	global_atomic_cmpswap_x2 v[4:5], v8, v[10:13], s[2:3] offset:24 sc0 sc1
	s_mov_b64 s[4:5], 0
	s_waitcnt vmcnt(0)
	v_cmp_ne_u64_e32 vcc, v[4:5], v[12:13]
	s_and_b64 exec, exec, vcc
	s_cbranch_execz .LBB3_137
.LBB3_136:                              ; =>This Inner Loop Header: Depth=1
	s_sleep 1
	global_store_dwordx2 v[6:7], v[4:5], off
	v_mov_b32_e32 v2, s0
	v_mov_b32_e32 v3, s1
	buffer_wbl2 sc0 sc1
	s_waitcnt vmcnt(0)
	global_atomic_cmpswap_x2 v[2:3], v8, v[2:5], s[2:3] offset:24 sc0 sc1
	s_waitcnt vmcnt(0)
	v_cmp_eq_u64_e32 vcc, v[2:3], v[4:5]
	s_or_b64 s[4:5], vcc, s[4:5]
	v_mov_b64_e32 v[4:5], v[2:3]
	s_andn2_b64 exec, exec, s[4:5]
	s_cbranch_execnz .LBB3_136
.LBB3_137:
	s_or_b64 exec, exec, s[6:7]
.LBB3_138:
	s_getpc_b64 s[4:5]
	s_add_u32 s4, s4, .str.3@rel32@lo+4
	s_addc_u32 s5, s5, .str.3@rel32@hi+12
	s_cmp_lg_u64 s[4:5], 0
	s_cselect_b64 s[0:1], -1, 0
	s_cmp_eq_u64 s[4:5], 0
	s_mov_b64 s[4:5], 0
	s_cbranch_scc1 .LBB3_142
; %bb.139:
	v_mov_b32_e32 v2, 0
	s_getpc_b64 s[4:5]
	s_add_u32 s4, s4, .str.3@rel32@lo+3
	s_addc_u32 s5, s5, .str.3@rel32@hi+11
.LBB3_140:                              ; =>This Inner Loop Header: Depth=1
	global_load_ubyte v3, v2, s[4:5] offset:1
	s_add_u32 s6, s4, 1
	s_addc_u32 s7, s5, 0
	s_mov_b64 s[4:5], s[6:7]
	s_waitcnt vmcnt(0)
	v_cmp_ne_u32_e32 vcc, 0, v3
	s_cbranch_vccnz .LBB3_140
; %bb.141:
	s_getpc_b64 s[4:5]
	s_add_u32 s4, s4, .str.3@rel32@lo+4
	s_addc_u32 s5, s5, .str.3@rel32@hi+12
	s_sub_u32 s4, s6, s4
	s_subb_u32 s5, s7, s5
	s_add_u32 s4, s4, 1
	s_addc_u32 s5, s5, 0
.LBB3_142:
	s_and_b64 vcc, exec, s[0:1]
	s_cbranch_vccz .LBB3_227
; %bb.143:
	s_waitcnt vmcnt(0)
	v_and_b32_e32 v28, 2, v0
	v_mov_b32_e32 v31, 0
	v_and_b32_e32 v2, -3, v0
	v_mov_b32_e32 v3, v1
	v_mov_b32_e32 v8, 2
	;; [unrolled: 1-line block ×3, first 2 shown]
	s_getpc_b64 s[6:7]
	s_add_u32 s6, s6, .str.3@rel32@lo+4
	s_addc_u32 s7, s7, .str.3@rel32@hi+12
	s_branch .LBB3_145
.LBB3_144:                              ;   in Loop: Header=BB3_145 Depth=1
	s_or_b64 exec, exec, s[14:15]
	s_sub_u32 s4, s4, s10
	s_subb_u32 s5, s5, s11
	s_add_u32 s6, s6, s10
	s_addc_u32 s7, s7, s11
	s_cmp_lg_u64 s[4:5], 0
	s_cbranch_scc0 .LBB3_228
.LBB3_145:                              ; =>This Loop Header: Depth=1
                                        ;     Child Loop BB3_148 Depth 2
                                        ;     Child Loop BB3_156 Depth 2
                                        ;     Child Loop BB3_164 Depth 2
                                        ;     Child Loop BB3_172 Depth 2
                                        ;     Child Loop BB3_180 Depth 2
                                        ;     Child Loop BB3_188 Depth 2
                                        ;     Child Loop BB3_196 Depth 2
                                        ;     Child Loop BB3_204 Depth 2
                                        ;     Child Loop BB3_212 Depth 2
                                        ;     Child Loop BB3_221 Depth 2
                                        ;     Child Loop BB3_226 Depth 2
	v_cmp_lt_u64_e64 s[0:1], s[4:5], 56
	s_and_b64 s[0:1], s[0:1], exec
	s_cselect_b32 s11, s5, 0
	s_cselect_b32 s10, s4, 56
	v_cmp_gt_u64_e64 s[12:13], s[4:5], 7
	s_add_u32 s0, s6, 8
	s_addc_u32 s1, s7, 0
	s_and_b64 vcc, exec, s[12:13]
	s_cbranch_vccnz .LBB3_149
; %bb.146:                              ;   in Loop: Header=BB3_145 Depth=1
	s_cmp_eq_u64 s[4:5], 0
	s_cbranch_scc1 .LBB3_150
; %bb.147:                              ;   in Loop: Header=BB3_145 Depth=1
	s_lshl_b64 s[0:1], s[10:11], 3
	s_mov_b64 s[12:13], 0
	v_mov_b64_e32 v[4:5], 0
	s_mov_b64 s[14:15], s[6:7]
.LBB3_148:                              ;   Parent Loop BB3_145 Depth=1
                                        ; =>  This Inner Loop Header: Depth=2
	global_load_ubyte v6, v31, s[14:15]
	s_waitcnt vmcnt(0)
	v_and_b32_e32 v30, 0xffff, v6
	v_lshlrev_b64 v[6:7], s12, v[30:31]
	s_add_u32 s12, s12, 8
	s_addc_u32 s13, s13, 0
	s_add_u32 s14, s14, 1
	s_addc_u32 s15, s15, 0
	v_or_b32_e32 v4, v6, v4
	s_cmp_lg_u32 s0, s12
	v_or_b32_e32 v5, v7, v5
	s_cbranch_scc1 .LBB3_148
	s_branch .LBB3_151
.LBB3_149:                              ;   in Loop: Header=BB3_145 Depth=1
	s_mov_b32 s16, 0
	s_branch .LBB3_152
.LBB3_150:                              ;   in Loop: Header=BB3_145 Depth=1
	v_mov_b64_e32 v[4:5], 0
.LBB3_151:                              ;   in Loop: Header=BB3_145 Depth=1
	s_mov_b64 s[0:1], s[6:7]
	s_mov_b32 s16, 0
	s_cbranch_execnz .LBB3_153
.LBB3_152:                              ;   in Loop: Header=BB3_145 Depth=1
	global_load_dwordx2 v[4:5], v31, s[6:7]
	s_add_i32 s16, s10, -8
.LBB3_153:                              ;   in Loop: Header=BB3_145 Depth=1
	s_add_u32 s12, s0, 8
	s_addc_u32 s13, s1, 0
	s_cmp_gt_u32 s16, 7
	s_cbranch_scc1 .LBB3_157
; %bb.154:                              ;   in Loop: Header=BB3_145 Depth=1
	s_cmp_eq_u32 s16, 0
	s_cbranch_scc1 .LBB3_158
; %bb.155:                              ;   in Loop: Header=BB3_145 Depth=1
	s_mov_b64 s[12:13], 0
	v_mov_b64_e32 v[10:11], 0
	s_mov_b64 s[14:15], 0
.LBB3_156:                              ;   Parent Loop BB3_145 Depth=1
                                        ; =>  This Inner Loop Header: Depth=2
	s_add_u32 s18, s0, s14
	s_addc_u32 s19, s1, s15
	global_load_ubyte v6, v31, s[18:19]
	s_add_u32 s14, s14, 1
	s_addc_u32 s15, s15, 0
	s_waitcnt vmcnt(0)
	v_and_b32_e32 v30, 0xffff, v6
	v_lshlrev_b64 v[6:7], s12, v[30:31]
	s_add_u32 s12, s12, 8
	s_addc_u32 s13, s13, 0
	v_or_b32_e32 v10, v6, v10
	s_cmp_lg_u32 s16, s14
	v_or_b32_e32 v11, v7, v11
	s_cbranch_scc1 .LBB3_156
	s_branch .LBB3_159
.LBB3_157:                              ;   in Loop: Header=BB3_145 Depth=1
                                        ; implicit-def: $vgpr10_vgpr11
	s_mov_b32 s17, 0
	s_branch .LBB3_160
.LBB3_158:                              ;   in Loop: Header=BB3_145 Depth=1
	v_mov_b64_e32 v[10:11], 0
.LBB3_159:                              ;   in Loop: Header=BB3_145 Depth=1
	s_mov_b64 s[12:13], s[0:1]
	s_mov_b32 s17, 0
	s_cbranch_execnz .LBB3_161
.LBB3_160:                              ;   in Loop: Header=BB3_145 Depth=1
	global_load_dwordx2 v[10:11], v31, s[0:1]
	s_add_i32 s17, s16, -8
.LBB3_161:                              ;   in Loop: Header=BB3_145 Depth=1
	s_add_u32 s0, s12, 8
	s_addc_u32 s1, s13, 0
	s_cmp_gt_u32 s17, 7
	s_cbranch_scc1 .LBB3_165
; %bb.162:                              ;   in Loop: Header=BB3_145 Depth=1
	s_cmp_eq_u32 s17, 0
	s_cbranch_scc1 .LBB3_166
; %bb.163:                              ;   in Loop: Header=BB3_145 Depth=1
	s_mov_b64 s[0:1], 0
	v_mov_b64_e32 v[12:13], 0
	s_mov_b64 s[14:15], 0
.LBB3_164:                              ;   Parent Loop BB3_145 Depth=1
                                        ; =>  This Inner Loop Header: Depth=2
	s_add_u32 s18, s12, s14
	s_addc_u32 s19, s13, s15
	global_load_ubyte v6, v31, s[18:19]
	s_add_u32 s14, s14, 1
	s_addc_u32 s15, s15, 0
	s_waitcnt vmcnt(0)
	v_and_b32_e32 v30, 0xffff, v6
	v_lshlrev_b64 v[6:7], s0, v[30:31]
	s_add_u32 s0, s0, 8
	s_addc_u32 s1, s1, 0
	v_or_b32_e32 v12, v6, v12
	s_cmp_lg_u32 s17, s14
	v_or_b32_e32 v13, v7, v13
	s_cbranch_scc1 .LBB3_164
	s_branch .LBB3_167
.LBB3_165:                              ;   in Loop: Header=BB3_145 Depth=1
	s_mov_b32 s16, 0
	s_branch .LBB3_168
.LBB3_166:                              ;   in Loop: Header=BB3_145 Depth=1
	v_mov_b64_e32 v[12:13], 0
.LBB3_167:                              ;   in Loop: Header=BB3_145 Depth=1
	s_mov_b64 s[0:1], s[12:13]
	s_mov_b32 s16, 0
	s_cbranch_execnz .LBB3_169
.LBB3_168:                              ;   in Loop: Header=BB3_145 Depth=1
	global_load_dwordx2 v[12:13], v31, s[12:13]
	s_add_i32 s16, s17, -8
.LBB3_169:                              ;   in Loop: Header=BB3_145 Depth=1
	s_add_u32 s12, s0, 8
	s_addc_u32 s13, s1, 0
	s_cmp_gt_u32 s16, 7
	s_cbranch_scc1 .LBB3_173
; %bb.170:                              ;   in Loop: Header=BB3_145 Depth=1
	s_cmp_eq_u32 s16, 0
	s_cbranch_scc1 .LBB3_174
; %bb.171:                              ;   in Loop: Header=BB3_145 Depth=1
	s_mov_b64 s[12:13], 0
	v_mov_b64_e32 v[14:15], 0
	s_mov_b64 s[14:15], 0
.LBB3_172:                              ;   Parent Loop BB3_145 Depth=1
                                        ; =>  This Inner Loop Header: Depth=2
	s_add_u32 s18, s0, s14
	s_addc_u32 s19, s1, s15
	global_load_ubyte v6, v31, s[18:19]
	s_add_u32 s14, s14, 1
	s_addc_u32 s15, s15, 0
	s_waitcnt vmcnt(0)
	v_and_b32_e32 v30, 0xffff, v6
	v_lshlrev_b64 v[6:7], s12, v[30:31]
	s_add_u32 s12, s12, 8
	s_addc_u32 s13, s13, 0
	v_or_b32_e32 v14, v6, v14
	s_cmp_lg_u32 s16, s14
	v_or_b32_e32 v15, v7, v15
	s_cbranch_scc1 .LBB3_172
	s_branch .LBB3_175
.LBB3_173:                              ;   in Loop: Header=BB3_145 Depth=1
                                        ; implicit-def: $vgpr14_vgpr15
	s_mov_b32 s17, 0
	s_branch .LBB3_176
.LBB3_174:                              ;   in Loop: Header=BB3_145 Depth=1
	v_mov_b64_e32 v[14:15], 0
.LBB3_175:                              ;   in Loop: Header=BB3_145 Depth=1
	s_mov_b64 s[12:13], s[0:1]
	s_mov_b32 s17, 0
	s_cbranch_execnz .LBB3_177
.LBB3_176:                              ;   in Loop: Header=BB3_145 Depth=1
	global_load_dwordx2 v[14:15], v31, s[0:1]
	s_add_i32 s17, s16, -8
.LBB3_177:                              ;   in Loop: Header=BB3_145 Depth=1
	s_add_u32 s0, s12, 8
	s_addc_u32 s1, s13, 0
	s_cmp_gt_u32 s17, 7
	s_cbranch_scc1 .LBB3_181
; %bb.178:                              ;   in Loop: Header=BB3_145 Depth=1
	s_cmp_eq_u32 s17, 0
	s_cbranch_scc1 .LBB3_182
; %bb.179:                              ;   in Loop: Header=BB3_145 Depth=1
	s_mov_b64 s[0:1], 0
	v_mov_b64_e32 v[16:17], 0
	s_mov_b64 s[14:15], 0
.LBB3_180:                              ;   Parent Loop BB3_145 Depth=1
                                        ; =>  This Inner Loop Header: Depth=2
	s_add_u32 s18, s12, s14
	s_addc_u32 s19, s13, s15
	global_load_ubyte v6, v31, s[18:19]
	s_add_u32 s14, s14, 1
	s_addc_u32 s15, s15, 0
	s_waitcnt vmcnt(0)
	v_and_b32_e32 v30, 0xffff, v6
	v_lshlrev_b64 v[6:7], s0, v[30:31]
	s_add_u32 s0, s0, 8
	s_addc_u32 s1, s1, 0
	v_or_b32_e32 v16, v6, v16
	s_cmp_lg_u32 s17, s14
	v_or_b32_e32 v17, v7, v17
	s_cbranch_scc1 .LBB3_180
	s_branch .LBB3_183
.LBB3_181:                              ;   in Loop: Header=BB3_145 Depth=1
	s_mov_b32 s16, 0
	s_branch .LBB3_184
.LBB3_182:                              ;   in Loop: Header=BB3_145 Depth=1
	v_mov_b64_e32 v[16:17], 0
.LBB3_183:                              ;   in Loop: Header=BB3_145 Depth=1
	s_mov_b64 s[0:1], s[12:13]
	s_mov_b32 s16, 0
	s_cbranch_execnz .LBB3_185
.LBB3_184:                              ;   in Loop: Header=BB3_145 Depth=1
	global_load_dwordx2 v[16:17], v31, s[12:13]
	s_add_i32 s16, s17, -8
.LBB3_185:                              ;   in Loop: Header=BB3_145 Depth=1
	s_add_u32 s12, s0, 8
	s_addc_u32 s13, s1, 0
	s_cmp_gt_u32 s16, 7
	s_cbranch_scc1 .LBB3_189
; %bb.186:                              ;   in Loop: Header=BB3_145 Depth=1
	s_cmp_eq_u32 s16, 0
	s_cbranch_scc1 .LBB3_190
; %bb.187:                              ;   in Loop: Header=BB3_145 Depth=1
	s_mov_b64 s[12:13], 0
	v_mov_b64_e32 v[18:19], 0
	s_mov_b64 s[14:15], 0
.LBB3_188:                              ;   Parent Loop BB3_145 Depth=1
                                        ; =>  This Inner Loop Header: Depth=2
	s_add_u32 s18, s0, s14
	s_addc_u32 s19, s1, s15
	global_load_ubyte v6, v31, s[18:19]
	s_add_u32 s14, s14, 1
	s_addc_u32 s15, s15, 0
	s_waitcnt vmcnt(0)
	v_and_b32_e32 v30, 0xffff, v6
	v_lshlrev_b64 v[6:7], s12, v[30:31]
	s_add_u32 s12, s12, 8
	s_addc_u32 s13, s13, 0
	v_or_b32_e32 v18, v6, v18
	s_cmp_lg_u32 s16, s14
	v_or_b32_e32 v19, v7, v19
	s_cbranch_scc1 .LBB3_188
	s_branch .LBB3_191
.LBB3_189:                              ;   in Loop: Header=BB3_145 Depth=1
                                        ; implicit-def: $vgpr18_vgpr19
	s_mov_b32 s17, 0
	s_branch .LBB3_192
.LBB3_190:                              ;   in Loop: Header=BB3_145 Depth=1
	v_mov_b64_e32 v[18:19], 0
.LBB3_191:                              ;   in Loop: Header=BB3_145 Depth=1
	s_mov_b64 s[12:13], s[0:1]
	s_mov_b32 s17, 0
	s_cbranch_execnz .LBB3_193
.LBB3_192:                              ;   in Loop: Header=BB3_145 Depth=1
	global_load_dwordx2 v[18:19], v31, s[0:1]
	s_add_i32 s17, s16, -8
.LBB3_193:                              ;   in Loop: Header=BB3_145 Depth=1
	s_cmp_gt_u32 s17, 7
	s_cbranch_scc1 .LBB3_197
; %bb.194:                              ;   in Loop: Header=BB3_145 Depth=1
	s_cmp_eq_u32 s17, 0
	s_cbranch_scc1 .LBB3_198
; %bb.195:                              ;   in Loop: Header=BB3_145 Depth=1
	s_mov_b64 s[0:1], 0
	v_mov_b64_e32 v[20:21], 0
	s_mov_b64 s[14:15], s[12:13]
.LBB3_196:                              ;   Parent Loop BB3_145 Depth=1
                                        ; =>  This Inner Loop Header: Depth=2
	global_load_ubyte v6, v31, s[14:15]
	s_add_i32 s17, s17, -1
	s_waitcnt vmcnt(0)
	v_and_b32_e32 v30, 0xffff, v6
	v_lshlrev_b64 v[6:7], s0, v[30:31]
	s_add_u32 s0, s0, 8
	s_addc_u32 s1, s1, 0
	s_add_u32 s14, s14, 1
	s_addc_u32 s15, s15, 0
	v_or_b32_e32 v20, v6, v20
	s_cmp_lg_u32 s17, 0
	v_or_b32_e32 v21, v7, v21
	s_cbranch_scc1 .LBB3_196
	s_branch .LBB3_199
.LBB3_197:                              ;   in Loop: Header=BB3_145 Depth=1
	s_branch .LBB3_200
.LBB3_198:                              ;   in Loop: Header=BB3_145 Depth=1
	v_mov_b64_e32 v[20:21], 0
.LBB3_199:                              ;   in Loop: Header=BB3_145 Depth=1
	s_cbranch_execnz .LBB3_201
.LBB3_200:                              ;   in Loop: Header=BB3_145 Depth=1
	global_load_dwordx2 v[20:21], v31, s[12:13]
.LBB3_201:                              ;   in Loop: Header=BB3_145 Depth=1
	v_readfirstlane_b32 s0, v29
	v_mov_b64_e32 v[6:7], 0
	s_nop 0
	v_cmp_eq_u32_e64 s[0:1], s0, v29
	s_and_saveexec_b64 s[12:13], s[0:1]
	s_cbranch_execz .LBB3_207
; %bb.202:                              ;   in Loop: Header=BB3_145 Depth=1
	global_load_dwordx2 v[24:25], v31, s[2:3] offset:24 sc0 sc1
	s_waitcnt vmcnt(0)
	buffer_inv sc0 sc1
	global_load_dwordx2 v[6:7], v31, s[2:3] offset:40
	global_load_dwordx2 v[22:23], v31, s[2:3]
	s_waitcnt vmcnt(1)
	v_and_b32_e32 v6, v6, v24
	v_and_b32_e32 v7, v7, v25
	v_mul_lo_u32 v7, v7, 24
	v_mul_hi_u32 v27, v6, 24
	v_add_u32_e32 v7, v27, v7
	v_mul_lo_u32 v6, v6, 24
	s_waitcnt vmcnt(0)
	v_lshl_add_u64 v[6:7], v[22:23], 0, v[6:7]
	global_load_dwordx2 v[22:23], v[6:7], off sc0 sc1
	s_waitcnt vmcnt(0)
	global_atomic_cmpswap_x2 v[6:7], v31, v[22:25], s[2:3] offset:24 sc0 sc1
	s_waitcnt vmcnt(0)
	buffer_inv sc0 sc1
	v_cmp_ne_u64_e32 vcc, v[6:7], v[24:25]
	s_and_saveexec_b64 s[14:15], vcc
	s_cbranch_execz .LBB3_206
; %bb.203:                              ;   in Loop: Header=BB3_145 Depth=1
	s_mov_b64 s[16:17], 0
.LBB3_204:                              ;   Parent Loop BB3_145 Depth=1
                                        ; =>  This Inner Loop Header: Depth=2
	s_sleep 1
	global_load_dwordx2 v[22:23], v31, s[2:3] offset:40
	global_load_dwordx2 v[32:33], v31, s[2:3]
	v_mov_b64_e32 v[24:25], v[6:7]
	s_waitcnt vmcnt(1)
	v_and_b32_e32 v6, v22, v24
	s_waitcnt vmcnt(0)
	v_mad_u64_u32 v[6:7], s[18:19], v6, 24, v[32:33]
	v_and_b32_e32 v23, v23, v25
	v_mov_b32_e32 v22, v7
	v_mad_u64_u32 v[22:23], s[18:19], v23, 24, v[22:23]
	v_mov_b32_e32 v7, v22
	global_load_dwordx2 v[22:23], v[6:7], off sc0 sc1
	s_waitcnt vmcnt(0)
	global_atomic_cmpswap_x2 v[6:7], v31, v[22:25], s[2:3] offset:24 sc0 sc1
	s_waitcnt vmcnt(0)
	buffer_inv sc0 sc1
	v_cmp_eq_u64_e32 vcc, v[6:7], v[24:25]
	s_or_b64 s[16:17], vcc, s[16:17]
	s_andn2_b64 exec, exec, s[16:17]
	s_cbranch_execnz .LBB3_204
; %bb.205:                              ;   in Loop: Header=BB3_145 Depth=1
	s_or_b64 exec, exec, s[16:17]
.LBB3_206:                              ;   in Loop: Header=BB3_145 Depth=1
	s_or_b64 exec, exec, s[14:15]
.LBB3_207:                              ;   in Loop: Header=BB3_145 Depth=1
	s_or_b64 exec, exec, s[12:13]
	global_load_dwordx2 v[32:33], v31, s[2:3] offset:40
	global_load_dwordx4 v[22:25], v31, s[2:3]
	v_readfirstlane_b32 s13, v7
	v_readfirstlane_b32 s12, v6
	s_mov_b64 s[14:15], exec
	s_waitcnt vmcnt(1)
	v_readfirstlane_b32 s16, v32
	v_readfirstlane_b32 s17, v33
	s_and_b64 s[16:17], s[16:17], s[12:13]
	s_mul_i32 s18, s17, 24
	s_mul_hi_u32 s19, s16, 24
	s_add_i32 s19, s19, s18
	s_mul_i32 s18, s16, 24
	s_waitcnt vmcnt(0)
	v_lshl_add_u64 v[32:33], v[22:23], 0, s[18:19]
	s_and_saveexec_b64 s[18:19], s[0:1]
	s_cbranch_execz .LBB3_209
; %bb.208:                              ;   in Loop: Header=BB3_145 Depth=1
	v_mov_b64_e32 v[6:7], s[14:15]
	global_store_dwordx4 v[32:33], v[6:9], off offset:8
.LBB3_209:                              ;   in Loop: Header=BB3_145 Depth=1
	s_or_b64 exec, exec, s[18:19]
	s_lshl_b64 s[14:15], s[16:17], 12
	v_lshl_add_u64 v[6:7], v[24:25], 0, s[14:15]
	v_cmp_lt_u64_e64 vcc, s[4:5], 57
	s_lshl_b32 s14, s10, 2
	s_add_i32 s14, s14, 28
	v_cndmask_b32_e32 v24, 0, v28, vcc
	v_and_b32_e32 v2, 0xffffff1f, v2
	s_and_b32 s14, s14, 0x1e0
	v_or_b32_e32 v2, v2, v24
	v_or_b32_e32 v2, s14, v2
	v_readfirstlane_b32 s14, v6
	v_readfirstlane_b32 s15, v7
	s_nop 4
	global_store_dwordx4 v26, v[2:5], s[14:15]
	global_store_dwordx4 v26, v[10:13], s[14:15] offset:16
	global_store_dwordx4 v26, v[14:17], s[14:15] offset:32
	;; [unrolled: 1-line block ×3, first 2 shown]
	s_and_saveexec_b64 s[14:15], s[0:1]
	s_cbranch_execz .LBB3_217
; %bb.210:                              ;   in Loop: Header=BB3_145 Depth=1
	global_load_dwordx2 v[14:15], v31, s[2:3] offset:32 sc0 sc1
	global_load_dwordx2 v[2:3], v31, s[2:3] offset:40
	v_mov_b32_e32 v12, s12
	v_mov_b32_e32 v13, s13
	s_waitcnt vmcnt(0)
	v_readfirstlane_b32 s16, v2
	v_readfirstlane_b32 s17, v3
	s_and_b64 s[16:17], s[16:17], s[12:13]
	s_mul_i32 s17, s17, 24
	s_mul_hi_u32 s18, s16, 24
	s_mul_i32 s16, s16, 24
	s_add_i32 s17, s18, s17
	v_lshl_add_u64 v[10:11], v[22:23], 0, s[16:17]
	global_store_dwordx2 v[10:11], v[14:15], off
	buffer_wbl2 sc0 sc1
	s_waitcnt vmcnt(0)
	global_atomic_cmpswap_x2 v[4:5], v31, v[12:15], s[2:3] offset:32 sc0 sc1
	s_waitcnt vmcnt(0)
	v_cmp_ne_u64_e32 vcc, v[4:5], v[14:15]
	s_and_saveexec_b64 s[16:17], vcc
	s_cbranch_execz .LBB3_213
; %bb.211:                              ;   in Loop: Header=BB3_145 Depth=1
	s_mov_b64 s[18:19], 0
.LBB3_212:                              ;   Parent Loop BB3_145 Depth=1
                                        ; =>  This Inner Loop Header: Depth=2
	s_sleep 1
	global_store_dwordx2 v[10:11], v[4:5], off
	v_mov_b32_e32 v2, s12
	v_mov_b32_e32 v3, s13
	buffer_wbl2 sc0 sc1
	s_waitcnt vmcnt(0)
	global_atomic_cmpswap_x2 v[2:3], v31, v[2:5], s[2:3] offset:32 sc0 sc1
	s_waitcnt vmcnt(0)
	v_cmp_eq_u64_e32 vcc, v[2:3], v[4:5]
	s_or_b64 s[18:19], vcc, s[18:19]
	v_mov_b64_e32 v[4:5], v[2:3]
	s_andn2_b64 exec, exec, s[18:19]
	s_cbranch_execnz .LBB3_212
.LBB3_213:                              ;   in Loop: Header=BB3_145 Depth=1
	s_or_b64 exec, exec, s[16:17]
	global_load_dwordx2 v[2:3], v31, s[2:3] offset:16
	s_mov_b64 s[18:19], exec
	v_mbcnt_lo_u32_b32 v4, s18, 0
	v_mbcnt_hi_u32_b32 v4, s19, v4
	v_cmp_eq_u32_e32 vcc, 0, v4
	s_and_saveexec_b64 s[16:17], vcc
	s_cbranch_execz .LBB3_215
; %bb.214:                              ;   in Loop: Header=BB3_145 Depth=1
	s_bcnt1_i32_b64 s18, s[18:19]
	v_mov_b32_e32 v30, s18
	buffer_wbl2 sc0 sc1
	s_waitcnt vmcnt(0)
	global_atomic_add_x2 v[2:3], v[30:31], off offset:8 sc1
.LBB3_215:                              ;   in Loop: Header=BB3_145 Depth=1
	s_or_b64 exec, exec, s[16:17]
	s_waitcnt vmcnt(0)
	global_load_dwordx2 v[4:5], v[2:3], off offset:16
	s_waitcnt vmcnt(0)
	v_cmp_eq_u64_e32 vcc, 0, v[4:5]
	s_cbranch_vccnz .LBB3_217
; %bb.216:                              ;   in Loop: Header=BB3_145 Depth=1
	global_load_dword v30, v[2:3], off offset:24
	s_waitcnt vmcnt(0)
	v_readfirstlane_b32 s16, v30
	s_and_b32 m0, s16, 0xffffff
	buffer_wbl2 sc0 sc1
	global_store_dwordx2 v[4:5], v[30:31], off sc0 sc1
	s_sendmsg sendmsg(MSG_INTERRUPT)
.LBB3_217:                              ;   in Loop: Header=BB3_145 Depth=1
	s_or_b64 exec, exec, s[14:15]
	v_mov_b32_e32 v27, v31
	v_lshl_add_u64 v[2:3], v[6:7], 0, v[26:27]
	s_branch .LBB3_221
.LBB3_218:                              ;   in Loop: Header=BB3_221 Depth=2
	s_or_b64 exec, exec, s[14:15]
	v_readfirstlane_b32 s14, v4
	s_cmp_eq_u32 s14, 0
	s_cbranch_scc1 .LBB3_220
; %bb.219:                              ;   in Loop: Header=BB3_221 Depth=2
	s_sleep 1
	s_cbranch_execnz .LBB3_221
	s_branch .LBB3_223
.LBB3_220:                              ;   in Loop: Header=BB3_145 Depth=1
	s_branch .LBB3_223
.LBB3_221:                              ;   Parent Loop BB3_145 Depth=1
                                        ; =>  This Inner Loop Header: Depth=2
	v_mov_b32_e32 v4, 1
	s_and_saveexec_b64 s[14:15], s[0:1]
	s_cbranch_execz .LBB3_218
; %bb.222:                              ;   in Loop: Header=BB3_221 Depth=2
	global_load_dword v4, v[32:33], off offset:20 sc0 sc1
	s_waitcnt vmcnt(0)
	buffer_inv sc0 sc1
	v_and_b32_e32 v4, 1, v4
	s_branch .LBB3_218
.LBB3_223:                              ;   in Loop: Header=BB3_145 Depth=1
	global_load_dwordx2 v[2:3], v[2:3], off
	s_and_saveexec_b64 s[14:15], s[0:1]
	s_cbranch_execz .LBB3_144
; %bb.224:                              ;   in Loop: Header=BB3_145 Depth=1
	global_load_dwordx2 v[4:5], v31, s[2:3] offset:40
	global_load_dwordx2 v[14:15], v31, s[2:3] offset:24 sc0 sc1
	global_load_dwordx2 v[6:7], v31, s[2:3]
	s_waitcnt vmcnt(2)
	v_readfirstlane_b32 s16, v4
	v_readfirstlane_b32 s17, v5
	s_add_u32 s18, s16, 1
	s_addc_u32 s19, s17, 0
	s_add_u32 s0, s18, s12
	s_addc_u32 s1, s19, s13
	s_cmp_eq_u64 s[0:1], 0
	s_cselect_b32 s1, s19, s1
	s_cselect_b32 s0, s18, s0
	s_and_b64 s[12:13], s[0:1], s[16:17]
	s_mul_i32 s13, s13, 24
	s_mul_hi_u32 s16, s12, 24
	s_mul_i32 s12, s12, 24
	s_add_i32 s13, s16, s13
	s_waitcnt vmcnt(0)
	v_lshl_add_u64 v[10:11], v[6:7], 0, s[12:13]
	v_mov_b32_e32 v12, s0
	global_store_dwordx2 v[10:11], v[14:15], off
	v_mov_b32_e32 v13, s1
	buffer_wbl2 sc0 sc1
	s_waitcnt vmcnt(0)
	global_atomic_cmpswap_x2 v[6:7], v31, v[12:15], s[2:3] offset:24 sc0 sc1
	s_waitcnt vmcnt(0)
	v_cmp_ne_u64_e32 vcc, v[6:7], v[14:15]
	s_and_b64 exec, exec, vcc
	s_cbranch_execz .LBB3_144
; %bb.225:                              ;   in Loop: Header=BB3_145 Depth=1
	s_mov_b64 s[12:13], 0
.LBB3_226:                              ;   Parent Loop BB3_145 Depth=1
                                        ; =>  This Inner Loop Header: Depth=2
	s_sleep 1
	global_store_dwordx2 v[10:11], v[6:7], off
	v_mov_b32_e32 v4, s0
	v_mov_b32_e32 v5, s1
	buffer_wbl2 sc0 sc1
	s_waitcnt vmcnt(0)
	global_atomic_cmpswap_x2 v[4:5], v31, v[4:7], s[2:3] offset:24 sc0 sc1
	s_waitcnt vmcnt(0)
	v_cmp_eq_u64_e32 vcc, v[4:5], v[6:7]
	s_or_b64 s[12:13], vcc, s[12:13]
	v_mov_b64_e32 v[6:7], v[4:5]
	s_andn2_b64 exec, exec, s[12:13]
	s_cbranch_execnz .LBB3_226
	s_branch .LBB3_144
.LBB3_227:
                                        ; implicit-def: $vgpr2_vgpr3
	s_cbranch_execnz .LBB3_229
	s_branch .LBB3_255
.LBB3_228:
	s_branch .LBB3_255
.LBB3_229:
	v_readfirstlane_b32 s0, v29
	s_waitcnt vmcnt(0)
	v_mov_b64_e32 v[2:3], 0
	v_cmp_eq_u32_e64 s[0:1], s0, v29
	s_and_saveexec_b64 s[4:5], s[0:1]
	s_cbranch_execz .LBB3_235
; %bb.230:
	v_mov_b32_e32 v4, 0
	global_load_dwordx2 v[8:9], v4, s[2:3] offset:24 sc0 sc1
	s_waitcnt vmcnt(0)
	buffer_inv sc0 sc1
	global_load_dwordx2 v[2:3], v4, s[2:3] offset:40
	global_load_dwordx2 v[6:7], v4, s[2:3]
	s_waitcnt vmcnt(1)
	v_and_b32_e32 v2, v2, v8
	v_and_b32_e32 v3, v3, v9
	v_mul_lo_u32 v3, v3, 24
	v_mul_hi_u32 v5, v2, 24
	v_add_u32_e32 v3, v5, v3
	v_mul_lo_u32 v2, v2, 24
	s_waitcnt vmcnt(0)
	v_lshl_add_u64 v[2:3], v[6:7], 0, v[2:3]
	global_load_dwordx2 v[6:7], v[2:3], off sc0 sc1
	s_waitcnt vmcnt(0)
	global_atomic_cmpswap_x2 v[2:3], v4, v[6:9], s[2:3] offset:24 sc0 sc1
	s_waitcnt vmcnt(0)
	buffer_inv sc0 sc1
	v_cmp_ne_u64_e32 vcc, v[2:3], v[8:9]
	s_and_saveexec_b64 s[6:7], vcc
	s_cbranch_execz .LBB3_234
; %bb.231:
	s_mov_b64 s[10:11], 0
.LBB3_232:                              ; =>This Inner Loop Header: Depth=1
	s_sleep 1
	global_load_dwordx2 v[6:7], v4, s[2:3] offset:40
	global_load_dwordx2 v[10:11], v4, s[2:3]
	v_mov_b64_e32 v[8:9], v[2:3]
	s_waitcnt vmcnt(1)
	v_and_b32_e32 v2, v6, v8
	s_waitcnt vmcnt(0)
	v_mad_u64_u32 v[2:3], s[12:13], v2, 24, v[10:11]
	v_and_b32_e32 v5, v7, v9
	v_mov_b32_e32 v6, v3
	v_mad_u64_u32 v[6:7], s[12:13], v5, 24, v[6:7]
	v_mov_b32_e32 v3, v6
	global_load_dwordx2 v[6:7], v[2:3], off sc0 sc1
	s_waitcnt vmcnt(0)
	global_atomic_cmpswap_x2 v[2:3], v4, v[6:9], s[2:3] offset:24 sc0 sc1
	s_waitcnt vmcnt(0)
	buffer_inv sc0 sc1
	v_cmp_eq_u64_e32 vcc, v[2:3], v[8:9]
	s_or_b64 s[10:11], vcc, s[10:11]
	s_andn2_b64 exec, exec, s[10:11]
	s_cbranch_execnz .LBB3_232
; %bb.233:
	s_or_b64 exec, exec, s[10:11]
.LBB3_234:
	s_or_b64 exec, exec, s[6:7]
.LBB3_235:
	s_or_b64 exec, exec, s[4:5]
	v_mov_b32_e32 v27, 0
	global_load_dwordx2 v[8:9], v27, s[2:3] offset:40
	global_load_dwordx4 v[4:7], v27, s[2:3]
	v_readfirstlane_b32 s5, v3
	v_readfirstlane_b32 s4, v2
	s_mov_b64 s[6:7], exec
	s_waitcnt vmcnt(1)
	v_readfirstlane_b32 s10, v8
	v_readfirstlane_b32 s11, v9
	s_and_b64 s[10:11], s[10:11], s[4:5]
	s_mul_i32 s12, s11, 24
	s_mul_hi_u32 s13, s10, 24
	s_add_i32 s13, s13, s12
	s_mul_i32 s12, s10, 24
	s_waitcnt vmcnt(0)
	v_lshl_add_u64 v[8:9], v[4:5], 0, s[12:13]
	s_and_saveexec_b64 s[12:13], s[0:1]
	s_cbranch_execz .LBB3_237
; %bb.236:
	v_mov_b64_e32 v[10:11], s[6:7]
	v_mov_b32_e32 v12, 2
	v_mov_b32_e32 v13, 1
	global_store_dwordx4 v[8:9], v[10:13], off offset:8
.LBB3_237:
	s_or_b64 exec, exec, s[12:13]
	s_lshl_b64 s[6:7], s[10:11], 12
	v_lshl_add_u64 v[6:7], v[6:7], 0, s[6:7]
	s_movk_i32 s6, 0xff1f
	s_mov_b32 s12, 0
	v_and_or_b32 v0, v0, s6, 32
	v_mov_b32_e32 v2, v27
	v_mov_b32_e32 v3, v27
	v_readfirstlane_b32 s6, v6
	v_readfirstlane_b32 s7, v7
	s_mov_b32 s13, s12
	s_mov_b32 s14, s12
	;; [unrolled: 1-line block ×3, first 2 shown]
	s_nop 1
	global_store_dwordx4 v26, v[0:3], s[6:7]
	s_nop 1
	v_mov_b64_e32 v[0:1], s[12:13]
	v_mov_b64_e32 v[2:3], s[14:15]
	global_store_dwordx4 v26, v[0:3], s[6:7] offset:16
	global_store_dwordx4 v26, v[0:3], s[6:7] offset:32
	;; [unrolled: 1-line block ×3, first 2 shown]
	s_and_saveexec_b64 s[6:7], s[0:1]
	s_cbranch_execz .LBB3_245
; %bb.238:
	v_mov_b32_e32 v10, 0
	global_load_dwordx2 v[14:15], v10, s[2:3] offset:32 sc0 sc1
	global_load_dwordx2 v[0:1], v10, s[2:3] offset:40
	v_mov_b32_e32 v12, s4
	v_mov_b32_e32 v13, s5
	s_waitcnt vmcnt(0)
	v_readfirstlane_b32 s10, v0
	v_readfirstlane_b32 s11, v1
	s_and_b64 s[10:11], s[10:11], s[4:5]
	s_mul_i32 s11, s11, 24
	s_mul_hi_u32 s12, s10, 24
	s_mul_i32 s10, s10, 24
	s_add_i32 s11, s12, s11
	v_lshl_add_u64 v[4:5], v[4:5], 0, s[10:11]
	global_store_dwordx2 v[4:5], v[14:15], off
	buffer_wbl2 sc0 sc1
	s_waitcnt vmcnt(0)
	global_atomic_cmpswap_x2 v[2:3], v10, v[12:15], s[2:3] offset:32 sc0 sc1
	s_waitcnt vmcnt(0)
	v_cmp_ne_u64_e32 vcc, v[2:3], v[14:15]
	s_and_saveexec_b64 s[10:11], vcc
	s_cbranch_execz .LBB3_241
; %bb.239:
	s_mov_b64 s[12:13], 0
.LBB3_240:                              ; =>This Inner Loop Header: Depth=1
	s_sleep 1
	global_store_dwordx2 v[4:5], v[2:3], off
	v_mov_b32_e32 v0, s4
	v_mov_b32_e32 v1, s5
	buffer_wbl2 sc0 sc1
	s_waitcnt vmcnt(0)
	global_atomic_cmpswap_x2 v[0:1], v10, v[0:3], s[2:3] offset:32 sc0 sc1
	s_waitcnt vmcnt(0)
	v_cmp_eq_u64_e32 vcc, v[0:1], v[2:3]
	s_or_b64 s[12:13], vcc, s[12:13]
	v_mov_b64_e32 v[2:3], v[0:1]
	s_andn2_b64 exec, exec, s[12:13]
	s_cbranch_execnz .LBB3_240
.LBB3_241:
	s_or_b64 exec, exec, s[10:11]
	v_mov_b32_e32 v3, 0
	global_load_dwordx2 v[0:1], v3, s[2:3] offset:16
	s_mov_b64 s[10:11], exec
	v_mbcnt_lo_u32_b32 v2, s10, 0
	v_mbcnt_hi_u32_b32 v2, s11, v2
	v_cmp_eq_u32_e32 vcc, 0, v2
	s_and_saveexec_b64 s[12:13], vcc
	s_cbranch_execz .LBB3_243
; %bb.242:
	s_bcnt1_i32_b64 s10, s[10:11]
	v_mov_b32_e32 v2, s10
	buffer_wbl2 sc0 sc1
	s_waitcnt vmcnt(0)
	global_atomic_add_x2 v[0:1], v[2:3], off offset:8 sc1
.LBB3_243:
	s_or_b64 exec, exec, s[12:13]
	s_waitcnt vmcnt(0)
	global_load_dwordx2 v[2:3], v[0:1], off offset:16
	s_waitcnt vmcnt(0)
	v_cmp_eq_u64_e32 vcc, 0, v[2:3]
	s_cbranch_vccnz .LBB3_245
; %bb.244:
	global_load_dword v0, v[0:1], off offset:24
	v_mov_b32_e32 v1, 0
	s_waitcnt vmcnt(0)
	v_readfirstlane_b32 s10, v0
	s_and_b32 m0, s10, 0xffffff
	buffer_wbl2 sc0 sc1
	global_store_dwordx2 v[2:3], v[0:1], off sc0 sc1
	s_sendmsg sendmsg(MSG_INTERRUPT)
.LBB3_245:
	s_or_b64 exec, exec, s[6:7]
	v_lshl_add_u64 v[0:1], v[6:7], 0, v[26:27]
	s_branch .LBB3_249
.LBB3_246:                              ;   in Loop: Header=BB3_249 Depth=1
	s_or_b64 exec, exec, s[6:7]
	v_readfirstlane_b32 s6, v2
	s_cmp_eq_u32 s6, 0
	s_cbranch_scc1 .LBB3_248
; %bb.247:                              ;   in Loop: Header=BB3_249 Depth=1
	s_sleep 1
	s_cbranch_execnz .LBB3_249
	s_branch .LBB3_251
.LBB3_248:
	s_branch .LBB3_251
.LBB3_249:                              ; =>This Inner Loop Header: Depth=1
	v_mov_b32_e32 v2, 1
	s_and_saveexec_b64 s[6:7], s[0:1]
	s_cbranch_execz .LBB3_246
; %bb.250:                              ;   in Loop: Header=BB3_249 Depth=1
	global_load_dword v2, v[8:9], off offset:20 sc0 sc1
	s_waitcnt vmcnt(0)
	buffer_inv sc0 sc1
	v_and_b32_e32 v2, 1, v2
	s_branch .LBB3_246
.LBB3_251:
	global_load_dwordx2 v[2:3], v[0:1], off
	s_and_saveexec_b64 s[6:7], s[0:1]
	s_cbranch_execz .LBB3_254
; %bb.252:
	v_mov_b32_e32 v8, 0
	global_load_dwordx2 v[0:1], v8, s[2:3] offset:40
	global_load_dwordx2 v[12:13], v8, s[2:3] offset:24 sc0 sc1
	global_load_dwordx2 v[4:5], v8, s[2:3]
	s_waitcnt vmcnt(2)
	v_readfirstlane_b32 s10, v0
	v_readfirstlane_b32 s11, v1
	s_add_u32 s12, s10, 1
	s_addc_u32 s13, s11, 0
	s_add_u32 s0, s12, s4
	s_addc_u32 s1, s13, s5
	s_cmp_eq_u64 s[0:1], 0
	s_cselect_b32 s1, s13, s1
	s_cselect_b32 s0, s12, s0
	s_and_b64 s[4:5], s[0:1], s[10:11]
	s_mul_i32 s5, s5, 24
	s_mul_hi_u32 s10, s4, 24
	s_mul_i32 s4, s4, 24
	s_add_i32 s5, s10, s5
	s_waitcnt vmcnt(0)
	v_lshl_add_u64 v[0:1], v[4:5], 0, s[4:5]
	v_mov_b32_e32 v10, s0
	global_store_dwordx2 v[0:1], v[12:13], off
	v_mov_b32_e32 v11, s1
	buffer_wbl2 sc0 sc1
	s_waitcnt vmcnt(0)
	global_atomic_cmpswap_x2 v[6:7], v8, v[10:13], s[2:3] offset:24 sc0 sc1
	s_mov_b64 s[4:5], 0
	s_waitcnt vmcnt(0)
	v_cmp_ne_u64_e32 vcc, v[6:7], v[12:13]
	s_and_b64 exec, exec, vcc
	s_cbranch_execz .LBB3_254
.LBB3_253:                              ; =>This Inner Loop Header: Depth=1
	s_sleep 1
	global_store_dwordx2 v[0:1], v[6:7], off
	v_mov_b32_e32 v4, s0
	v_mov_b32_e32 v5, s1
	buffer_wbl2 sc0 sc1
	s_waitcnt vmcnt(0)
	global_atomic_cmpswap_x2 v[4:5], v8, v[4:7], s[2:3] offset:24 sc0 sc1
	s_waitcnt vmcnt(0)
	v_cmp_eq_u64_e32 vcc, v[4:5], v[6:7]
	s_or_b64 s[4:5], vcc, s[4:5]
	v_mov_b64_e32 v[6:7], v[4:5]
	s_andn2_b64 exec, exec, s[4:5]
	s_cbranch_execnz .LBB3_253
.LBB3_254:
	s_or_b64 exec, exec, s[6:7]
.LBB3_255:
	v_readfirstlane_b32 s0, v29
	s_waitcnt vmcnt(0)
	v_mov_b64_e32 v[0:1], 0
	v_cmp_eq_u32_e64 s[0:1], s0, v29
	s_and_saveexec_b64 s[4:5], s[0:1]
	s_cbranch_execz .LBB3_261
; %bb.256:
	v_mov_b32_e32 v4, 0
	global_load_dwordx2 v[8:9], v4, s[2:3] offset:24 sc0 sc1
	s_waitcnt vmcnt(0)
	buffer_inv sc0 sc1
	global_load_dwordx2 v[0:1], v4, s[2:3] offset:40
	global_load_dwordx2 v[6:7], v4, s[2:3]
	s_waitcnt vmcnt(1)
	v_and_b32_e32 v0, v0, v8
	v_and_b32_e32 v1, v1, v9
	v_mul_lo_u32 v1, v1, 24
	v_mul_hi_u32 v5, v0, 24
	v_add_u32_e32 v1, v5, v1
	v_mul_lo_u32 v0, v0, 24
	s_waitcnt vmcnt(0)
	v_lshl_add_u64 v[0:1], v[6:7], 0, v[0:1]
	global_load_dwordx2 v[6:7], v[0:1], off sc0 sc1
	s_waitcnt vmcnt(0)
	global_atomic_cmpswap_x2 v[0:1], v4, v[6:9], s[2:3] offset:24 sc0 sc1
	s_waitcnt vmcnt(0)
	buffer_inv sc0 sc1
	v_cmp_ne_u64_e32 vcc, v[0:1], v[8:9]
	s_and_saveexec_b64 s[6:7], vcc
	s_cbranch_execz .LBB3_260
; %bb.257:
	s_mov_b64 s[10:11], 0
.LBB3_258:                              ; =>This Inner Loop Header: Depth=1
	s_sleep 1
	global_load_dwordx2 v[6:7], v4, s[2:3] offset:40
	global_load_dwordx2 v[10:11], v4, s[2:3]
	v_mov_b64_e32 v[8:9], v[0:1]
	s_waitcnt vmcnt(1)
	v_and_b32_e32 v0, v6, v8
	s_waitcnt vmcnt(0)
	v_mad_u64_u32 v[0:1], s[12:13], v0, 24, v[10:11]
	v_and_b32_e32 v5, v7, v9
	v_mov_b32_e32 v6, v1
	v_mad_u64_u32 v[6:7], s[12:13], v5, 24, v[6:7]
	v_mov_b32_e32 v1, v6
	global_load_dwordx2 v[6:7], v[0:1], off sc0 sc1
	s_waitcnt vmcnt(0)
	global_atomic_cmpswap_x2 v[0:1], v4, v[6:9], s[2:3] offset:24 sc0 sc1
	s_waitcnt vmcnt(0)
	buffer_inv sc0 sc1
	v_cmp_eq_u64_e32 vcc, v[0:1], v[8:9]
	s_or_b64 s[10:11], vcc, s[10:11]
	s_andn2_b64 exec, exec, s[10:11]
	s_cbranch_execnz .LBB3_258
; %bb.259:
	s_or_b64 exec, exec, s[10:11]
.LBB3_260:
	s_or_b64 exec, exec, s[6:7]
.LBB3_261:
	s_or_b64 exec, exec, s[4:5]
	v_mov_b32_e32 v27, 0
	global_load_dwordx2 v[4:5], v27, s[2:3] offset:40
	global_load_dwordx4 v[6:9], v27, s[2:3]
	v_readfirstlane_b32 s5, v1
	v_readfirstlane_b32 s4, v0
	s_mov_b64 s[6:7], exec
	s_waitcnt vmcnt(1)
	v_readfirstlane_b32 s10, v4
	v_readfirstlane_b32 s11, v5
	s_and_b64 s[10:11], s[10:11], s[4:5]
	s_mul_i32 s12, s11, 24
	s_mul_hi_u32 s13, s10, 24
	s_add_i32 s13, s13, s12
	s_mul_i32 s12, s10, 24
	s_waitcnt vmcnt(0)
	v_lshl_add_u64 v[10:11], v[6:7], 0, s[12:13]
	s_and_saveexec_b64 s[12:13], s[0:1]
	s_cbranch_execz .LBB3_263
; %bb.262:
	v_mov_b64_e32 v[12:13], s[6:7]
	v_mov_b32_e32 v14, 2
	v_mov_b32_e32 v15, 1
	global_store_dwordx4 v[10:11], v[12:15], off offset:8
.LBB3_263:
	s_or_b64 exec, exec, s[12:13]
	s_lshl_b64 s[6:7], s[10:11], 12
	v_lshl_add_u64 v[8:9], v[8:9], 0, s[6:7]
	s_movk_i32 s6, 0xff1f
	s_mov_b32 s12, 0
	v_and_or_b32 v2, v2, s6, 32
	v_mov_b32_e32 v4, 0x6cc
	v_mov_b32_e32 v5, v27
	v_readfirstlane_b32 s6, v8
	v_readfirstlane_b32 s7, v9
	s_mov_b32 s13, s12
	s_mov_b32 s14, s12
	;; [unrolled: 1-line block ×3, first 2 shown]
	s_nop 1
	global_store_dwordx4 v26, v[2:5], s[6:7]
	v_mov_b64_e32 v[0:1], s[12:13]
	s_nop 0
	v_mov_b64_e32 v[2:3], s[14:15]
	global_store_dwordx4 v26, v[0:3], s[6:7] offset:16
	global_store_dwordx4 v26, v[0:3], s[6:7] offset:32
	;; [unrolled: 1-line block ×3, first 2 shown]
	s_and_saveexec_b64 s[6:7], s[0:1]
	s_cbranch_execz .LBB3_271
; %bb.264:
	v_mov_b32_e32 v12, 0
	global_load_dwordx2 v[16:17], v12, s[2:3] offset:32 sc0 sc1
	global_load_dwordx2 v[0:1], v12, s[2:3] offset:40
	v_mov_b32_e32 v14, s4
	v_mov_b32_e32 v15, s5
	s_waitcnt vmcnt(0)
	v_readfirstlane_b32 s10, v0
	v_readfirstlane_b32 s11, v1
	s_and_b64 s[10:11], s[10:11], s[4:5]
	s_mul_i32 s11, s11, 24
	s_mul_hi_u32 s12, s10, 24
	s_mul_i32 s10, s10, 24
	s_add_i32 s11, s12, s11
	v_lshl_add_u64 v[4:5], v[6:7], 0, s[10:11]
	global_store_dwordx2 v[4:5], v[16:17], off
	buffer_wbl2 sc0 sc1
	s_waitcnt vmcnt(0)
	global_atomic_cmpswap_x2 v[2:3], v12, v[14:17], s[2:3] offset:32 sc0 sc1
	s_waitcnt vmcnt(0)
	v_cmp_ne_u64_e32 vcc, v[2:3], v[16:17]
	s_and_saveexec_b64 s[10:11], vcc
	s_cbranch_execz .LBB3_267
; %bb.265:
	s_mov_b64 s[12:13], 0
.LBB3_266:                              ; =>This Inner Loop Header: Depth=1
	s_sleep 1
	global_store_dwordx2 v[4:5], v[2:3], off
	v_mov_b32_e32 v0, s4
	v_mov_b32_e32 v1, s5
	buffer_wbl2 sc0 sc1
	s_waitcnt vmcnt(0)
	global_atomic_cmpswap_x2 v[0:1], v12, v[0:3], s[2:3] offset:32 sc0 sc1
	s_waitcnt vmcnt(0)
	v_cmp_eq_u64_e32 vcc, v[0:1], v[2:3]
	s_or_b64 s[12:13], vcc, s[12:13]
	v_mov_b64_e32 v[2:3], v[0:1]
	s_andn2_b64 exec, exec, s[12:13]
	s_cbranch_execnz .LBB3_266
.LBB3_267:
	s_or_b64 exec, exec, s[10:11]
	v_mov_b32_e32 v3, 0
	global_load_dwordx2 v[0:1], v3, s[2:3] offset:16
	s_mov_b64 s[10:11], exec
	v_mbcnt_lo_u32_b32 v2, s10, 0
	v_mbcnt_hi_u32_b32 v2, s11, v2
	v_cmp_eq_u32_e32 vcc, 0, v2
	s_and_saveexec_b64 s[12:13], vcc
	s_cbranch_execz .LBB3_269
; %bb.268:
	s_bcnt1_i32_b64 s10, s[10:11]
	v_mov_b32_e32 v2, s10
	buffer_wbl2 sc0 sc1
	s_waitcnt vmcnt(0)
	global_atomic_add_x2 v[0:1], v[2:3], off offset:8 sc1
.LBB3_269:
	s_or_b64 exec, exec, s[12:13]
	s_waitcnt vmcnt(0)
	global_load_dwordx2 v[2:3], v[0:1], off offset:16
	s_waitcnt vmcnt(0)
	v_cmp_eq_u64_e32 vcc, 0, v[2:3]
	s_cbranch_vccnz .LBB3_271
; %bb.270:
	global_load_dword v0, v[0:1], off offset:24
	v_mov_b32_e32 v1, 0
	s_waitcnt vmcnt(0)
	v_readfirstlane_b32 s10, v0
	s_and_b32 m0, s10, 0xffffff
	buffer_wbl2 sc0 sc1
	global_store_dwordx2 v[2:3], v[0:1], off sc0 sc1
	s_sendmsg sendmsg(MSG_INTERRUPT)
.LBB3_271:
	s_or_b64 exec, exec, s[6:7]
	v_lshl_add_u64 v[0:1], v[8:9], 0, v[26:27]
	s_branch .LBB3_275
.LBB3_272:                              ;   in Loop: Header=BB3_275 Depth=1
	s_or_b64 exec, exec, s[6:7]
	v_readfirstlane_b32 s6, v2
	s_cmp_eq_u32 s6, 0
	s_cbranch_scc1 .LBB3_274
; %bb.273:                              ;   in Loop: Header=BB3_275 Depth=1
	s_sleep 1
	s_cbranch_execnz .LBB3_275
	s_branch .LBB3_277
.LBB3_274:
	s_branch .LBB3_277
.LBB3_275:                              ; =>This Inner Loop Header: Depth=1
	v_mov_b32_e32 v2, 1
	s_and_saveexec_b64 s[6:7], s[0:1]
	s_cbranch_execz .LBB3_272
; %bb.276:                              ;   in Loop: Header=BB3_275 Depth=1
	global_load_dword v2, v[10:11], off offset:20 sc0 sc1
	s_waitcnt vmcnt(0)
	buffer_inv sc0 sc1
	v_and_b32_e32 v2, 1, v2
	s_branch .LBB3_272
.LBB3_277:
	global_load_dwordx2 v[0:1], v[0:1], off
	s_and_saveexec_b64 s[6:7], s[0:1]
	s_cbranch_execz .LBB3_280
; %bb.278:
	v_mov_b32_e32 v8, 0
	global_load_dwordx2 v[2:3], v8, s[2:3] offset:40
	global_load_dwordx2 v[12:13], v8, s[2:3] offset:24 sc0 sc1
	global_load_dwordx2 v[4:5], v8, s[2:3]
	s_waitcnt vmcnt(2)
	v_readfirstlane_b32 s10, v2
	v_readfirstlane_b32 s11, v3
	s_add_u32 s12, s10, 1
	s_addc_u32 s13, s11, 0
	s_add_u32 s0, s12, s4
	s_addc_u32 s1, s13, s5
	s_cmp_eq_u64 s[0:1], 0
	s_cselect_b32 s1, s13, s1
	s_cselect_b32 s0, s12, s0
	s_and_b64 s[4:5], s[0:1], s[10:11]
	s_mul_i32 s5, s5, 24
	s_mul_hi_u32 s10, s4, 24
	s_mul_i32 s4, s4, 24
	s_add_i32 s5, s10, s5
	s_waitcnt vmcnt(0)
	v_lshl_add_u64 v[6:7], v[4:5], 0, s[4:5]
	v_mov_b32_e32 v10, s0
	global_store_dwordx2 v[6:7], v[12:13], off
	v_mov_b32_e32 v11, s1
	buffer_wbl2 sc0 sc1
	s_waitcnt vmcnt(0)
	global_atomic_cmpswap_x2 v[4:5], v8, v[10:13], s[2:3] offset:24 sc0 sc1
	s_mov_b64 s[4:5], 0
	s_waitcnt vmcnt(0)
	v_cmp_ne_u64_e32 vcc, v[4:5], v[12:13]
	s_and_b64 exec, exec, vcc
	s_cbranch_execz .LBB3_280
.LBB3_279:                              ; =>This Inner Loop Header: Depth=1
	s_sleep 1
	global_store_dwordx2 v[6:7], v[4:5], off
	v_mov_b32_e32 v2, s0
	v_mov_b32_e32 v3, s1
	buffer_wbl2 sc0 sc1
	s_waitcnt vmcnt(0)
	global_atomic_cmpswap_x2 v[2:3], v8, v[2:5], s[2:3] offset:24 sc0 sc1
	s_waitcnt vmcnt(0)
	v_cmp_eq_u64_e32 vcc, v[2:3], v[4:5]
	s_or_b64 s[4:5], vcc, s[4:5]
	v_mov_b64_e32 v[4:5], v[2:3]
	s_andn2_b64 exec, exec, s[4:5]
	s_cbranch_execnz .LBB3_279
.LBB3_280:
	s_or_b64 exec, exec, s[6:7]
	s_getpc_b64 s[0:1]
	s_add_u32 s0, s0, __FUNCTION__._ZL18flash_attn_ext_f16ILi64ELi64ELi64ELi1ELb1ELb0EEvPKcS1_S1_S1_S1_PKiPfP15HIP_vector_typeIfLj2EEffffjfiS5_IjLj3EEiiiiiiiiiiiliiliiiiil@rel32@lo+4
	s_addc_u32 s1, s1, __FUNCTION__._ZL18flash_attn_ext_f16ILi64ELi64ELi64ELi1ELb1ELb0EEvPKcS1_S1_S1_S1_PKiPfP15HIP_vector_typeIfLj2EEffffjfiS5_IjLj3EEiiiiiiiiiiiliiliiiiil@rel32@hi+12
	s_cmp_lg_u64 s[0:1], 0
	s_cselect_b32 s4, 19, 0
	s_getpc_b64 s[2:3]
	s_add_u32 s2, s2, __ockl_printf_append_string_n@rel32@lo+4
	s_addc_u32 s3, s3, __ockl_printf_append_string_n@rel32@hi+12
	v_mov_b32_e32 v2, s0
	v_mov_b32_e32 v3, s1
	;; [unrolled: 1-line block ×4, first 2 shown]
	s_mov_b64 s[18:19], s[8:9]
	s_swappc_b64 s[30:31], s[2:3]
	s_getpc_b64 s[0:1]
	s_add_u32 s0, s0, __ockl_printf_append_args@rel32@lo+4
	s_addc_u32 s1, s1, __ockl_printf_append_args@rel32@hi+12
	s_mov_b64 s[8:9], s[18:19]
	v_mov_b32_e32 v2, 0x514
	v_mov_b32_e32 v3, 0
	;; [unrolled: 1-line block ×3, first 2 shown]
	s_swappc_b64 s[30:31], s[0:1]
	s_trap 2
.Lfunc_end3:
	.size	_ZL14no_device_codePKciS0_iS0_, .Lfunc_end3-_ZL14no_device_codePKciS0_iS0_
                                        ; -- End function
	.set .L_ZL14no_device_codePKciS0_iS0_.num_vgpr, max(36, .L__ockl_printf_append_string_n.num_vgpr, .L__ockl_printf_append_args.num_vgpr)
	.set .L_ZL14no_device_codePKciS0_iS0_.num_agpr, max(0, .L__ockl_printf_append_string_n.num_agpr, .L__ockl_printf_append_args.num_agpr)
	.set .L_ZL14no_device_codePKciS0_iS0_.numbered_sgpr, max(34, .L__ockl_printf_append_string_n.numbered_sgpr, .L__ockl_printf_append_args.numbered_sgpr)
	.set .L_ZL14no_device_codePKciS0_iS0_.num_named_barrier, max(0, .L__ockl_printf_append_string_n.num_named_barrier, .L__ockl_printf_append_args.num_named_barrier)
	.set .L_ZL14no_device_codePKciS0_iS0_.private_seg_size, 16+max(.L__ockl_printf_append_string_n.private_seg_size, .L__ockl_printf_append_args.private_seg_size)
	.set .L_ZL14no_device_codePKciS0_iS0_.uses_vcc, or(1, .L__ockl_printf_append_string_n.uses_vcc, .L__ockl_printf_append_args.uses_vcc)
	.set .L_ZL14no_device_codePKciS0_iS0_.uses_flat_scratch, or(0, .L__ockl_printf_append_string_n.uses_flat_scratch, .L__ockl_printf_append_args.uses_flat_scratch)
	.set .L_ZL14no_device_codePKciS0_iS0_.has_dyn_sized_stack, or(0, .L__ockl_printf_append_string_n.has_dyn_sized_stack, .L__ockl_printf_append_args.has_dyn_sized_stack)
	.set .L_ZL14no_device_codePKciS0_iS0_.has_recursion, or(0, .L__ockl_printf_append_string_n.has_recursion, .L__ockl_printf_append_args.has_recursion)
	.set .L_ZL14no_device_codePKciS0_iS0_.has_indirect_call, or(0, .L__ockl_printf_append_string_n.has_indirect_call, .L__ockl_printf_append_args.has_indirect_call)
	.section	.AMDGPU.csdata,"",@progbits
; Function info:
; codeLenInByte = 9536
; TotalNumSgprs: 40
; NumVgprs: 50
; NumAgprs: 0
; TotalNumVgprs: 50
; ScratchSize: 16
; MemoryBound: 0
	.section	.text._ZL18flash_attn_ext_f16ILi64ELi64ELi64ELi1ELb1ELb0EEvPKcS1_S1_S1_S1_PKiPfP15HIP_vector_typeIfLj2EEffffjfiS5_IjLj3EEiiiiiiiiiiiliiliiiiil,"axG",@progbits,_ZL18flash_attn_ext_f16ILi64ELi64ELi64ELi1ELb1ELb0EEvPKcS1_S1_S1_S1_PKiPfP15HIP_vector_typeIfLj2EEffffjfiS5_IjLj3EEiiiiiiiiiiiliiliiiiil,comdat
	.globl	_ZL18flash_attn_ext_f16ILi64ELi64ELi64ELi1ELb1ELb0EEvPKcS1_S1_S1_S1_PKiPfP15HIP_vector_typeIfLj2EEffffjfiS5_IjLj3EEiiiiiiiiiiiliiliiiiil ; -- Begin function _ZL18flash_attn_ext_f16ILi64ELi64ELi64ELi1ELb1ELb0EEvPKcS1_S1_S1_S1_PKiPfP15HIP_vector_typeIfLj2EEffffjfiS5_IjLj3EEiiiiiiiiiiiliiliiiiil
	.p2align	8
	.type	_ZL18flash_attn_ext_f16ILi64ELi64ELi64ELi1ELb1ELb0EEvPKcS1_S1_S1_S1_PKiPfP15HIP_vector_typeIfLj2EEffffjfiS5_IjLj3EEiiiiiiiiiiiliiliiiiil,@function
_ZL18flash_attn_ext_f16ILi64ELi64ELi64ELi1ELb1ELb0EEvPKcS1_S1_S1_S1_PKiPfP15HIP_vector_typeIfLj2EEffffjfiS5_IjLj3EEiiiiiiiiiiiliiliiiiil: ; @_ZL18flash_attn_ext_f16ILi64ELi64ELi64ELi1ELb1ELb0EEvPKcS1_S1_S1_S1_PKiPfP15HIP_vector_typeIfLj2EEffffjfiS5_IjLj3EEiiiiiiiiiiiliiliiiiil
; %bb.0:
	s_add_u32 s8, s0, 0xd0
	s_addc_u32 s9, s1, 0
	s_getpc_b64 s[0:1]
	s_add_u32 s0, s0, _ZL14no_device_codePKciS0_iS0_@rel32@lo+4
	s_addc_u32 s1, s1, _ZL14no_device_codePKciS0_iS0_@rel32@hi+12
	s_mov_b32 s32, 0
	s_swappc_b64 s[30:31], s[0:1]
	.section	.rodata,"a",@progbits
	.p2align	6, 0x0
	.amdhsa_kernel _ZL18flash_attn_ext_f16ILi64ELi64ELi64ELi1ELb1ELb0EEvPKcS1_S1_S1_S1_PKiPfP15HIP_vector_typeIfLj2EEffffjfiS5_IjLj3EEiiiiiiiiiiiliiliiiiil
		.amdhsa_group_segment_fixed_size 0
		.amdhsa_private_segment_fixed_size 16
		.amdhsa_kernarg_size 464
		.amdhsa_user_sgpr_count 2
		.amdhsa_user_sgpr_dispatch_ptr 0
		.amdhsa_user_sgpr_queue_ptr 0
		.amdhsa_user_sgpr_kernarg_segment_ptr 1
		.amdhsa_user_sgpr_dispatch_id 0
		.amdhsa_user_sgpr_kernarg_preload_length 0
		.amdhsa_user_sgpr_kernarg_preload_offset 0
		.amdhsa_user_sgpr_private_segment_size 0
		.amdhsa_uses_dynamic_stack 0
		.amdhsa_enable_private_segment 1
		.amdhsa_system_sgpr_workgroup_id_x 1
		.amdhsa_system_sgpr_workgroup_id_y 0
		.amdhsa_system_sgpr_workgroup_id_z 0
		.amdhsa_system_sgpr_workgroup_info 0
		.amdhsa_system_vgpr_workitem_id 0
		.amdhsa_next_free_vgpr 50
		.amdhsa_next_free_sgpr 34
		.amdhsa_accum_offset 52
		.amdhsa_reserve_vcc 1
		.amdhsa_float_round_mode_32 0
		.amdhsa_float_round_mode_16_64 0
		.amdhsa_float_denorm_mode_32 3
		.amdhsa_float_denorm_mode_16_64 3
		.amdhsa_dx10_clamp 1
		.amdhsa_ieee_mode 1
		.amdhsa_fp16_overflow 0
		.amdhsa_tg_split 0
		.amdhsa_exception_fp_ieee_invalid_op 0
		.amdhsa_exception_fp_denorm_src 0
		.amdhsa_exception_fp_ieee_div_zero 0
		.amdhsa_exception_fp_ieee_overflow 0
		.amdhsa_exception_fp_ieee_underflow 0
		.amdhsa_exception_fp_ieee_inexact 0
		.amdhsa_exception_int_div_zero 0
	.end_amdhsa_kernel
	.section	.text._ZL18flash_attn_ext_f16ILi64ELi64ELi64ELi1ELb1ELb0EEvPKcS1_S1_S1_S1_PKiPfP15HIP_vector_typeIfLj2EEffffjfiS5_IjLj3EEiiiiiiiiiiiliiliiiiil,"axG",@progbits,_ZL18flash_attn_ext_f16ILi64ELi64ELi64ELi1ELb1ELb0EEvPKcS1_S1_S1_S1_PKiPfP15HIP_vector_typeIfLj2EEffffjfiS5_IjLj3EEiiiiiiiiiiiliiliiiiil,comdat
.Lfunc_end4:
	.size	_ZL18flash_attn_ext_f16ILi64ELi64ELi64ELi1ELb1ELb0EEvPKcS1_S1_S1_S1_PKiPfP15HIP_vector_typeIfLj2EEffffjfiS5_IjLj3EEiiiiiiiiiiiliiliiiiil, .Lfunc_end4-_ZL18flash_attn_ext_f16ILi64ELi64ELi64ELi1ELb1ELb0EEvPKcS1_S1_S1_S1_PKiPfP15HIP_vector_typeIfLj2EEffffjfiS5_IjLj3EEiiiiiiiiiiiliiliiiiil
                                        ; -- End function
	.set _ZL18flash_attn_ext_f16ILi64ELi64ELi64ELi1ELb1ELb0EEvPKcS1_S1_S1_S1_PKiPfP15HIP_vector_typeIfLj2EEffffjfiS5_IjLj3EEiiiiiiiiiiiliiliiiiil.num_vgpr, max(0, .L_ZL14no_device_codePKciS0_iS0_.num_vgpr)
	.set _ZL18flash_attn_ext_f16ILi64ELi64ELi64ELi1ELb1ELb0EEvPKcS1_S1_S1_S1_PKiPfP15HIP_vector_typeIfLj2EEffffjfiS5_IjLj3EEiiiiiiiiiiiliiliiiiil.num_agpr, max(0, .L_ZL14no_device_codePKciS0_iS0_.num_agpr)
	.set _ZL18flash_attn_ext_f16ILi64ELi64ELi64ELi1ELb1ELb0EEvPKcS1_S1_S1_S1_PKiPfP15HIP_vector_typeIfLj2EEffffjfiS5_IjLj3EEiiiiiiiiiiiliiliiiiil.numbered_sgpr, max(33, .L_ZL14no_device_codePKciS0_iS0_.numbered_sgpr)
	.set _ZL18flash_attn_ext_f16ILi64ELi64ELi64ELi1ELb1ELb0EEvPKcS1_S1_S1_S1_PKiPfP15HIP_vector_typeIfLj2EEffffjfiS5_IjLj3EEiiiiiiiiiiiliiliiiiil.num_named_barrier, max(0, .L_ZL14no_device_codePKciS0_iS0_.num_named_barrier)
	.set _ZL18flash_attn_ext_f16ILi64ELi64ELi64ELi1ELb1ELb0EEvPKcS1_S1_S1_S1_PKiPfP15HIP_vector_typeIfLj2EEffffjfiS5_IjLj3EEiiiiiiiiiiiliiliiiiil.private_seg_size, 0+max(.L_ZL14no_device_codePKciS0_iS0_.private_seg_size)
	.set _ZL18flash_attn_ext_f16ILi64ELi64ELi64ELi1ELb1ELb0EEvPKcS1_S1_S1_S1_PKiPfP15HIP_vector_typeIfLj2EEffffjfiS5_IjLj3EEiiiiiiiiiiiliiliiiiil.uses_vcc, or(1, .L_ZL14no_device_codePKciS0_iS0_.uses_vcc)
	.set _ZL18flash_attn_ext_f16ILi64ELi64ELi64ELi1ELb1ELb0EEvPKcS1_S1_S1_S1_PKiPfP15HIP_vector_typeIfLj2EEffffjfiS5_IjLj3EEiiiiiiiiiiiliiliiiiil.uses_flat_scratch, or(0, .L_ZL14no_device_codePKciS0_iS0_.uses_flat_scratch)
	.set _ZL18flash_attn_ext_f16ILi64ELi64ELi64ELi1ELb1ELb0EEvPKcS1_S1_S1_S1_PKiPfP15HIP_vector_typeIfLj2EEffffjfiS5_IjLj3EEiiiiiiiiiiiliiliiiiil.has_dyn_sized_stack, or(0, .L_ZL14no_device_codePKciS0_iS0_.has_dyn_sized_stack)
	.set _ZL18flash_attn_ext_f16ILi64ELi64ELi64ELi1ELb1ELb0EEvPKcS1_S1_S1_S1_PKiPfP15HIP_vector_typeIfLj2EEffffjfiS5_IjLj3EEiiiiiiiiiiiliiliiiiil.has_recursion, or(0, .L_ZL14no_device_codePKciS0_iS0_.has_recursion)
	.set _ZL18flash_attn_ext_f16ILi64ELi64ELi64ELi1ELb1ELb0EEvPKcS1_S1_S1_S1_PKiPfP15HIP_vector_typeIfLj2EEffffjfiS5_IjLj3EEiiiiiiiiiiiliiliiiiil.has_indirect_call, or(0, .L_ZL14no_device_codePKciS0_iS0_.has_indirect_call)
	.section	.AMDGPU.csdata,"",@progbits
; Kernel info:
; codeLenInByte = 40
; TotalNumSgprs: 40
; NumVgprs: 50
; NumAgprs: 0
; TotalNumVgprs: 50
; ScratchSize: 16
; MemoryBound: 0
; FloatMode: 240
; IeeeMode: 1
; LDSByteSize: 0 bytes/workgroup (compile time only)
; SGPRBlocks: 4
; VGPRBlocks: 6
; NumSGPRsForWavesPerEU: 40
; NumVGPRsForWavesPerEU: 50
; AccumOffset: 52
; Occupancy: 8
; WaveLimiterHint : 1
; COMPUTE_PGM_RSRC2:SCRATCH_EN: 1
; COMPUTE_PGM_RSRC2:USER_SGPR: 2
; COMPUTE_PGM_RSRC2:TRAP_HANDLER: 0
; COMPUTE_PGM_RSRC2:TGID_X_EN: 1
; COMPUTE_PGM_RSRC2:TGID_Y_EN: 0
; COMPUTE_PGM_RSRC2:TGID_Z_EN: 0
; COMPUTE_PGM_RSRC2:TIDIG_COMP_CNT: 0
; COMPUTE_PGM_RSRC3_GFX90A:ACCUM_OFFSET: 12
; COMPUTE_PGM_RSRC3_GFX90A:TG_SPLIT: 0
	.section	.text._ZL25flash_attn_mask_to_KV_maxILi64EEvPK7__half2Piiii,"axG",@progbits,_ZL25flash_attn_mask_to_KV_maxILi64EEvPK7__half2Piiii,comdat
	.globl	_ZL25flash_attn_mask_to_KV_maxILi64EEvPK7__half2Piiii ; -- Begin function _ZL25flash_attn_mask_to_KV_maxILi64EEvPK7__half2Piiii
	.p2align	8
	.type	_ZL25flash_attn_mask_to_KV_maxILi64EEvPK7__half2Piiii,@function
_ZL25flash_attn_mask_to_KV_maxILi64EEvPK7__half2Piiii: ; @_ZL25flash_attn_mask_to_KV_maxILi64EEvPK7__half2Piiii
; %bb.0:
	s_load_dwordx4 s[4:7], s[0:1], 0x0
	v_cmp_gt_u32_e32 vcc, 32, v0
	s_and_saveexec_b64 s[8:9], vcc
; %bb.1:
	v_lshlrev_b32_e32 v1, 2, v0
	v_mov_b32_e32 v2, 1
	ds_write_b32 v1, v2
; %bb.2:
	s_or_b64 exec, exec, s[8:9]
	s_load_dwordx4 s[8:11], s[0:1], 0x10
	s_load_dword s33, s[0:1], 0x20
	v_and_b32_e32 v2, 31, v0
	v_lshlrev_b32_e32 v6, 2, v2
	v_lshrrev_b32_e32 v1, 3, v0
	s_waitcnt lgkmcnt(0)
	s_mul_i32 s1, s2, s9
	s_mul_i32 s0, s10, s3
	s_lshl_b32 s1, s1, 6
	s_add_i32 s0, s0, s1
	s_ashr_i32 s1, s0, 31
	s_lshl_b64 s[0:1], s[0:1], 2
	s_add_u32 s10, s4, s0
	s_addc_u32 s11, s5, s1
	v_cmp_eq_u32_e64 s[0:1], 0, v2
	v_mbcnt_lo_u32_b32 v2, -1, 0
	s_lshl_b32 s8, s8, 8
	s_mov_b64 s[12:13], 0
	v_mov_b32_e32 v3, 0
	s_movk_i32 s98, 0x204
	v_mbcnt_hi_u32_b32 v7, -1, v2
	s_barrier
                                        ; implicit-def: $sgpr4_sgpr5
	s_branch .LBB5_5
.LBB5_3:                                ;   in Loop: Header=BB5_5 Depth=1
	s_or_b64 exec, exec, s[14:15]
	s_waitcnt lgkmcnt(0)
	s_barrier
	ds_read_b32 v10, v6
	s_waitcnt lgkmcnt(0)
	s_barrier
	ds_bpermute_b32 v2, v2, v10
	v_cmp_ne_u32_e32 vcc, 0, v10
	s_waitcnt lgkmcnt(0)
	v_cmp_ne_u32_e64 s[4:5], 0, v2
	s_and_b64 s[4:5], vcc, s[4:5]
	s_nop 0
	v_cndmask_b32_e64 v2, 0, 1, s[4:5]
	ds_bpermute_b32 v2, v4, v2
	s_waitcnt lgkmcnt(0)
	v_cmp_ne_u32_e32 vcc, 0, v2
	s_and_b64 s[4:5], vcc, s[4:5]
	v_cndmask_b32_e64 v2, 0, 1, s[4:5]
	ds_bpermute_b32 v2, v5, v2
	s_waitcnt lgkmcnt(0)
	v_cmp_ne_u32_e32 vcc, 0, v2
	s_and_b64 s[4:5], vcc, s[4:5]
	;; [unrolled: 5-line block ×3, first 2 shown]
	v_cndmask_b32_e64 v2, 0, 1, s[4:5]
	ds_bpermute_b32 v2, v9, v2
	s_xor_b64 s[4:5], s[4:5], -1
	s_waitcnt lgkmcnt(0)
	v_cmp_eq_u32_e32 vcc, 0, v2
	s_or_b64 s[4:5], vcc, s[4:5]
.LBB5_4:                                ;   in Loop: Header=BB5_5 Depth=1
	s_and_b64 s[14:15], exec, s[4:5]
	s_or_b64 s[12:13], s[14:15], s[12:13]
	v_mov_b32_e32 v2, s8
	s_mov_b32 s8, s99
	s_andn2_b64 exec, exec, s[12:13]
	s_cbranch_execz .LBB5_260
.LBB5_5:                                ; =>This Inner Loop Header: Depth=1
	s_add_i32 s99, s8, 0xffffff00
	s_or_b64 s[4:5], s[4:5], exec
	s_cmp_lt_i32 s99, 0
	s_cbranch_scc1 .LBB5_4
; %bb.6:                                ;   in Loop: Header=BB5_5 Depth=1
	s_lshr_b32 s4, s99, 1
	v_add_u32_e32 v2, s4, v0
	v_lshl_add_u64 v[4:5], v[2:3], 2, s[10:11]
	global_load_dword v4, v[4:5], off
	v_mov_b32_e32 v5, 0
	s_waitcnt vmcnt(0)
	v_cmp_class_f16_e64 s[4:5], v4, s98
	v_cmp_class_f16_sdwa s[14:15], v4, s98 src0_sel:WORD_1 src1_sel:DWORD
	s_and_b64 s[14:15], s[4:5], s[14:15]
	s_and_saveexec_b64 s[4:5], s[14:15]
	s_cbranch_execz .LBB5_258
; %bb.7:                                ;   in Loop: Header=BB5_5 Depth=1
	v_add_u32_e32 v4, s9, v2
	v_ashrrev_i32_e32 v5, 31, v4
	v_lshl_add_u64 v[8:9], v[4:5], 2, s[10:11]
	global_load_dword v2, v[8:9], off
	v_mov_b32_e32 v5, 0
	s_waitcnt vmcnt(0)
	v_cmp_class_f16_e64 s[16:17], v2, s98
	s_and_saveexec_b64 s[14:15], s[16:17]
	s_cbranch_execz .LBB5_257
; %bb.8:                                ;   in Loop: Header=BB5_5 Depth=1
	v_cmp_class_f16_sdwa s[18:19], v2, s98 src0_sel:WORD_1 src1_sel:DWORD
	v_mov_b32_e32 v5, 0
	s_and_saveexec_b64 s[16:17], s[18:19]
	s_cbranch_execz .LBB5_256
; %bb.9:                                ;   in Loop: Header=BB5_5 Depth=1
	v_add_u32_e32 v4, s9, v4
	v_ashrrev_i32_e32 v5, 31, v4
	v_lshl_add_u64 v[8:9], v[4:5], 2, s[10:11]
	global_load_dword v2, v[8:9], off
	v_mov_b32_e32 v5, 0
	s_waitcnt vmcnt(0)
	v_cmp_class_f16_e64 s[20:21], v2, s98
	s_and_saveexec_b64 s[18:19], s[20:21]
	s_cbranch_execz .LBB5_255
; %bb.10:                               ;   in Loop: Header=BB5_5 Depth=1
	v_cmp_class_f16_sdwa s[22:23], v2, s98 src0_sel:WORD_1 src1_sel:DWORD
	v_mov_b32_e32 v5, 0
	s_and_saveexec_b64 s[20:21], s[22:23]
	s_cbranch_execz .LBB5_254
; %bb.11:                               ;   in Loop: Header=BB5_5 Depth=1
	v_add_u32_e32 v4, s9, v4
	v_ashrrev_i32_e32 v5, 31, v4
	v_lshl_add_u64 v[8:9], v[4:5], 2, s[10:11]
	global_load_dword v2, v[8:9], off
	v_mov_b32_e32 v5, 0
	s_waitcnt vmcnt(0)
	v_cmp_class_f16_e64 s[24:25], v2, s98
	s_and_saveexec_b64 s[22:23], s[24:25]
	s_cbranch_execz .LBB5_253
; %bb.12:                               ;   in Loop: Header=BB5_5 Depth=1
	v_cmp_class_f16_sdwa s[26:27], v2, s98 src0_sel:WORD_1 src1_sel:DWORD
	v_mov_b32_e32 v5, 0
	s_and_saveexec_b64 s[24:25], s[26:27]
	s_cbranch_execz .LBB5_252
; %bb.13:                               ;   in Loop: Header=BB5_5 Depth=1
	;; [unrolled: 15-line block ×19, first 2 shown]
	v_add_u32_e32 v4, s9, v4
	v_ashrrev_i32_e32 v5, 31, v4
	v_lshl_add_u64 v[8:9], v[4:5], 2, s[10:11]
	global_load_dword v2, v[8:9], off
	v_mov_b32_e32 v5, 0
	s_waitcnt vmcnt(0)
	v_cmp_class_f16_e64 vcc, v2, s98
	s_mov_b64 s[96:97], exec
                                        ; implicit-def: $vgpr14 : SGPR spill to VGPR lane
	v_writelane_b32 v14, s96, 0
	s_and_b64 vcc, s[96:97], vcc
	s_nop 0
	v_writelane_b32 v14, s97, 1
	s_mov_b64 exec, vcc
	s_cbranch_execz .LBB5_217
; %bb.48:                               ;   in Loop: Header=BB5_5 Depth=1
	v_mov_b32_e32 v5, 0
	v_cmp_class_f16_sdwa s[96:97], v2, s98 src0_sel:WORD_1 src1_sel:DWORD
	s_mov_b64 vcc, exec
	s_nop 0
	v_writelane_b32 v14, vcc_lo, 2
	s_and_b64 s[96:97], vcc, s[96:97]
	s_nop 0
	v_writelane_b32 v14, vcc_hi, 3
	s_mov_b64 exec, s[96:97]
	s_cbranch_execz .LBB5_216
; %bb.49:                               ;   in Loop: Header=BB5_5 Depth=1
	v_add_u32_e32 v4, s9, v4
	v_ashrrev_i32_e32 v5, 31, v4
	v_lshl_add_u64 v[8:9], v[4:5], 2, s[10:11]
	global_load_dword v2, v[8:9], off
	v_mov_b32_e32 v5, 0
	s_waitcnt vmcnt(0)
	v_cmp_class_f16_e64 s[96:97], v2, s98
	s_mov_b64 vcc, exec
	v_writelane_b32 v14, vcc_lo, 4
	s_and_b64 s[96:97], vcc, s[96:97]
	s_nop 0
	v_writelane_b32 v14, vcc_hi, 5
	s_mov_b64 exec, s[96:97]
	s_cbranch_execz .LBB5_215
; %bb.50:                               ;   in Loop: Header=BB5_5 Depth=1
	v_mov_b32_e32 v5, 0
	v_cmp_class_f16_sdwa s[96:97], v2, s98 src0_sel:WORD_1 src1_sel:DWORD
	s_mov_b64 vcc, exec
	s_nop 0
	v_writelane_b32 v14, vcc_lo, 6
	s_and_b64 s[96:97], vcc, s[96:97]
	s_nop 0
	v_writelane_b32 v14, vcc_hi, 7
	s_mov_b64 exec, s[96:97]
	s_cbranch_execz .LBB5_214
; %bb.51:                               ;   in Loop: Header=BB5_5 Depth=1
	v_add_u32_e32 v4, s9, v4
	v_ashrrev_i32_e32 v5, 31, v4
	v_lshl_add_u64 v[8:9], v[4:5], 2, s[10:11]
	global_load_dword v2, v[8:9], off
	v_mov_b32_e32 v5, 0
	s_waitcnt vmcnt(0)
	v_cmp_class_f16_e64 s[96:97], v2, s98
	s_mov_b64 vcc, exec
	v_writelane_b32 v14, vcc_lo, 8
	s_and_b64 s[96:97], vcc, s[96:97]
	s_nop 0
	v_writelane_b32 v14, vcc_hi, 9
	s_mov_b64 exec, s[96:97]
	;; [unrolled: 26-line block ×15, first 2 shown]
	s_cbranch_execz .LBB5_187
; %bb.78:                               ;   in Loop: Header=BB5_5 Depth=1
	v_mov_b32_e32 v5, 0
	v_cmp_class_f16_sdwa s[96:97], v2, s98 src0_sel:WORD_1 src1_sel:DWORD
	s_mov_b64 vcc, exec
	s_nop 0
	v_writelane_b32 v14, vcc_lo, 62
	s_and_b64 s[96:97], vcc, s[96:97]
	s_nop 0
	v_writelane_b32 v14, vcc_hi, 63
	s_mov_b64 exec, s[96:97]
	s_cbranch_execz .LBB5_186
; %bb.79:                               ;   in Loop: Header=BB5_5 Depth=1
	v_add_u32_e32 v4, s9, v4
	v_ashrrev_i32_e32 v5, 31, v4
	v_lshl_add_u64 v[8:9], v[4:5], 2, s[10:11]
	global_load_dword v2, v[8:9], off
	v_mov_b32_e32 v5, 0
	s_waitcnt vmcnt(0)
	v_cmp_class_f16_e64 s[96:97], v2, s98
	s_mov_b64 vcc, exec
                                        ; implicit-def: $vgpr13 : SGPR spill to VGPR lane
	v_writelane_b32 v13, vcc_lo, 0
	s_and_b64 s[96:97], vcc, s[96:97]
	s_nop 0
	v_writelane_b32 v13, vcc_hi, 1
	s_mov_b64 exec, s[96:97]
	s_cbranch_execz .LBB5_185
; %bb.80:                               ;   in Loop: Header=BB5_5 Depth=1
	v_mov_b32_e32 v5, 0
	v_cmp_class_f16_sdwa s[96:97], v2, s98 src0_sel:WORD_1 src1_sel:DWORD
	s_mov_b64 vcc, exec
	s_nop 0
	v_writelane_b32 v13, vcc_lo, 2
	s_and_b64 s[96:97], vcc, s[96:97]
	s_nop 0
	v_writelane_b32 v13, vcc_hi, 3
	s_mov_b64 exec, s[96:97]
	s_cbranch_execz .LBB5_184
; %bb.81:                               ;   in Loop: Header=BB5_5 Depth=1
	v_add_u32_e32 v4, s9, v4
	v_ashrrev_i32_e32 v5, 31, v4
	v_lshl_add_u64 v[8:9], v[4:5], 2, s[10:11]
	global_load_dword v2, v[8:9], off
	v_mov_b32_e32 v5, 0
	s_waitcnt vmcnt(0)
	v_cmp_class_f16_e64 s[96:97], v2, s98
	s_mov_b64 vcc, exec
	v_writelane_b32 v13, vcc_lo, 4
	s_and_b64 s[96:97], vcc, s[96:97]
	s_nop 0
	v_writelane_b32 v13, vcc_hi, 5
	s_mov_b64 exec, s[96:97]
	s_cbranch_execz .LBB5_183
; %bb.82:                               ;   in Loop: Header=BB5_5 Depth=1
	v_mov_b32_e32 v5, 0
	v_cmp_class_f16_sdwa s[96:97], v2, s98 src0_sel:WORD_1 src1_sel:DWORD
	s_mov_b64 vcc, exec
	s_nop 0
	v_writelane_b32 v13, vcc_lo, 6
	s_and_b64 s[96:97], vcc, s[96:97]
	s_nop 0
	v_writelane_b32 v13, vcc_hi, 7
	s_mov_b64 exec, s[96:97]
	s_cbranch_execz .LBB5_182
; %bb.83:                               ;   in Loop: Header=BB5_5 Depth=1
	v_add_u32_e32 v4, s9, v4
	v_ashrrev_i32_e32 v5, 31, v4
	v_lshl_add_u64 v[8:9], v[4:5], 2, s[10:11]
	global_load_dword v2, v[8:9], off
	v_mov_b32_e32 v5, 0
	s_waitcnt vmcnt(0)
	v_cmp_class_f16_e64 s[96:97], v2, s98
	s_mov_b64 vcc, exec
	;; [unrolled: 26-line block ×10, first 2 shown]
	v_writelane_b32 v13, vcc_lo, 40
	s_and_b64 s[96:97], vcc, s[96:97]
	s_nop 0
	v_writelane_b32 v13, vcc_hi, 41
	s_mov_b64 exec, s[96:97]
	s_cbranch_execz .LBB5_165
; %bb.100:                              ;   in Loop: Header=BB5_5 Depth=1
	v_mov_b32_e32 v5, 0
	v_cmp_class_f16_sdwa s[96:97], v2, s98 src0_sel:WORD_1 src1_sel:DWORD
	s_mov_b64 vcc, exec
	s_nop 0
	v_writelane_b32 v13, vcc_lo, 42
	s_and_b64 s[96:97], vcc, s[96:97]
	s_nop 0
	v_writelane_b32 v13, vcc_hi, 43
	s_mov_b64 exec, s[96:97]
	s_cbranch_execz .LBB5_164
; %bb.101:                              ;   in Loop: Header=BB5_5 Depth=1
	v_add_u32_e32 v4, s9, v4
	v_ashrrev_i32_e32 v5, 31, v4
	v_lshl_add_u64 v[8:9], v[4:5], 2, s[10:11]
	global_load_dword v2, v[8:9], off
	v_mov_b32_e32 v5, 0
	s_waitcnt vmcnt(0)
	v_cmp_class_f16_e64 s[96:97], v2, s98
	s_mov_b64 vcc, exec
	v_writelane_b32 v13, vcc_lo, 44
	s_and_b64 s[96:97], vcc, s[96:97]
	s_nop 0
	v_writelane_b32 v13, vcc_hi, 45
	s_mov_b64 exec, s[96:97]
	s_cbranch_execz .LBB5_163
; %bb.102:                              ;   in Loop: Header=BB5_5 Depth=1
	v_mov_b32_e32 v5, 0
	v_cmp_class_f16_sdwa s[96:97], v2, s98 src0_sel:WORD_1 src1_sel:DWORD
	s_mov_b64 vcc, exec
	s_nop 0
	v_writelane_b32 v13, vcc_lo, 46
	s_and_b64 s[96:97], vcc, s[96:97]
	s_nop 0
	v_writelane_b32 v13, vcc_hi, 47
	s_mov_b64 exec, s[96:97]
	s_cbranch_execz .LBB5_162
; %bb.103:                              ;   in Loop: Header=BB5_5 Depth=1
	v_add_u32_e32 v4, s9, v4
	v_ashrrev_i32_e32 v5, 31, v4
	v_lshl_add_u64 v[8:9], v[4:5], 2, s[10:11]
	global_load_dword v2, v[8:9], off
	v_mov_b32_e32 v5, 0
	s_waitcnt vmcnt(0)
	v_cmp_class_f16_e64 s[96:97], v2, s98
	s_mov_b64 vcc, exec
	;; [unrolled: 26-line block ×6, first 2 shown]
                                        ; implicit-def: $vgpr12 : SGPR spill to VGPR lane
	v_writelane_b32 v12, vcc_lo, 0
	s_and_b64 s[96:97], vcc, s[96:97]
	s_nop 0
	v_writelane_b32 v12, vcc_hi, 1
	s_mov_b64 exec, s[96:97]
	s_cbranch_execz .LBB5_153
; %bb.112:                              ;   in Loop: Header=BB5_5 Depth=1
	v_mov_b32_e32 v5, 0
	v_cmp_class_f16_sdwa s[96:97], v2, s98 src0_sel:WORD_1 src1_sel:DWORD
	s_mov_b64 vcc, exec
	s_nop 0
	v_writelane_b32 v12, vcc_lo, 2
	s_and_b64 s[96:97], vcc, s[96:97]
	s_nop 0
	v_writelane_b32 v12, vcc_hi, 3
	s_mov_b64 exec, s[96:97]
	s_cbranch_execz .LBB5_152
; %bb.113:                              ;   in Loop: Header=BB5_5 Depth=1
	v_add_u32_e32 v4, s9, v4
	v_ashrrev_i32_e32 v5, 31, v4
	v_lshl_add_u64 v[8:9], v[4:5], 2, s[10:11]
	global_load_dword v2, v[8:9], off
	v_mov_b32_e32 v5, 0
	s_waitcnt vmcnt(0)
	v_cmp_class_f16_e64 s[96:97], v2, s98
	s_mov_b64 vcc, exec
	v_writelane_b32 v12, vcc_lo, 4
	s_and_b64 s[96:97], vcc, s[96:97]
	s_nop 0
	v_writelane_b32 v12, vcc_hi, 5
	s_mov_b64 exec, s[96:97]
	s_cbranch_execz .LBB5_151
; %bb.114:                              ;   in Loop: Header=BB5_5 Depth=1
	v_mov_b32_e32 v5, 0
	v_cmp_class_f16_sdwa s[96:97], v2, s98 src0_sel:WORD_1 src1_sel:DWORD
	s_mov_b64 vcc, exec
	s_nop 0
	v_writelane_b32 v12, vcc_lo, 6
	s_and_b64 s[96:97], vcc, s[96:97]
	s_nop 0
	v_writelane_b32 v12, vcc_hi, 7
	s_mov_b64 exec, s[96:97]
	s_cbranch_execz .LBB5_150
; %bb.115:                              ;   in Loop: Header=BB5_5 Depth=1
	v_add_u32_e32 v4, s9, v4
	v_ashrrev_i32_e32 v5, 31, v4
	v_lshl_add_u64 v[8:9], v[4:5], 2, s[10:11]
	global_load_dword v2, v[8:9], off
	v_mov_b32_e32 v5, 0
	s_waitcnt vmcnt(0)
	v_cmp_class_f16_e64 s[96:97], v2, s98
	s_mov_b64 vcc, exec
	;; [unrolled: 26-line block ×10, first 2 shown]
	v_writelane_b32 v12, vcc_lo, 40
	s_and_b64 s[96:97], vcc, s[96:97]
	s_nop 0
	v_writelane_b32 v12, vcc_hi, 41
	s_mov_b64 exec, s[96:97]
; %bb.132:                              ;   in Loop: Header=BB5_5 Depth=1
	v_cmp_class_f16_sdwa s[96:97], v2, s98 src0_sel:WORD_1 src1_sel:DWORD
	s_nop 1
	v_cndmask_b32_e64 v5, 0, 1, s[96:97]
; %bb.133:                              ;   in Loop: Header=BB5_5 Depth=1
	v_readlane_b32 s96, v12, 40
	v_readlane_b32 s97, v12, 41
	s_or_b64 exec, exec, s[96:97]
.LBB5_134:                              ;   in Loop: Header=BB5_5 Depth=1
	v_readlane_b32 s96, v12, 38
	v_readlane_b32 s97, v12, 39
	s_or_b64 exec, exec, s[96:97]
.LBB5_135:                              ;   in Loop: Header=BB5_5 Depth=1
	v_readlane_b32 s96, v12, 36
	v_readlane_b32 s97, v12, 37
	s_or_b64 exec, exec, s[96:97]
.LBB5_136:                              ;   in Loop: Header=BB5_5 Depth=1
	v_readlane_b32 s96, v12, 34
	v_readlane_b32 s97, v12, 35
	s_or_b64 exec, exec, s[96:97]
.LBB5_137:                              ;   in Loop: Header=BB5_5 Depth=1
	v_readlane_b32 s96, v12, 32
	v_readlane_b32 s97, v12, 33
	s_or_b64 exec, exec, s[96:97]
.LBB5_138:                              ;   in Loop: Header=BB5_5 Depth=1
	v_readlane_b32 s96, v12, 30
	v_readlane_b32 s97, v12, 31
	s_or_b64 exec, exec, s[96:97]
.LBB5_139:                              ;   in Loop: Header=BB5_5 Depth=1
	v_readlane_b32 s96, v12, 28
	v_readlane_b32 s97, v12, 29
	s_or_b64 exec, exec, s[96:97]
.LBB5_140:                              ;   in Loop: Header=BB5_5 Depth=1
	v_readlane_b32 s96, v12, 26
	v_readlane_b32 s97, v12, 27
	s_or_b64 exec, exec, s[96:97]
.LBB5_141:                              ;   in Loop: Header=BB5_5 Depth=1
	v_readlane_b32 s96, v12, 24
	v_readlane_b32 s97, v12, 25
	s_or_b64 exec, exec, s[96:97]
.LBB5_142:                              ;   in Loop: Header=BB5_5 Depth=1
	v_readlane_b32 s96, v12, 22
	v_readlane_b32 s97, v12, 23
	s_or_b64 exec, exec, s[96:97]
.LBB5_143:                              ;   in Loop: Header=BB5_5 Depth=1
	v_readlane_b32 s96, v12, 20
	v_readlane_b32 s97, v12, 21
	s_or_b64 exec, exec, s[96:97]
.LBB5_144:                              ;   in Loop: Header=BB5_5 Depth=1
	v_readlane_b32 s96, v12, 18
	v_readlane_b32 s97, v12, 19
	s_or_b64 exec, exec, s[96:97]
.LBB5_145:                              ;   in Loop: Header=BB5_5 Depth=1
	v_readlane_b32 s96, v12, 16
	v_readlane_b32 s97, v12, 17
	s_or_b64 exec, exec, s[96:97]
.LBB5_146:                              ;   in Loop: Header=BB5_5 Depth=1
	v_readlane_b32 s96, v12, 14
	v_readlane_b32 s97, v12, 15
	s_or_b64 exec, exec, s[96:97]
.LBB5_147:                              ;   in Loop: Header=BB5_5 Depth=1
	v_readlane_b32 s96, v12, 12
	v_readlane_b32 s97, v12, 13
	s_or_b64 exec, exec, s[96:97]
.LBB5_148:                              ;   in Loop: Header=BB5_5 Depth=1
	v_readlane_b32 s96, v12, 10
	v_readlane_b32 s97, v12, 11
	s_or_b64 exec, exec, s[96:97]
.LBB5_149:                              ;   in Loop: Header=BB5_5 Depth=1
	v_readlane_b32 s96, v12, 8
	v_readlane_b32 s97, v12, 9
	s_or_b64 exec, exec, s[96:97]
.LBB5_150:                              ;   in Loop: Header=BB5_5 Depth=1
	v_readlane_b32 s96, v12, 6
	v_readlane_b32 s97, v12, 7
	s_or_b64 exec, exec, s[96:97]
.LBB5_151:                              ;   in Loop: Header=BB5_5 Depth=1
	v_readlane_b32 s96, v12, 4
	v_readlane_b32 s97, v12, 5
	s_or_b64 exec, exec, s[96:97]
.LBB5_152:                              ;   in Loop: Header=BB5_5 Depth=1
	v_readlane_b32 s96, v12, 2
	v_readlane_b32 s97, v12, 3
	s_or_b64 exec, exec, s[96:97]
.LBB5_153:                              ;   in Loop: Header=BB5_5 Depth=1
	v_readlane_b32 s96, v12, 0
	v_readlane_b32 s97, v12, 1
	s_or_b64 exec, exec, s[96:97]
.LBB5_154:                              ;   in Loop: Header=BB5_5 Depth=1
	v_readlane_b32 s96, v13, 62
	v_readlane_b32 s97, v13, 63
	s_or_b64 exec, exec, s[96:97]
.LBB5_155:                              ;   in Loop: Header=BB5_5 Depth=1
	v_readlane_b32 s96, v13, 60
	v_readlane_b32 s97, v13, 61
	s_or_b64 exec, exec, s[96:97]
.LBB5_156:                              ;   in Loop: Header=BB5_5 Depth=1
	v_readlane_b32 s96, v13, 58
	v_readlane_b32 s97, v13, 59
	s_or_b64 exec, exec, s[96:97]
.LBB5_157:                              ;   in Loop: Header=BB5_5 Depth=1
	v_readlane_b32 s96, v13, 56
	v_readlane_b32 s97, v13, 57
	s_or_b64 exec, exec, s[96:97]
.LBB5_158:                              ;   in Loop: Header=BB5_5 Depth=1
	v_readlane_b32 s96, v13, 54
	v_readlane_b32 s97, v13, 55
	s_or_b64 exec, exec, s[96:97]
.LBB5_159:                              ;   in Loop: Header=BB5_5 Depth=1
	v_readlane_b32 s96, v13, 52
	v_readlane_b32 s97, v13, 53
	s_or_b64 exec, exec, s[96:97]
.LBB5_160:                              ;   in Loop: Header=BB5_5 Depth=1
	v_readlane_b32 s96, v13, 50
	v_readlane_b32 s97, v13, 51
	s_or_b64 exec, exec, s[96:97]
.LBB5_161:                              ;   in Loop: Header=BB5_5 Depth=1
	v_readlane_b32 s96, v13, 48
	v_readlane_b32 s97, v13, 49
	s_or_b64 exec, exec, s[96:97]
.LBB5_162:                              ;   in Loop: Header=BB5_5 Depth=1
	v_readlane_b32 s96, v13, 46
	v_readlane_b32 s97, v13, 47
	s_or_b64 exec, exec, s[96:97]
.LBB5_163:                              ;   in Loop: Header=BB5_5 Depth=1
	v_readlane_b32 s96, v13, 44
	v_readlane_b32 s97, v13, 45
	s_or_b64 exec, exec, s[96:97]
.LBB5_164:                              ;   in Loop: Header=BB5_5 Depth=1
	v_readlane_b32 s96, v13, 42
	v_readlane_b32 s97, v13, 43
	s_or_b64 exec, exec, s[96:97]
.LBB5_165:                              ;   in Loop: Header=BB5_5 Depth=1
	v_readlane_b32 s96, v13, 40
	v_readlane_b32 s97, v13, 41
	s_or_b64 exec, exec, s[96:97]
.LBB5_166:                              ;   in Loop: Header=BB5_5 Depth=1
	v_readlane_b32 s96, v13, 38
	v_readlane_b32 s97, v13, 39
	s_or_b64 exec, exec, s[96:97]
.LBB5_167:                              ;   in Loop: Header=BB5_5 Depth=1
	v_readlane_b32 s96, v13, 36
	v_readlane_b32 s97, v13, 37
	s_or_b64 exec, exec, s[96:97]
.LBB5_168:                              ;   in Loop: Header=BB5_5 Depth=1
	v_readlane_b32 s96, v13, 34
	v_readlane_b32 s97, v13, 35
	s_or_b64 exec, exec, s[96:97]
.LBB5_169:                              ;   in Loop: Header=BB5_5 Depth=1
	v_readlane_b32 s96, v13, 32
	v_readlane_b32 s97, v13, 33
	s_or_b64 exec, exec, s[96:97]
.LBB5_170:                              ;   in Loop: Header=BB5_5 Depth=1
	v_readlane_b32 s96, v13, 30
	v_readlane_b32 s97, v13, 31
	s_or_b64 exec, exec, s[96:97]
.LBB5_171:                              ;   in Loop: Header=BB5_5 Depth=1
	v_readlane_b32 s96, v13, 28
	v_readlane_b32 s97, v13, 29
	s_or_b64 exec, exec, s[96:97]
.LBB5_172:                              ;   in Loop: Header=BB5_5 Depth=1
	v_readlane_b32 s96, v13, 26
	v_readlane_b32 s97, v13, 27
	s_or_b64 exec, exec, s[96:97]
.LBB5_173:                              ;   in Loop: Header=BB5_5 Depth=1
	v_readlane_b32 s96, v13, 24
	v_readlane_b32 s97, v13, 25
	s_or_b64 exec, exec, s[96:97]
.LBB5_174:                              ;   in Loop: Header=BB5_5 Depth=1
	v_readlane_b32 s96, v13, 22
	v_readlane_b32 s97, v13, 23
	s_or_b64 exec, exec, s[96:97]
.LBB5_175:                              ;   in Loop: Header=BB5_5 Depth=1
	v_readlane_b32 s96, v13, 20
	v_readlane_b32 s97, v13, 21
	s_or_b64 exec, exec, s[96:97]
.LBB5_176:                              ;   in Loop: Header=BB5_5 Depth=1
	v_readlane_b32 s96, v13, 18
	v_readlane_b32 s97, v13, 19
	s_or_b64 exec, exec, s[96:97]
.LBB5_177:                              ;   in Loop: Header=BB5_5 Depth=1
	v_readlane_b32 s96, v13, 16
	v_readlane_b32 s97, v13, 17
	s_or_b64 exec, exec, s[96:97]
.LBB5_178:                              ;   in Loop: Header=BB5_5 Depth=1
	v_readlane_b32 s96, v13, 14
	v_readlane_b32 s97, v13, 15
	s_or_b64 exec, exec, s[96:97]
.LBB5_179:                              ;   in Loop: Header=BB5_5 Depth=1
	v_readlane_b32 s96, v13, 12
	v_readlane_b32 s97, v13, 13
	s_or_b64 exec, exec, s[96:97]
.LBB5_180:                              ;   in Loop: Header=BB5_5 Depth=1
	v_readlane_b32 s96, v13, 10
	v_readlane_b32 s97, v13, 11
	s_or_b64 exec, exec, s[96:97]
.LBB5_181:                              ;   in Loop: Header=BB5_5 Depth=1
	v_readlane_b32 s96, v13, 8
	v_readlane_b32 s97, v13, 9
	s_or_b64 exec, exec, s[96:97]
.LBB5_182:                              ;   in Loop: Header=BB5_5 Depth=1
	v_readlane_b32 s96, v13, 6
	v_readlane_b32 s97, v13, 7
	s_or_b64 exec, exec, s[96:97]
.LBB5_183:                              ;   in Loop: Header=BB5_5 Depth=1
	v_readlane_b32 s96, v13, 4
	v_readlane_b32 s97, v13, 5
	s_or_b64 exec, exec, s[96:97]
.LBB5_184:                              ;   in Loop: Header=BB5_5 Depth=1
	v_readlane_b32 s96, v13, 2
	v_readlane_b32 s97, v13, 3
	s_or_b64 exec, exec, s[96:97]
.LBB5_185:                              ;   in Loop: Header=BB5_5 Depth=1
	v_readlane_b32 s96, v13, 0
	v_readlane_b32 s97, v13, 1
	s_or_b64 exec, exec, s[96:97]
.LBB5_186:                              ;   in Loop: Header=BB5_5 Depth=1
	v_readlane_b32 s96, v14, 62
	v_readlane_b32 s97, v14, 63
	s_or_b64 exec, exec, s[96:97]
.LBB5_187:                              ;   in Loop: Header=BB5_5 Depth=1
	v_readlane_b32 s96, v14, 60
	v_readlane_b32 s97, v14, 61
	s_or_b64 exec, exec, s[96:97]
.LBB5_188:                              ;   in Loop: Header=BB5_5 Depth=1
	v_readlane_b32 s96, v14, 58
	v_readlane_b32 s97, v14, 59
	s_or_b64 exec, exec, s[96:97]
.LBB5_189:                              ;   in Loop: Header=BB5_5 Depth=1
	v_readlane_b32 s96, v14, 56
	v_readlane_b32 s97, v14, 57
	s_or_b64 exec, exec, s[96:97]
.LBB5_190:                              ;   in Loop: Header=BB5_5 Depth=1
	v_readlane_b32 s96, v14, 54
	v_readlane_b32 s97, v14, 55
	s_or_b64 exec, exec, s[96:97]
.LBB5_191:                              ;   in Loop: Header=BB5_5 Depth=1
	v_readlane_b32 s96, v14, 52
	v_readlane_b32 s97, v14, 53
	s_or_b64 exec, exec, s[96:97]
.LBB5_192:                              ;   in Loop: Header=BB5_5 Depth=1
	v_readlane_b32 s96, v14, 50
	v_readlane_b32 s97, v14, 51
	s_or_b64 exec, exec, s[96:97]
.LBB5_193:                              ;   in Loop: Header=BB5_5 Depth=1
	v_readlane_b32 s96, v14, 48
	v_readlane_b32 s97, v14, 49
	s_or_b64 exec, exec, s[96:97]
.LBB5_194:                              ;   in Loop: Header=BB5_5 Depth=1
	v_readlane_b32 s96, v14, 46
	v_readlane_b32 s97, v14, 47
	s_or_b64 exec, exec, s[96:97]
.LBB5_195:                              ;   in Loop: Header=BB5_5 Depth=1
	v_readlane_b32 s96, v14, 44
	v_readlane_b32 s97, v14, 45
	s_or_b64 exec, exec, s[96:97]
.LBB5_196:                              ;   in Loop: Header=BB5_5 Depth=1
	v_readlane_b32 s96, v14, 42
	v_readlane_b32 s97, v14, 43
	s_or_b64 exec, exec, s[96:97]
.LBB5_197:                              ;   in Loop: Header=BB5_5 Depth=1
	v_readlane_b32 s96, v14, 40
	v_readlane_b32 s97, v14, 41
	s_or_b64 exec, exec, s[96:97]
.LBB5_198:                              ;   in Loop: Header=BB5_5 Depth=1
	v_readlane_b32 s96, v14, 38
	v_readlane_b32 s97, v14, 39
	s_or_b64 exec, exec, s[96:97]
.LBB5_199:                              ;   in Loop: Header=BB5_5 Depth=1
	v_readlane_b32 s96, v14, 36
	v_readlane_b32 s97, v14, 37
	s_or_b64 exec, exec, s[96:97]
.LBB5_200:                              ;   in Loop: Header=BB5_5 Depth=1
	v_readlane_b32 s96, v14, 34
	v_readlane_b32 s97, v14, 35
	s_or_b64 exec, exec, s[96:97]
.LBB5_201:                              ;   in Loop: Header=BB5_5 Depth=1
	v_readlane_b32 s96, v14, 32
	v_readlane_b32 s97, v14, 33
	s_or_b64 exec, exec, s[96:97]
.LBB5_202:                              ;   in Loop: Header=BB5_5 Depth=1
	v_readlane_b32 s96, v14, 30
	v_readlane_b32 s97, v14, 31
	s_or_b64 exec, exec, s[96:97]
.LBB5_203:                              ;   in Loop: Header=BB5_5 Depth=1
	v_readlane_b32 s96, v14, 28
	v_readlane_b32 s97, v14, 29
	s_or_b64 exec, exec, s[96:97]
.LBB5_204:                              ;   in Loop: Header=BB5_5 Depth=1
	v_readlane_b32 s96, v14, 26
	v_readlane_b32 s97, v14, 27
	s_or_b64 exec, exec, s[96:97]
.LBB5_205:                              ;   in Loop: Header=BB5_5 Depth=1
	v_readlane_b32 s96, v14, 24
	v_readlane_b32 s97, v14, 25
	s_or_b64 exec, exec, s[96:97]
.LBB5_206:                              ;   in Loop: Header=BB5_5 Depth=1
	v_readlane_b32 s96, v14, 22
	v_readlane_b32 s97, v14, 23
	s_or_b64 exec, exec, s[96:97]
.LBB5_207:                              ;   in Loop: Header=BB5_5 Depth=1
	v_readlane_b32 s96, v14, 20
	v_readlane_b32 s97, v14, 21
	s_or_b64 exec, exec, s[96:97]
.LBB5_208:                              ;   in Loop: Header=BB5_5 Depth=1
	v_readlane_b32 s96, v14, 18
	v_readlane_b32 s97, v14, 19
	s_or_b64 exec, exec, s[96:97]
.LBB5_209:                              ;   in Loop: Header=BB5_5 Depth=1
	v_readlane_b32 s96, v14, 16
	v_readlane_b32 s97, v14, 17
	s_or_b64 exec, exec, s[96:97]
.LBB5_210:                              ;   in Loop: Header=BB5_5 Depth=1
	v_readlane_b32 s96, v14, 14
	v_readlane_b32 s97, v14, 15
	s_or_b64 exec, exec, s[96:97]
.LBB5_211:                              ;   in Loop: Header=BB5_5 Depth=1
	v_readlane_b32 s96, v14, 12
	v_readlane_b32 s97, v14, 13
	s_or_b64 exec, exec, s[96:97]
.LBB5_212:                              ;   in Loop: Header=BB5_5 Depth=1
	v_readlane_b32 s96, v14, 10
	v_readlane_b32 s97, v14, 11
	s_or_b64 exec, exec, s[96:97]
.LBB5_213:                              ;   in Loop: Header=BB5_5 Depth=1
	v_readlane_b32 s96, v14, 8
	v_readlane_b32 s97, v14, 9
	s_or_b64 exec, exec, s[96:97]
.LBB5_214:                              ;   in Loop: Header=BB5_5 Depth=1
	v_readlane_b32 s96, v14, 6
	v_readlane_b32 s97, v14, 7
	s_or_b64 exec, exec, s[96:97]
.LBB5_215:                              ;   in Loop: Header=BB5_5 Depth=1
	v_readlane_b32 s96, v14, 4
	v_readlane_b32 s97, v14, 5
	s_or_b64 exec, exec, s[96:97]
.LBB5_216:                              ;   in Loop: Header=BB5_5 Depth=1
	v_readlane_b32 s96, v14, 2
	v_readlane_b32 s97, v14, 3
	s_or_b64 exec, exec, s[96:97]
.LBB5_217:                              ;   in Loop: Header=BB5_5 Depth=1
	v_readlane_b32 s96, v14, 0
	v_readlane_b32 s97, v14, 1
	s_or_b64 exec, exec, s[96:97]
.LBB5_218:                              ;   in Loop: Header=BB5_5 Depth=1
	s_or_b64 exec, exec, s[94:95]
.LBB5_219:                              ;   in Loop: Header=BB5_5 Depth=1
	s_or_b64 exec, exec, s[92:93]
.LBB5_220:                              ;   in Loop: Header=BB5_5 Depth=1
	s_or_b64 exec, exec, s[90:91]
.LBB5_221:                              ;   in Loop: Header=BB5_5 Depth=1
	s_or_b64 exec, exec, s[88:89]
.LBB5_222:                              ;   in Loop: Header=BB5_5 Depth=1
	s_or_b64 exec, exec, s[86:87]
.LBB5_223:                              ;   in Loop: Header=BB5_5 Depth=1
	s_or_b64 exec, exec, s[84:85]
.LBB5_224:                              ;   in Loop: Header=BB5_5 Depth=1
	s_or_b64 exec, exec, s[82:83]
.LBB5_225:                              ;   in Loop: Header=BB5_5 Depth=1
	s_or_b64 exec, exec, s[80:81]
.LBB5_226:                              ;   in Loop: Header=BB5_5 Depth=1
	s_or_b64 exec, exec, s[78:79]
.LBB5_227:                              ;   in Loop: Header=BB5_5 Depth=1
	s_or_b64 exec, exec, s[76:77]
.LBB5_228:                              ;   in Loop: Header=BB5_5 Depth=1
	s_or_b64 exec, exec, s[74:75]
.LBB5_229:                              ;   in Loop: Header=BB5_5 Depth=1
	s_or_b64 exec, exec, s[72:73]
.LBB5_230:                              ;   in Loop: Header=BB5_5 Depth=1
	s_or_b64 exec, exec, s[70:71]
.LBB5_231:                              ;   in Loop: Header=BB5_5 Depth=1
	s_or_b64 exec, exec, s[68:69]
.LBB5_232:                              ;   in Loop: Header=BB5_5 Depth=1
	s_or_b64 exec, exec, s[66:67]
.LBB5_233:                              ;   in Loop: Header=BB5_5 Depth=1
	s_or_b64 exec, exec, s[64:65]
.LBB5_234:                              ;   in Loop: Header=BB5_5 Depth=1
	s_or_b64 exec, exec, s[62:63]
.LBB5_235:                              ;   in Loop: Header=BB5_5 Depth=1
	s_or_b64 exec, exec, s[60:61]
.LBB5_236:                              ;   in Loop: Header=BB5_5 Depth=1
	s_or_b64 exec, exec, s[58:59]
.LBB5_237:                              ;   in Loop: Header=BB5_5 Depth=1
	s_or_b64 exec, exec, s[56:57]
.LBB5_238:                              ;   in Loop: Header=BB5_5 Depth=1
	s_or_b64 exec, exec, s[54:55]
.LBB5_239:                              ;   in Loop: Header=BB5_5 Depth=1
	s_or_b64 exec, exec, s[52:53]
.LBB5_240:                              ;   in Loop: Header=BB5_5 Depth=1
	s_or_b64 exec, exec, s[50:51]
.LBB5_241:                              ;   in Loop: Header=BB5_5 Depth=1
	s_or_b64 exec, exec, s[48:49]
.LBB5_242:                              ;   in Loop: Header=BB5_5 Depth=1
	s_or_b64 exec, exec, s[46:47]
.LBB5_243:                              ;   in Loop: Header=BB5_5 Depth=1
	s_or_b64 exec, exec, s[44:45]
.LBB5_244:                              ;   in Loop: Header=BB5_5 Depth=1
	s_or_b64 exec, exec, s[42:43]
.LBB5_245:                              ;   in Loop: Header=BB5_5 Depth=1
	s_or_b64 exec, exec, s[40:41]
.LBB5_246:                              ;   in Loop: Header=BB5_5 Depth=1
	s_or_b64 exec, exec, s[38:39]
.LBB5_247:                              ;   in Loop: Header=BB5_5 Depth=1
	s_or_b64 exec, exec, s[36:37]
.LBB5_248:                              ;   in Loop: Header=BB5_5 Depth=1
	s_or_b64 exec, exec, s[34:35]
.LBB5_249:                              ;   in Loop: Header=BB5_5 Depth=1
	s_or_b64 exec, exec, s[30:31]
.LBB5_250:                              ;   in Loop: Header=BB5_5 Depth=1
	s_or_b64 exec, exec, s[28:29]
.LBB5_251:                              ;   in Loop: Header=BB5_5 Depth=1
	s_or_b64 exec, exec, s[26:27]
.LBB5_252:                              ;   in Loop: Header=BB5_5 Depth=1
	s_or_b64 exec, exec, s[24:25]
.LBB5_253:                              ;   in Loop: Header=BB5_5 Depth=1
	s_or_b64 exec, exec, s[22:23]
.LBB5_254:                              ;   in Loop: Header=BB5_5 Depth=1
	s_or_b64 exec, exec, s[20:21]
.LBB5_255:                              ;   in Loop: Header=BB5_5 Depth=1
	s_or_b64 exec, exec, s[18:19]
.LBB5_256:                              ;   in Loop: Header=BB5_5 Depth=1
	s_or_b64 exec, exec, s[16:17]
.LBB5_257:                              ;   in Loop: Header=BB5_5 Depth=1
	s_or_b64 exec, exec, s[14:15]
.LBB5_258:                              ;   in Loop: Header=BB5_5 Depth=1
	s_or_b64 exec, exec, s[4:5]
	v_and_b32_e32 v2, 0x60, v7
	v_add_u32_e32 v9, 32, v2
	v_xor_b32_e32 v2, 16, v7
	v_cmp_lt_i32_e32 vcc, v2, v9
	v_xor_b32_e32 v11, 1, v7
	s_nop 0
	v_cndmask_b32_e32 v2, v7, v2, vcc
	v_lshlrev_b32_e32 v2, 2, v2
	ds_bpermute_b32 v4, v2, v5
	v_cmp_ne_u32_e32 vcc, 0, v5
	s_waitcnt lgkmcnt(0)
	v_cmp_ne_u32_e64 s[4:5], 0, v4
	v_xor_b32_e32 v4, 8, v7
	s_and_b64 s[4:5], vcc, s[4:5]
	v_cmp_lt_i32_e32 vcc, v4, v9
	v_cndmask_b32_e64 v5, 0, 1, s[4:5]
	s_nop 0
	v_cndmask_b32_e32 v4, v7, v4, vcc
	v_lshlrev_b32_e32 v4, 2, v4
	ds_bpermute_b32 v5, v4, v5
	s_waitcnt lgkmcnt(0)
	v_cmp_ne_u32_e32 vcc, 0, v5
	v_xor_b32_e32 v5, 4, v7
	s_and_b64 s[4:5], vcc, s[4:5]
	v_cmp_lt_i32_e32 vcc, v5, v9
	v_cndmask_b32_e64 v8, 0, 1, s[4:5]
	s_nop 0
	v_cndmask_b32_e32 v5, v7, v5, vcc
	v_lshlrev_b32_e32 v5, 2, v5
	ds_bpermute_b32 v8, v5, v8
	s_waitcnt lgkmcnt(0)
	v_cmp_ne_u32_e32 vcc, 0, v8
	;; [unrolled: 10-line block ×3, first 2 shown]
	s_and_b64 s[4:5], vcc, s[4:5]
	v_cmp_lt_i32_e32 vcc, v11, v9
	v_cndmask_b32_e64 v10, 0, 1, s[4:5]
	s_nop 0
	v_cndmask_b32_e32 v9, v7, v11, vcc
	v_lshlrev_b32_e32 v9, 2, v9
	ds_bpermute_b32 v10, v9, v10
	s_and_saveexec_b64 s[14:15], s[0:1]
	s_cbranch_execz .LBB5_3
; %bb.259:                              ;   in Loop: Header=BB5_5 Depth=1
	s_waitcnt lgkmcnt(0)
	v_cmp_ne_u32_e32 vcc, 0, v10
	s_and_b64 s[4:5], vcc, s[4:5]
	v_cndmask_b32_e64 v10, 0, 1, s[4:5]
	ds_write_b32 v1, v10
	s_branch .LBB5_3
.LBB5_260:
	s_or_b64 exec, exec, s[12:13]
	v_cmp_eq_u32_e32 vcc, 0, v0
	s_and_saveexec_b64 s[0:1], vcc
	s_cbranch_execz .LBB5_262
; %bb.261:
	s_mul_i32 s0, s33, s3
	s_add_i32 s0, s0, s2
	s_ashr_i32 s1, s0, 31
	s_lshl_b64 s[0:1], s[0:1], 2
	s_add_u32 s0, s6, s0
	s_addc_u32 s1, s7, s1
	v_mov_b32_e32 v0, 0
	global_store_dword v0, v2, s[0:1]
.LBB5_262:
	s_endpgm
	.section	.rodata,"a",@progbits
	.p2align	6, 0x0
	.amdhsa_kernel _ZL25flash_attn_mask_to_KV_maxILi64EEvPK7__half2Piiii
		.amdhsa_group_segment_fixed_size 128
		.amdhsa_private_segment_fixed_size 0
		.amdhsa_kernarg_size 288
		.amdhsa_user_sgpr_count 2
		.amdhsa_user_sgpr_dispatch_ptr 0
		.amdhsa_user_sgpr_queue_ptr 0
		.amdhsa_user_sgpr_kernarg_segment_ptr 1
		.amdhsa_user_sgpr_dispatch_id 0
		.amdhsa_user_sgpr_kernarg_preload_length 0
		.amdhsa_user_sgpr_kernarg_preload_offset 0
		.amdhsa_user_sgpr_private_segment_size 0
		.amdhsa_uses_dynamic_stack 0
		.amdhsa_enable_private_segment 0
		.amdhsa_system_sgpr_workgroup_id_x 1
		.amdhsa_system_sgpr_workgroup_id_y 1
		.amdhsa_system_sgpr_workgroup_id_z 0
		.amdhsa_system_sgpr_workgroup_info 0
		.amdhsa_system_vgpr_workitem_id 0
		.amdhsa_next_free_vgpr 15
		.amdhsa_next_free_sgpr 100
		.amdhsa_accum_offset 16
		.amdhsa_reserve_vcc 1
		.amdhsa_float_round_mode_32 0
		.amdhsa_float_round_mode_16_64 0
		.amdhsa_float_denorm_mode_32 3
		.amdhsa_float_denorm_mode_16_64 3
		.amdhsa_dx10_clamp 1
		.amdhsa_ieee_mode 1
		.amdhsa_fp16_overflow 0
		.amdhsa_tg_split 0
		.amdhsa_exception_fp_ieee_invalid_op 0
		.amdhsa_exception_fp_denorm_src 0
		.amdhsa_exception_fp_ieee_div_zero 0
		.amdhsa_exception_fp_ieee_overflow 0
		.amdhsa_exception_fp_ieee_underflow 0
		.amdhsa_exception_fp_ieee_inexact 0
		.amdhsa_exception_int_div_zero 0
	.end_amdhsa_kernel
	.section	.text._ZL25flash_attn_mask_to_KV_maxILi64EEvPK7__half2Piiii,"axG",@progbits,_ZL25flash_attn_mask_to_KV_maxILi64EEvPK7__half2Piiii,comdat
.Lfunc_end5:
	.size	_ZL25flash_attn_mask_to_KV_maxILi64EEvPK7__half2Piiii, .Lfunc_end5-_ZL25flash_attn_mask_to_KV_maxILi64EEvPK7__half2Piiii
                                        ; -- End function
	.set _ZL25flash_attn_mask_to_KV_maxILi64EEvPK7__half2Piiii.num_vgpr, 15
	.set _ZL25flash_attn_mask_to_KV_maxILi64EEvPK7__half2Piiii.num_agpr, 0
	.set _ZL25flash_attn_mask_to_KV_maxILi64EEvPK7__half2Piiii.numbered_sgpr, 100
	.set _ZL25flash_attn_mask_to_KV_maxILi64EEvPK7__half2Piiii.num_named_barrier, 0
	.set _ZL25flash_attn_mask_to_KV_maxILi64EEvPK7__half2Piiii.private_seg_size, 0
	.set _ZL25flash_attn_mask_to_KV_maxILi64EEvPK7__half2Piiii.uses_vcc, 1
	.set _ZL25flash_attn_mask_to_KV_maxILi64EEvPK7__half2Piiii.uses_flat_scratch, 0
	.set _ZL25flash_attn_mask_to_KV_maxILi64EEvPK7__half2Piiii.has_dyn_sized_stack, 0
	.set _ZL25flash_attn_mask_to_KV_maxILi64EEvPK7__half2Piiii.has_recursion, 0
	.set _ZL25flash_attn_mask_to_KV_maxILi64EEvPK7__half2Piiii.has_indirect_call, 0
	.section	.AMDGPU.csdata,"",@progbits
; Kernel info:
; codeLenInByte = 9456
; TotalNumSgprs: 106
; NumVgprs: 15
; NumAgprs: 0
; TotalNumVgprs: 15
; ScratchSize: 0
; MemoryBound: 0
; FloatMode: 240
; IeeeMode: 1
; LDSByteSize: 128 bytes/workgroup (compile time only)
; SGPRBlocks: 13
; VGPRBlocks: 1
; NumSGPRsForWavesPerEU: 106
; NumVGPRsForWavesPerEU: 15
; AccumOffset: 16
; Occupancy: 7
; WaveLimiterHint : 0
; COMPUTE_PGM_RSRC2:SCRATCH_EN: 0
; COMPUTE_PGM_RSRC2:USER_SGPR: 2
; COMPUTE_PGM_RSRC2:TRAP_HANDLER: 0
; COMPUTE_PGM_RSRC2:TGID_X_EN: 1
; COMPUTE_PGM_RSRC2:TGID_Y_EN: 1
; COMPUTE_PGM_RSRC2:TGID_Z_EN: 0
; COMPUTE_PGM_RSRC2:TIDIG_COMP_CNT: 0
; COMPUTE_PGM_RSRC3_GFX90A:ACCUM_OFFSET: 3
; COMPUTE_PGM_RSRC3_GFX90A:TG_SPLIT: 0
	.section	.text._ZL33flash_attn_stream_k_fixup_uniformILi64ELi64ELi1EEvPfPK15HIP_vector_typeIfLj2EEiiiiiiS1_IjLj3EES5_S5_,"axG",@progbits,_ZL33flash_attn_stream_k_fixup_uniformILi64ELi64ELi1EEvPfPK15HIP_vector_typeIfLj2EEiiiiiiS1_IjLj3EES5_S5_,comdat
	.globl	_ZL33flash_attn_stream_k_fixup_uniformILi64ELi64ELi1EEvPfPK15HIP_vector_typeIfLj2EEiiiiiiS1_IjLj3EES5_S5_ ; -- Begin function _ZL33flash_attn_stream_k_fixup_uniformILi64ELi64ELi1EEvPfPK15HIP_vector_typeIfLj2EEiiiiiiS1_IjLj3EES5_S5_
	.p2align	8
	.type	_ZL33flash_attn_stream_k_fixup_uniformILi64ELi64ELi1EEvPfPK15HIP_vector_typeIfLj2EEiiiiiiS1_IjLj3EES5_S5_,@function
_ZL33flash_attn_stream_k_fixup_uniformILi64ELi64ELi1EEvPfPK15HIP_vector_typeIfLj2EEiiiiiiS1_IjLj3EES5_S5_: ; @_ZL33flash_attn_stream_k_fixup_uniformILi64ELi64ELi1EEvPfPK15HIP_vector_typeIfLj2EEiiiiiiS1_IjLj3EES5_S5_
; %bb.0:
	s_load_dwordx8 s[8:15], s[0:1], 0x1c
	s_load_dwordx2 s[6:7], s[0:1], 0x10
	s_load_dwordx4 s[20:23], s[0:1], 0x3c
	s_waitcnt lgkmcnt(0)
	s_mul_hi_u32 s5, s11, s2
	s_add_i32 s5, s2, s5
	s_lshr_b32 s5, s5, s12
	s_mul_i32 s11, s5, s13
	s_sub_i32 s11, s2, s11
	s_mul_hi_u32 s12, s11, s14
	s_add_i32 s12, s11, s12
	s_lshr_b32 s16, s12, s15
	s_mul_i32 s12, s16, s20
	s_sub_i32 s12, s11, s12
	;; [unrolled: 5-line block ×3, first 2 shown]
	s_lshl_b32 s12, s17, 6
	s_add_i32 s12, s12, s3
	s_cmp_lt_i32 s12, s6
	s_cselect_b64 s[12:13], -1, 0
	s_add_i32 s14, s11, s4
	s_cmp_lt_i32 s14, s9
	s_cselect_b64 s[14:15], -1, 0
	s_and_b64 s[12:13], s[12:13], s[14:15]
	s_andn2_b64 vcc, exec, s[12:13]
	s_cbranch_vccnz .LBB6_6
; %bb.1:
	s_load_dwordx4 s[12:15], s[0:1], 0x0
	s_mul_i32 s0, s5, s6
	s_add_i32 s0, s0, s3
	s_mul_i32 s0, s0, s7
	s_mul_i32 s16, s16, s9
	s_add_i32 s0, s0, s4
	s_add_i32 s0, s0, s16
	s_mul_i32 s1, s7, s17
	s_add_i32 s0, s0, s11
	s_lshl_b32 s1, s1, 12
	s_lshl_b32 s0, s0, 6
	s_add_i32 s1, s1, s0
	v_or_b32_e32 v4, s1, v0
	s_waitcnt lgkmcnt(0)
	v_mov_b32_e32 v2, s12
	v_mov_b32_e32 v3, s13
	v_ashrrev_i32_e32 v5, 31, v4
	v_lshl_add_u64 v[2:3], v[4:5], 2, v[2:3]
	global_load_dword v5, v[2:3], off
	s_mul_i32 s6, s10, s2
	s_add_i32 s7, s6, s10
	s_add_i32 s3, s3, s4
	s_lshl_b32 s0, s7, 6
	s_add_i32 s0, s3, s0
	s_sub_i32 s0, s0, 64
	s_ashr_i32 s1, s0, 31
	s_lshl_b64 s[0:1], s[0:1], 3
	s_add_u32 s0, s14, s0
	s_addc_u32 s1, s15, s1
	s_load_dword s9, s[0:1], 0x4
	s_add_i32 s4, s7, -2
	s_cmp_lt_i32 s4, s6
	s_cbranch_scc1 .LBB6_4
; %bb.2:
	s_lshl_b32 s4, s8, 8
	s_ashr_i32 s5, s4, 31
	s_lshl_b64 s[4:5], s[4:5], 2
	s_add_u32 s4, s14, s4
	s_addc_u32 s5, s15, s5
	s_add_i32 s2, s2, 1
	s_mul_i32 s2, s10, s2
	s_load_dword s0, s[0:1], 0x0
	s_lshl_b32 s1, s3, 6
	s_lshl_b32 s10, s2, 12
	s_add_i32 s1, s1, s10
	v_or_b32_e32 v0, s1, v0
	s_lshl_b32 s1, s2, 6
	s_add_i32 s1, s3, s1
	s_lshl_b32 s2, s8, 6
	s_add_i32 s1, s1, s2
	s_add_i32 s7, s7, -1
	v_add_u32_e32 v0, 0xffffe000, v0
	s_add_i32 s2, s1, 0xffffff80
	s_waitcnt lgkmcnt(0)
	v_mov_b32_e32 v7, s0
	v_mov_b32_e32 v4, s9
	s_mov_b32 s8, 0x3fb8aa3b
	s_mov_b32 s9, 0xc2ce8ed0
	;; [unrolled: 1-line block ×3, first 2 shown]
	v_mov_b32_e32 v6, 0x7f800000
	s_mov_b32 s11, 0xc1a00000
.LBB6_3:                                ; =>This Inner Loop Header: Depth=1
	v_ashrrev_i32_e32 v1, 31, v0
	v_lshl_add_u64 v[8:9], v[0:1], 2, s[4:5]
	global_load_dword v9, v[8:9], off
	s_ashr_i32 s3, s2, 31
	s_lshl_b64 s[0:1], s[2:3], 3
	s_add_u32 s0, s14, s0
	s_addc_u32 s1, s15, s1
	s_load_dwordx2 s[0:1], s[0:1], 0x0
	v_max_f32_e32 v1, v7, v7
	s_add_i32 s7, s7, -1
	s_sub_i32 s2, s2, 64
	v_add_u32_e32 v0, 0xfffff000, v0
	s_waitcnt lgkmcnt(0)
	v_max_f32_e64 v10, s0, s0
	v_max_f32_e32 v1, v1, v10
	v_sub_f32_e32 v11, s0, v1
	v_sub_f32_e32 v10, v7, v1
	v_mul_f32_e32 v12, 0x3fb8aa3b, v11
	v_mov_b32_e32 v7, v1
	v_mul_f32_e32 v1, 0x3fb8aa3b, v10
	v_fma_f32 v15, v11, s8, -v12
	v_rndne_f32_e32 v16, v12
	v_fma_f32 v13, v10, s8, -v1
	v_rndne_f32_e32 v14, v1
	v_fmac_f32_e32 v15, 0x32a5705f, v11
	v_sub_f32_e32 v12, v12, v16
	v_fmac_f32_e32 v13, 0x32a5705f, v10
	v_sub_f32_e32 v1, v1, v14
	v_add_f32_e32 v12, v12, v15
	v_cvt_i32_f32_e32 v16, v16
	v_add_f32_e32 v1, v1, v13
	v_exp_f32_e32 v12, v12
	v_cvt_i32_f32_e32 v14, v14
	v_exp_f32_e32 v1, v1
	v_cmp_ngt_f32_e32 vcc, s9, v11
	v_ldexp_f32 v12, v12, v16
	v_mov_b32_e32 v8, s1
	v_ldexp_f32 v1, v1, v14
	v_cmp_ngt_f32_e64 s[0:1], s9, v10
	v_cndmask_b32_e32 v12, 0, v12, vcc
	v_cmp_nlt_f32_e32 vcc, s10, v11
	v_cndmask_b32_e64 v1, 0, v1, s[0:1]
	v_cmp_nlt_f32_e64 s[0:1], s10, v10
	v_cndmask_b32_e32 v12, v6, v12, vcc
	v_cmp_le_f32_e32 vcc, s11, v11
	v_cndmask_b32_e64 v1, v6, v1, s[0:1]
	v_cmp_le_f32_e64 s[0:1], s11, v10
	v_cndmask_b32_e32 v12, 0, v12, vcc
	s_cmp_le_i32 s7, s6
	v_cndmask_b32_e64 v10, 0, v1, s[0:1]
	s_waitcnt vmcnt(0)
	v_pk_mul_f32 v[8:9], v[8:9], v[12:13] op_sel_hi:[1,0]
	s_nop 0
	v_pk_fma_f32 v[4:5], v[4:5], v[10:11], v[8:9] op_sel_hi:[1,0,1]
	s_cbranch_scc0 .LBB6_3
	s_branch .LBB6_5
.LBB6_4:
	s_waitcnt lgkmcnt(0)
	v_mov_b32_e32 v4, s9
.LBB6_5:
	s_waitcnt vmcnt(0)
	v_div_scale_f32 v0, s[0:1], v4, v4, v5
	v_rcp_f32_e32 v1, v0
	v_div_scale_f32 v6, vcc, v5, v4, v5
	v_fma_f32 v7, -v0, v1, 1.0
	v_fmac_f32_e32 v1, v7, v1
	v_mul_f32_e32 v7, v6, v1
	v_fma_f32 v8, -v0, v7, v6
	v_fmac_f32_e32 v7, v8, v1
	v_fma_f32 v0, -v0, v7, v6
	v_div_fmas_f32 v0, v0, v1, v7
	v_div_fixup_f32 v0, v0, v4, v5
	global_store_dword v[2:3], v0, off
.LBB6_6:
	s_endpgm
	.section	.rodata,"a",@progbits
	.p2align	6, 0x0
	.amdhsa_kernel _ZL33flash_attn_stream_k_fixup_uniformILi64ELi64ELi1EEvPfPK15HIP_vector_typeIfLj2EEiiiiiiS1_IjLj3EES5_S5_
		.amdhsa_group_segment_fixed_size 0
		.amdhsa_private_segment_fixed_size 0
		.amdhsa_kernarg_size 76
		.amdhsa_user_sgpr_count 2
		.amdhsa_user_sgpr_dispatch_ptr 0
		.amdhsa_user_sgpr_queue_ptr 0
		.amdhsa_user_sgpr_kernarg_segment_ptr 1
		.amdhsa_user_sgpr_dispatch_id 0
		.amdhsa_user_sgpr_kernarg_preload_length 0
		.amdhsa_user_sgpr_kernarg_preload_offset 0
		.amdhsa_user_sgpr_private_segment_size 0
		.amdhsa_uses_dynamic_stack 0
		.amdhsa_enable_private_segment 0
		.amdhsa_system_sgpr_workgroup_id_x 1
		.amdhsa_system_sgpr_workgroup_id_y 1
		.amdhsa_system_sgpr_workgroup_id_z 1
		.amdhsa_system_sgpr_workgroup_info 0
		.amdhsa_system_vgpr_workitem_id 0
		.amdhsa_next_free_vgpr 17
		.amdhsa_next_free_sgpr 24
		.amdhsa_accum_offset 20
		.amdhsa_reserve_vcc 1
		.amdhsa_float_round_mode_32 0
		.amdhsa_float_round_mode_16_64 0
		.amdhsa_float_denorm_mode_32 3
		.amdhsa_float_denorm_mode_16_64 3
		.amdhsa_dx10_clamp 1
		.amdhsa_ieee_mode 1
		.amdhsa_fp16_overflow 0
		.amdhsa_tg_split 0
		.amdhsa_exception_fp_ieee_invalid_op 0
		.amdhsa_exception_fp_denorm_src 0
		.amdhsa_exception_fp_ieee_div_zero 0
		.amdhsa_exception_fp_ieee_overflow 0
		.amdhsa_exception_fp_ieee_underflow 0
		.amdhsa_exception_fp_ieee_inexact 0
		.amdhsa_exception_int_div_zero 0
	.end_amdhsa_kernel
	.section	.text._ZL33flash_attn_stream_k_fixup_uniformILi64ELi64ELi1EEvPfPK15HIP_vector_typeIfLj2EEiiiiiiS1_IjLj3EES5_S5_,"axG",@progbits,_ZL33flash_attn_stream_k_fixup_uniformILi64ELi64ELi1EEvPfPK15HIP_vector_typeIfLj2EEiiiiiiS1_IjLj3EES5_S5_,comdat
.Lfunc_end6:
	.size	_ZL33flash_attn_stream_k_fixup_uniformILi64ELi64ELi1EEvPfPK15HIP_vector_typeIfLj2EEiiiiiiS1_IjLj3EES5_S5_, .Lfunc_end6-_ZL33flash_attn_stream_k_fixup_uniformILi64ELi64ELi1EEvPfPK15HIP_vector_typeIfLj2EEiiiiiiS1_IjLj3EES5_S5_
                                        ; -- End function
	.set _ZL33flash_attn_stream_k_fixup_uniformILi64ELi64ELi1EEvPfPK15HIP_vector_typeIfLj2EEiiiiiiS1_IjLj3EES5_S5_.num_vgpr, 17
	.set _ZL33flash_attn_stream_k_fixup_uniformILi64ELi64ELi1EEvPfPK15HIP_vector_typeIfLj2EEiiiiiiS1_IjLj3EES5_S5_.num_agpr, 0
	.set _ZL33flash_attn_stream_k_fixup_uniformILi64ELi64ELi1EEvPfPK15HIP_vector_typeIfLj2EEiiiiiiS1_IjLj3EES5_S5_.numbered_sgpr, 24
	.set _ZL33flash_attn_stream_k_fixup_uniformILi64ELi64ELi1EEvPfPK15HIP_vector_typeIfLj2EEiiiiiiS1_IjLj3EES5_S5_.num_named_barrier, 0
	.set _ZL33flash_attn_stream_k_fixup_uniformILi64ELi64ELi1EEvPfPK15HIP_vector_typeIfLj2EEiiiiiiS1_IjLj3EES5_S5_.private_seg_size, 0
	.set _ZL33flash_attn_stream_k_fixup_uniformILi64ELi64ELi1EEvPfPK15HIP_vector_typeIfLj2EEiiiiiiS1_IjLj3EES5_S5_.uses_vcc, 1
	.set _ZL33flash_attn_stream_k_fixup_uniformILi64ELi64ELi1EEvPfPK15HIP_vector_typeIfLj2EEiiiiiiS1_IjLj3EES5_S5_.uses_flat_scratch, 0
	.set _ZL33flash_attn_stream_k_fixup_uniformILi64ELi64ELi1EEvPfPK15HIP_vector_typeIfLj2EEiiiiiiS1_IjLj3EES5_S5_.has_dyn_sized_stack, 0
	.set _ZL33flash_attn_stream_k_fixup_uniformILi64ELi64ELi1EEvPfPK15HIP_vector_typeIfLj2EEiiiiiiS1_IjLj3EES5_S5_.has_recursion, 0
	.set _ZL33flash_attn_stream_k_fixup_uniformILi64ELi64ELi1EEvPfPK15HIP_vector_typeIfLj2EEiiiiiiS1_IjLj3EES5_S5_.has_indirect_call, 0
	.section	.AMDGPU.csdata,"",@progbits
; Kernel info:
; codeLenInByte = 820
; TotalNumSgprs: 30
; NumVgprs: 17
; NumAgprs: 0
; TotalNumVgprs: 17
; ScratchSize: 0
; MemoryBound: 0
; FloatMode: 240
; IeeeMode: 1
; LDSByteSize: 0 bytes/workgroup (compile time only)
; SGPRBlocks: 3
; VGPRBlocks: 2
; NumSGPRsForWavesPerEU: 30
; NumVGPRsForWavesPerEU: 17
; AccumOffset: 20
; Occupancy: 8
; WaveLimiterHint : 0
; COMPUTE_PGM_RSRC2:SCRATCH_EN: 0
; COMPUTE_PGM_RSRC2:USER_SGPR: 2
; COMPUTE_PGM_RSRC2:TRAP_HANDLER: 0
; COMPUTE_PGM_RSRC2:TGID_X_EN: 1
; COMPUTE_PGM_RSRC2:TGID_Y_EN: 1
; COMPUTE_PGM_RSRC2:TGID_Z_EN: 1
; COMPUTE_PGM_RSRC2:TIDIG_COMP_CNT: 0
; COMPUTE_PGM_RSRC3_GFX90A:ACCUM_OFFSET: 4
; COMPUTE_PGM_RSRC3_GFX90A:TG_SPLIT: 0
	.section	.text._ZL33flash_attn_stream_k_fixup_generalILi64ELi64ELi1EEvPfPK15HIP_vector_typeIfLj2EEiiiiS1_IjLj3EES5_S5_S5_,"axG",@progbits,_ZL33flash_attn_stream_k_fixup_generalILi64ELi64ELi1EEvPfPK15HIP_vector_typeIfLj2EEiiiiS1_IjLj3EES5_S5_S5_,comdat
	.globl	_ZL33flash_attn_stream_k_fixup_generalILi64ELi64ELi1EEvPfPK15HIP_vector_typeIfLj2EEiiiiS1_IjLj3EES5_S5_S5_ ; -- Begin function _ZL33flash_attn_stream_k_fixup_generalILi64ELi64ELi1EEvPfPK15HIP_vector_typeIfLj2EEiiiiS1_IjLj3EES5_S5_S5_
	.p2align	8
	.type	_ZL33flash_attn_stream_k_fixup_generalILi64ELi64ELi1EEvPfPK15HIP_vector_typeIfLj2EEiiiiS1_IjLj3EES5_S5_S5_,@function
_ZL33flash_attn_stream_k_fixup_generalILi64ELi64ELi1EEvPfPK15HIP_vector_typeIfLj2EEiiiiS1_IjLj3EES5_S5_S5_: ; @_ZL33flash_attn_stream_k_fixup_generalILi64ELi64ELi1EEvPfPK15HIP_vector_typeIfLj2EEiiiiS1_IjLj3EES5_S5_S5_
; %bb.0:
	s_load_dwordx4 s[8:11], s[0:1], 0x10
	s_load_dword s22, s[0:1], 0x50
	s_mov_b32 s12, 0
	s_waitcnt lgkmcnt(0)
	s_mul_hi_i32 s13, s11, s2
	s_cmp_lg_u64 s[12:13], 0
	s_mul_i32 s5, s11, s2
	s_cbranch_scc0 .LBB7_20
; %bb.1:
	s_add_u32 s6, s22, 0
	s_addc_u32 s7, 0, 0
	s_xor_b64 s[6:7], s[6:7], 0
	v_cvt_f32_u32_e32 v1, s6
	v_cvt_f32_u32_e32 v2, s7
	s_sub_u32 s12, 0, s6
	s_subb_u32 s18, 0, s7
	v_fmamk_f32 v1, v2, 0x4f800000, v1
	v_rcp_f32_e32 v1, v1
	s_nop 0
	v_mul_f32_e32 v1, 0x5f7ffffc, v1
	v_mul_f32_e32 v2, 0x2f800000, v1
	v_trunc_f32_e32 v2, v2
	v_fmamk_f32 v1, v2, 0xcf800000, v1
	v_cvt_u32_f32_e32 v2, v2
	v_cvt_u32_f32_e32 v1, v1
	v_readfirstlane_b32 s19, v2
	v_readfirstlane_b32 s14, v1
	s_mul_i32 s15, s12, s19
	s_mul_hi_u32 s21, s12, s14
	s_mul_i32 s20, s18, s14
	s_add_i32 s15, s21, s15
	s_add_i32 s15, s15, s20
	s_mul_i32 s23, s12, s14
	s_mul_i32 s21, s14, s15
	s_mul_hi_u32 s24, s14, s23
	s_mul_hi_u32 s20, s14, s15
	s_add_u32 s21, s24, s21
	s_addc_u32 s20, 0, s20
	s_mul_hi_u32 s25, s19, s23
	s_mul_i32 s23, s19, s23
	s_add_u32 s21, s21, s23
	s_mul_hi_u32 s24, s19, s15
	s_addc_u32 s20, s20, s25
	s_addc_u32 s21, s24, 0
	s_mul_i32 s15, s19, s15
	s_add_u32 s15, s20, s15
	s_addc_u32 s20, 0, s21
	s_add_u32 s21, s14, s15
	s_cselect_b64 s[14:15], -1, 0
	s_cmp_lg_u64 s[14:15], 0
	s_addc_u32 s19, s19, s20
	s_mul_i32 s14, s12, s19
	s_mul_hi_u32 s15, s12, s21
	s_add_i32 s14, s15, s14
	s_mul_i32 s18, s18, s21
	s_add_i32 s14, s14, s18
	s_mul_i32 s12, s12, s21
	s_mul_hi_u32 s18, s19, s12
	s_mul_i32 s20, s19, s12
	s_mul_i32 s24, s21, s14
	s_mul_hi_u32 s12, s21, s12
	s_mul_hi_u32 s23, s21, s14
	s_add_u32 s12, s12, s24
	s_addc_u32 s23, 0, s23
	s_add_u32 s12, s12, s20
	s_mul_hi_u32 s15, s19, s14
	s_addc_u32 s12, s23, s18
	s_addc_u32 s15, s15, 0
	s_mul_i32 s14, s19, s14
	s_add_u32 s12, s12, s14
	s_addc_u32 s18, 0, s15
	s_add_u32 s20, s21, s12
	s_cselect_b64 s[14:15], -1, 0
	s_cmp_lg_u64 s[14:15], 0
	s_addc_u32 s18, s19, s18
	s_ashr_i32 s14, s13, 31
	s_add_u32 s12, s5, s14
	s_mov_b32 s15, s14
	s_addc_u32 s13, s13, s14
	s_xor_b64 s[12:13], s[12:13], s[14:15]
	s_mul_i32 s21, s12, s18
	s_mul_hi_u32 s23, s12, s20
	s_mul_hi_u32 s19, s12, s18
	s_add_u32 s21, s23, s21
	s_addc_u32 s19, 0, s19
	s_mul_hi_u32 s24, s13, s20
	s_mul_i32 s20, s13, s20
	s_add_u32 s20, s21, s20
	s_mul_hi_u32 s23, s13, s18
	s_addc_u32 s19, s19, s24
	s_addc_u32 s20, s23, 0
	s_mul_i32 s18, s13, s18
	s_add_u32 s23, s19, s18
	s_addc_u32 s24, 0, s20
	s_mul_i32 s18, s6, s24
	s_mul_hi_u32 s19, s6, s23
	s_add_i32 s18, s19, s18
	s_mul_i32 s19, s7, s23
	s_add_i32 s25, s18, s19
	s_sub_i32 s20, s13, s25
	s_mul_i32 s18, s6, s23
	s_sub_u32 s12, s12, s18
	s_cselect_b64 s[18:19], -1, 0
	s_cmp_lg_u64 s[18:19], 0
	s_subb_u32 s26, s20, s7
	s_sub_u32 s27, s12, s6
	s_cselect_b64 s[20:21], -1, 0
	s_cmp_lg_u64 s[20:21], 0
	s_subb_u32 s20, s26, 0
	s_cmp_ge_u32 s20, s7
	s_cselect_b32 s21, -1, 0
	s_cmp_ge_u32 s27, s6
	s_cselect_b32 s26, -1, 0
	s_cmp_eq_u32 s20, s7
	s_cselect_b32 s20, s26, s21
	s_add_u32 s21, s23, 1
	s_addc_u32 s26, s24, 0
	s_add_u32 s27, s23, 2
	s_addc_u32 s28, s24, 0
	s_cmp_lg_u32 s20, 0
	s_cselect_b32 s20, s27, s21
	s_cselect_b32 s21, s28, s26
	s_cmp_lg_u64 s[18:19], 0
	s_subb_u32 s13, s13, s25
	s_cmp_ge_u32 s13, s7
	s_cselect_b32 s18, -1, 0
	s_cmp_ge_u32 s12, s6
	s_cselect_b32 s6, -1, 0
	s_cmp_eq_u32 s13, s7
	s_cselect_b32 s6, s6, s18
	s_cmp_lg_u32 s6, 0
	s_cselect_b32 s7, s21, s24
	s_cselect_b32 s6, s20, s23
	s_xor_b64 s[12:13], s[14:15], 0
	s_xor_b64 s[6:7], s[6:7], s[12:13]
	s_sub_u32 s6, s6, s12
	s_load_dwordx4 s[12:15], s[0:1], 0x44
	s_cbranch_execnz .LBB7_3
.LBB7_2:
	v_cvt_f32_u32_e32 v1, s22
	s_sub_i32 s6, 0, s22
	v_rcp_iflag_f32_e32 v1, v1
	s_nop 0
	v_mul_f32_e32 v1, 0x4f7ffffe, v1
	v_cvt_u32_f32_e32 v1, v1
	s_nop 0
	v_readfirstlane_b32 s7, v1
	s_mul_i32 s6, s6, s7
	s_mul_hi_u32 s6, s7, s6
	s_add_i32 s7, s7, s6
	s_mul_hi_u32 s6, s5, s7
	s_waitcnt lgkmcnt(0)
	s_mul_i32 s15, s6, s22
	s_sub_i32 s5, s5, s15
	s_add_i32 s7, s6, 1
	s_sub_i32 s15, s5, s22
	s_cmp_ge_u32 s5, s22
	s_cselect_b32 s6, s7, s6
	s_cselect_b32 s5, s15, s5
	s_add_i32 s7, s6, 1
	s_cmp_ge_u32 s5, s22
	s_cselect_b32 s6, s7, s6
.LBB7_3:
	s_add_i32 s5, s2, 1
	s_mul_hi_i32 s21, s11, s5
	s_mov_b32 s20, 0
	s_cmp_lg_u64 s[20:21], 0
	s_mul_i32 s5, s11, s5
	s_cbranch_scc0 .LBB7_21
; %bb.4:
	s_add_u32 s16, s22, 0
	s_addc_u32 s17, 0, 0
	s_xor_b64 s[18:19], s[16:17], 0
	v_cvt_f32_u32_e32 v1, s18
	v_cvt_f32_u32_e32 v2, s19
	s_sub_u32 s7, 0, s18
	s_waitcnt lgkmcnt(0)
	s_subb_u32 s15, 0, s19
	v_fmamk_f32 v1, v2, 0x4f800000, v1
	v_rcp_f32_e32 v1, v1
	s_nop 0
	v_mul_f32_e32 v1, 0x5f7ffffc, v1
	v_mul_f32_e32 v2, 0x2f800000, v1
	v_trunc_f32_e32 v2, v2
	v_fmamk_f32 v1, v2, 0xcf800000, v1
	v_cvt_u32_f32_e32 v2, v2
	v_cvt_u32_f32_e32 v1, v1
	v_readfirstlane_b32 s20, v2
	v_readfirstlane_b32 s23, v1
	s_mul_i32 s24, s7, s20
	s_mul_hi_u32 s26, s7, s23
	s_mul_i32 s25, s15, s23
	s_add_i32 s24, s26, s24
	s_add_i32 s24, s24, s25
	s_mul_i32 s27, s7, s23
	s_mul_i32 s26, s23, s24
	s_mul_hi_u32 s28, s23, s27
	s_mul_hi_u32 s25, s23, s24
	s_add_u32 s26, s28, s26
	s_addc_u32 s25, 0, s25
	s_mul_hi_u32 s29, s20, s27
	s_mul_i32 s27, s20, s27
	s_add_u32 s26, s26, s27
	s_mul_hi_u32 s28, s20, s24
	s_addc_u32 s25, s25, s29
	s_addc_u32 s26, s28, 0
	s_mul_i32 s24, s20, s24
	s_add_u32 s24, s25, s24
	s_addc_u32 s26, 0, s26
	s_add_u32 s23, s23, s24
	s_cselect_b64 s[24:25], -1, 0
	s_cmp_lg_u64 s[24:25], 0
	s_addc_u32 s20, s20, s26
	s_mul_i32 s24, s7, s20
	s_mul_hi_u32 s25, s7, s23
	s_add_i32 s24, s25, s24
	s_mul_i32 s15, s15, s23
	s_add_i32 s24, s24, s15
	s_mul_i32 s7, s7, s23
	s_mul_hi_u32 s25, s20, s7
	s_mul_i32 s26, s20, s7
	s_mul_i32 s28, s23, s24
	s_mul_hi_u32 s7, s23, s7
	s_mul_hi_u32 s27, s23, s24
	s_add_u32 s7, s7, s28
	s_addc_u32 s27, 0, s27
	s_add_u32 s7, s7, s26
	s_mul_hi_u32 s15, s20, s24
	s_addc_u32 s7, s27, s25
	s_addc_u32 s15, s15, 0
	s_mul_i32 s24, s20, s24
	s_add_u32 s7, s7, s24
	s_addc_u32 s15, 0, s15
	s_add_u32 s7, s23, s7
	s_cselect_b64 s[24:25], -1, 0
	s_cmp_lg_u64 s[24:25], 0
	s_addc_u32 s15, s20, s15
	s_ashr_i32 s24, s21, 31
	s_add_u32 s20, s5, s24
	s_mov_b32 s25, s24
	s_addc_u32 s21, s21, s24
	s_xor_b64 s[20:21], s[20:21], s[24:25]
	s_mul_i32 s26, s20, s15
	s_mul_hi_u32 s27, s20, s7
	s_mul_hi_u32 s23, s20, s15
	s_add_u32 s26, s27, s26
	s_addc_u32 s23, 0, s23
	s_mul_hi_u32 s28, s21, s7
	s_mul_i32 s7, s21, s7
	s_add_u32 s7, s26, s7
	s_mul_hi_u32 s27, s21, s15
	s_addc_u32 s7, s23, s28
	s_addc_u32 s23, s27, 0
	s_mul_i32 s15, s21, s15
	s_add_u32 s7, s7, s15
	s_addc_u32 s15, 0, s23
	s_mul_i32 s23, s18, s15
	s_mul_hi_u32 s26, s18, s7
	s_add_i32 s23, s26, s23
	s_mul_i32 s26, s19, s7
	s_add_i32 s23, s23, s26
	s_sub_i32 s28, s21, s23
	s_mul_i32 s26, s18, s7
	s_sub_u32 s20, s20, s26
	s_cselect_b64 s[26:27], -1, 0
	s_cmp_lg_u64 s[26:27], 0
	s_subb_u32 s30, s28, s19
	s_sub_u32 s31, s20, s18
	s_cselect_b64 s[28:29], -1, 0
	s_cmp_lg_u64 s[28:29], 0
	s_subb_u32 s28, s30, 0
	s_cmp_ge_u32 s28, s19
	s_cselect_b32 s29, -1, 0
	s_cmp_ge_u32 s31, s18
	s_cselect_b32 s30, -1, 0
	s_cmp_eq_u32 s28, s19
	s_cselect_b32 s28, s30, s29
	s_add_u32 s29, s7, 1
	s_addc_u32 s30, s15, 0
	s_add_u32 s31, s7, 2
	s_addc_u32 s33, s15, 0
	s_cmp_lg_u32 s28, 0
	s_cselect_b32 s28, s31, s29
	s_cselect_b32 s29, s33, s30
	s_cmp_lg_u64 s[26:27], 0
	s_subb_u32 s21, s21, s23
	s_cmp_ge_u32 s21, s19
	s_cselect_b32 s23, -1, 0
	s_cmp_ge_u32 s20, s18
	s_cselect_b32 s18, -1, 0
	s_cmp_eq_u32 s21, s19
	s_cselect_b32 s18, s18, s23
	s_cmp_lg_u32 s18, 0
	s_cselect_b32 s19, s29, s15
	s_cselect_b32 s18, s28, s7
	s_xor_b64 s[20:21], s[24:25], 0
	s_xor_b64 s[18:19], s[18:19], s[20:21]
	s_sub_u32 s18, s18, s20
	s_cbranch_execnz .LBB7_6
.LBB7_5:
	v_cvt_f32_u32_e32 v1, s22
	s_sub_i32 s7, 0, s22
	v_rcp_iflag_f32_e32 v1, v1
	s_nop 0
	v_mul_f32_e32 v1, 0x4f7ffffe, v1
	v_cvt_u32_f32_e32 v1, v1
	s_waitcnt lgkmcnt(0)
	v_readfirstlane_b32 s15, v1
	s_mul_i32 s7, s7, s15
	s_mul_hi_u32 s7, s15, s7
	s_add_i32 s15, s15, s7
	s_mul_hi_u32 s7, s5, s15
	s_mul_i32 s16, s7, s22
	s_sub_i32 s5, s5, s16
	s_add_i32 s15, s7, 1
	s_sub_i32 s16, s5, s22
	s_cmp_ge_u32 s5, s22
	s_cselect_b32 s7, s15, s7
	s_cselect_b32 s5, s16, s5
	s_add_i32 s15, s7, 1
	s_cmp_ge_u32 s5, s22
	s_cselect_b32 s18, s15, s7
.LBB7_6:
	s_cmp_eq_u32 s6, s18
	s_waitcnt lgkmcnt(0)
	s_mul_hi_u32 s5, s6, s12
	s_cselect_b64 s[16:17], -1, 0
	s_add_i32 s5, s5, s6
	s_lshr_b32 s7, s5, s13
	s_mul_i32 s5, s7, s14
	s_cmp_eq_u32 s5, s6
	s_mul_hi_u32 s5, s18, s12
	s_cselect_b64 s[20:21], -1, 0
	s_add_i32 s5, s5, s18
	s_lshr_b32 s5, s5, s13
	s_cmp_eq_u32 s7, s5
	s_mul_i32 s5, s5, s14
	s_cselect_b64 s[24:25], -1, 0
	s_cmp_lg_u32 s5, s18
	s_cselect_b64 s[18:19], -1, 0
	s_and_b64 s[18:19], s[24:25], s[18:19]
	s_or_b64 s[16:17], s[16:17], s[20:21]
	s_or_b64 s[16:17], s[16:17], s[18:19]
	s_and_b64 vcc, exec, s[16:17]
	s_cbranch_vccnz .LBB7_23
; %bb.7:
	s_load_dwordx8 s[24:31], s[0:1], 0x20
	s_load_dword s15, s[0:1], 0x40
	s_waitcnt lgkmcnt(0)
	s_mul_hi_u32 s5, s6, s24
	s_add_i32 s5, s5, s6
	s_lshr_b32 s5, s5, s25
	s_mul_i32 s16, s5, s26
	s_sub_i32 s16, s6, s16
	s_mul_hi_u32 s17, s16, s27
	s_add_i32 s17, s16, s17
	s_lshr_b32 s21, s17, s28
	s_mul_i32 s17, s21, s29
	s_sub_i32 s16, s16, s17
	;; [unrolled: 5-line block ×3, first 2 shown]
	s_mul_hi_u32 s16, s15, s12
	s_add_i32 s15, s15, s16
	s_lshr_b32 s23, s15, s13
	s_lshl_b32 s15, s23, 6
	s_add_i32 s15, s15, s3
	s_cmp_lt_i32 s15, s8
	s_cselect_b64 s[16:17], -1, 0
	s_add_i32 s15, s20, s4
	s_cmp_lt_i32 s15, s10
	s_cselect_b64 s[18:19], -1, 0
	s_and_b64 s[16:17], s[16:17], s[18:19]
	s_andn2_b64 vcc, exec, s[16:17]
	s_cbranch_vccnz .LBB7_23
; %bb.8:
	s_load_dwordx4 s[16:19], s[0:1], 0x0
	s_mov_b32 s0, 0
	s_lshl_b32 s24, s22, 8
	s_mov_b32 s25, s0
	s_add_i32 s15, s3, s4
	s_waitcnt lgkmcnt(0)
	v_mov_b32_e32 v2, s16
	v_mov_b32_e32 v3, s17
	s_lshl_b64 s[16:17], s[24:25], 2
	s_add_u32 s16, s18, s16
	s_mul_i32 s1, s5, s8
	s_addc_u32 s17, s19, s17
	s_add_i32 s1, s1, s3
	s_mul_i32 s1, s1, s9
	s_mul_i32 s21, s21, s10
	s_add_i32 s1, s1, s4
	s_add_i32 s1, s1, s21
	s_mul_i32 s5, s9, s23
	s_add_i32 s1, s1, s20
	s_lshl_b32 s5, s5, 12
	s_lshl_b32 s1, s1, 6
	s_add_i32 s5, s5, s1
	v_or_b32_e32 v4, s5, v0
	v_ashrrev_i32_e32 v5, 31, v4
	v_lshl_add_u64 v[2:3], v[4:5], 2, v[2:3]
	global_load_dword v1, v[2:3], off
	v_cvt_f32_u32_e32 v4, s22
	s_lshl_b32 s1, s2, 6
	s_add_i32 s4, s1, s15
	s_ashr_i32 s5, s4, 31
	s_lshl_b64 s[4:5], s[4:5], 3
	v_rcp_iflag_f32_e32 v4, v4
	s_add_u32 s4, s18, s4
	s_addc_u32 s5, s19, s5
	s_load_dwordx2 s[4:5], s[4:5], 0x0
	v_mul_f32_e32 v4, 0x4f7ffffe, v4
	v_cvt_u32_f32_e32 v7, v4
	s_add_i32 s24, s2, -1
	v_lshl_or_b32 v6, s15, 6, v0
	s_waitcnt lgkmcnt(0)
	v_mov_b32_e32 v0, s5
	v_mov_b32_e32 v9, s4
	s_mov_b32 s10, 0x3fb8aa3b
	s_mov_b32 s20, 0xc2ce8ed0
	;; [unrolled: 1-line block ×4, first 2 shown]
	v_mov_b32_e32 v8, 0x7f800000
	s_mul_hi_i32 s1, s24, s11
	s_cmp_lg_u64 s[0:1], 0
	s_mul_i32 s8, s24, s11
	s_cbranch_scc0 .LBB7_19
.LBB7_9:
	s_add_u32 s2, s22, 0
	s_addc_u32 s3, 0, 0
	s_xor_b64 s[2:3], s[2:3], 0
	v_cvt_f32_u32_e32 v4, s2
	v_cvt_f32_u32_e32 v5, s3
	s_sub_u32 s9, 0, s2
	s_subb_u32 s25, 0, s3
	v_fmac_f32_e32 v4, 0x4f800000, v5
	v_rcp_f32_e32 v4, v4
	s_nop 0
	v_mul_f32_e32 v4, 0x5f7ffffc, v4
	v_mul_f32_e32 v5, 0x2f800000, v4
	v_trunc_f32_e32 v5, v5
	v_fmac_f32_e32 v4, 0xcf800000, v5
	v_cvt_u32_f32_e32 v5, v5
	v_cvt_u32_f32_e32 v4, v4
	v_readfirstlane_b32 s26, v5
	v_readfirstlane_b32 s4, v4
	s_mul_i32 s5, s9, s26
	s_mul_hi_u32 s28, s9, s4
	s_mul_i32 s27, s25, s4
	s_add_i32 s5, s28, s5
	s_mul_i32 s29, s9, s4
	s_add_i32 s5, s5, s27
	s_mul_i32 s28, s4, s5
	s_mul_hi_u32 s30, s4, s29
	s_mul_hi_u32 s27, s4, s5
	s_add_u32 s28, s30, s28
	s_addc_u32 s27, 0, s27
	s_mul_hi_u32 s31, s26, s29
	s_mul_i32 s29, s26, s29
	s_add_u32 s28, s28, s29
	s_mul_hi_u32 s30, s26, s5
	s_addc_u32 s27, s27, s31
	s_addc_u32 s28, s30, 0
	s_mul_i32 s5, s26, s5
	s_add_u32 s5, s27, s5
	s_addc_u32 s27, 0, s28
	s_add_u32 s28, s4, s5
	s_cselect_b64 s[4:5], -1, 0
	s_cmp_lg_u64 s[4:5], 0
	s_addc_u32 s26, s26, s27
	s_mul_i32 s4, s9, s26
	s_mul_hi_u32 s5, s9, s28
	s_add_i32 s4, s5, s4
	s_mul_i32 s25, s25, s28
	s_add_i32 s4, s4, s25
	s_mul_i32 s9, s9, s28
	s_mul_hi_u32 s25, s26, s9
	s_mul_i32 s27, s26, s9
	s_mul_i32 s30, s28, s4
	s_mul_hi_u32 s9, s28, s9
	s_mul_hi_u32 s29, s28, s4
	s_add_u32 s9, s9, s30
	s_addc_u32 s29, 0, s29
	s_add_u32 s9, s9, s27
	s_mul_hi_u32 s5, s26, s4
	s_addc_u32 s9, s29, s25
	s_addc_u32 s5, s5, 0
	s_mul_i32 s4, s26, s4
	s_add_u32 s4, s9, s4
	s_addc_u32 s9, 0, s5
	s_add_u32 s25, s28, s4
	s_cselect_b64 s[4:5], -1, 0
	s_cmp_lg_u64 s[4:5], 0
	s_addc_u32 s9, s26, s9
	s_ashr_i32 s4, s1, 31
	s_add_u32 s26, s8, s4
	s_mov_b32 s5, s4
	s_addc_u32 s27, s1, s4
	s_xor_b64 s[26:27], s[26:27], s[4:5]
	s_mul_i32 s28, s26, s9
	s_mul_hi_u32 s29, s26, s25
	s_mul_hi_u32 s1, s26, s9
	s_add_u32 s28, s29, s28
	s_addc_u32 s1, 0, s1
	s_mul_hi_u32 s30, s27, s25
	s_mul_i32 s25, s27, s25
	s_add_u32 s25, s28, s25
	s_mul_hi_u32 s29, s27, s9
	s_addc_u32 s1, s1, s30
	s_addc_u32 s25, s29, 0
	s_mul_i32 s9, s27, s9
	s_add_u32 s1, s1, s9
	s_addc_u32 s9, 0, s25
	s_mul_i32 s25, s2, s9
	s_mul_hi_u32 s28, s2, s1
	s_add_i32 s25, s28, s25
	s_mul_i32 s28, s3, s1
	s_add_i32 s25, s25, s28
	s_sub_i32 s30, s27, s25
	s_mul_i32 s28, s2, s1
	s_sub_u32 s26, s26, s28
	s_cselect_b64 s[28:29], -1, 0
	s_cmp_lg_u64 s[28:29], 0
	s_subb_u32 s33, s30, s3
	s_sub_u32 s34, s26, s2
	s_cselect_b64 s[30:31], -1, 0
	s_cmp_lg_u64 s[30:31], 0
	s_subb_u32 s30, s33, 0
	s_cmp_ge_u32 s30, s3
	s_cselect_b32 s31, -1, 0
	s_cmp_ge_u32 s34, s2
	s_cselect_b32 s33, -1, 0
	s_cmp_eq_u32 s30, s3
	s_cselect_b32 s30, s33, s31
	s_add_u32 s31, s1, 1
	s_addc_u32 s33, s9, 0
	s_add_u32 s34, s1, 2
	s_addc_u32 s35, s9, 0
	s_cmp_lg_u32 s30, 0
	s_cselect_b32 s30, s34, s31
	s_cselect_b32 s31, s35, s33
	s_cmp_lg_u64 s[28:29], 0
	s_subb_u32 s25, s27, s25
	s_cmp_ge_u32 s25, s3
	s_cselect_b32 s27, -1, 0
	s_cmp_ge_u32 s26, s2
	s_cselect_b32 s2, -1, 0
	s_cmp_eq_u32 s25, s3
	s_cselect_b32 s2, s2, s27
	s_cmp_lg_u32 s2, 0
	s_cselect_b32 s3, s31, s9
	s_cselect_b32 s2, s30, s1
	s_xor_b64 s[4:5], s[4:5], 0
	s_xor_b64 s[2:3], s[2:3], s[4:5]
	s_sub_u32 s4, s2, s4
	s_cbranch_execnz .LBB7_11
.LBB7_10:
	s_sub_i32 s1, 0, s22
	v_readfirstlane_b32 s2, v7
	s_mul_i32 s1, s1, s2
	s_mul_hi_u32 s1, s2, s1
	s_add_i32 s2, s2, s1
	s_mul_hi_u32 s1, s8, s2
	s_mul_i32 s3, s1, s22
	s_sub_i32 s3, s8, s3
	s_add_i32 s2, s1, 1
	s_sub_i32 s4, s3, s22
	s_cmp_ge_u32 s3, s22
	s_cselect_b32 s1, s2, s1
	s_cselect_b32 s3, s4, s3
	s_add_i32 s2, s1, 1
	s_cmp_ge_u32 s3, s22
	s_cselect_b32 s4, s2, s1
.LBB7_11:
	s_cmp_lg_u32 s6, s4
	s_cbranch_scc0 .LBB7_15
; %bb.12:
	s_add_i32 s1, s24, s22
	s_lshl_b32 s1, s1, 6
	s_add_i32 s2, s1, s15
	s_mov_b32 s3, s0
	s_lshl_b64 s[2:3], s[2:3], 3
	s_add_u32 s8, s18, s2
	s_mul_hi_u32 s1, s4, s12
	s_addc_u32 s9, s19, s3
	s_add_i32 s1, s1, s4
	s_lshr_b32 s1, s1, s13
	s_mul_i32 s2, s1, s14
	s_cmp_eq_u32 s2, s4
	s_cselect_b64 s[2:3], -1, 0
	s_cmp_lt_u32 s1, s7
	s_cselect_b64 s[26:27], -1, 0
	s_or_b64 s[26:27], s[26:27], s[2:3]
	s_mov_b64 s[2:3], -1
	s_and_b64 vcc, exec, s[26:27]
	s_mov_b32 s1, s24
	s_mov_b32 s25, s6
	s_cbranch_vccnz .LBB7_14
; %bb.13:
	s_add_i32 s1, s24, -1
	s_mov_b64 s[2:3], 0
	s_mov_b32 s25, s4
.LBB7_14:
	v_lshl_add_u32 v4, s24, 12, v6
	v_ashrrev_i32_e32 v5, 31, v4
	v_lshl_add_u64 v[4:5], v[4:5], 2, s[16:17]
	global_load_dword v5, v[4:5], off
	s_load_dwordx2 s[4:5], s[8:9], 0x0
	v_max_f32_e32 v4, v9, v9
	s_waitcnt lgkmcnt(0)
	v_max_f32_e64 v10, s4, s4
	v_max_f32_e32 v10, v4, v10
	v_sub_f32_e32 v11, v9, v10
	v_sub_f32_e32 v13, s4, v10
	v_mul_f32_e32 v4, 0x3fb8aa3b, v11
	v_mul_f32_e32 v12, 0x3fb8aa3b, v13
	v_fma_f32 v14, v11, s10, -v4
	v_rndne_f32_e32 v15, v4
	v_fma_f32 v16, v13, s10, -v12
	v_rndne_f32_e32 v17, v12
	v_fmac_f32_e32 v14, 0x32a5705f, v11
	v_sub_f32_e32 v4, v4, v15
	v_fmac_f32_e32 v16, 0x32a5705f, v13
	v_sub_f32_e32 v12, v12, v17
	v_add_f32_e32 v4, v4, v14
	v_cvt_i32_f32_e32 v15, v15
	v_add_f32_e32 v12, v12, v16
	v_exp_f32_e32 v14, v4
	v_cvt_i32_f32_e32 v17, v17
	v_exp_f32_e32 v12, v12
	v_cmp_ngt_f32_e32 vcc, s20, v11
	v_ldexp_f32 v14, v14, v15
	v_mov_b32_e32 v4, s5
	v_ldexp_f32 v12, v12, v17
	v_cndmask_b32_e32 v14, 0, v14, vcc
	v_cmp_ngt_f32_e32 vcc, s20, v13
	s_nop 1
	v_cndmask_b32_e32 v12, 0, v12, vcc
	v_cmp_nlt_f32_e32 vcc, s21, v11
	s_nop 1
	v_cndmask_b32_e32 v14, v8, v14, vcc
	v_cmp_nlt_f32_e32 vcc, s21, v13
	s_nop 1
	v_cndmask_b32_e32 v15, v8, v12, vcc
	v_cmp_le_f32_e32 vcc, s23, v11
	s_nop 1
	v_cndmask_b32_e32 v12, 0, v14, vcc
	v_cmp_le_f32_e32 vcc, s23, v13
	s_nop 1
	v_cndmask_b32_e32 v14, 0, v15, vcc
	s_waitcnt vmcnt(0)
	v_pk_mul_f32 v[4:5], v[4:5], v[14:15] op_sel_hi:[1,0]
	s_nop 0
	v_pk_fma_f32 v[4:5], v[0:1], v[12:13], v[4:5] op_sel_hi:[1,0,1]
	s_cbranch_execz .LBB7_16
	s_branch .LBB7_17
.LBB7_15:
                                        ; implicit-def: $vgpr4_vgpr5
                                        ; implicit-def: $sgpr2_sgpr3
                                        ; implicit-def: $vgpr10
                                        ; implicit-def: $sgpr1
                                        ; implicit-def: $sgpr25
.LBB7_16:
	s_add_i32 s1, s24, -1
	s_mov_b64 s[2:3], 0
	s_mov_b32 s25, s6
	v_mov_b32_e32 v10, v9
	s_waitcnt vmcnt(0)
	v_mov_b64_e32 v[4:5], v[0:1]
.LBB7_17:
	s_andn2_b64 vcc, exec, s[2:3]
	s_cbranch_vccz .LBB7_22
; %bb.18:
	s_mov_b32 s6, s25
	s_mov_b32 s24, s1
	v_mov_b32_e32 v9, v10
	s_waitcnt vmcnt(0)
	v_mov_b64_e32 v[0:1], v[4:5]
	s_mul_hi_i32 s1, s24, s11
	s_cmp_lg_u64 s[0:1], 0
	s_mul_i32 s8, s24, s11
	s_cbranch_scc1 .LBB7_9
.LBB7_19:
                                        ; implicit-def: $sgpr4_sgpr5
	s_branch .LBB7_10
.LBB7_20:
                                        ; implicit-def: $sgpr6_sgpr7
	s_load_dwordx4 s[12:15], s[0:1], 0x44
	s_branch .LBB7_2
.LBB7_21:
                                        ; implicit-def: $sgpr18_sgpr19
	s_branch .LBB7_5
.LBB7_22:
	v_div_scale_f32 v0, s[0:1], v4, v4, v5
	s_waitcnt vmcnt(0)
	v_rcp_f32_e32 v1, v0
	v_div_scale_f32 v6, vcc, v5, v4, v5
	v_fma_f32 v7, -v0, v1, 1.0
	v_fmac_f32_e32 v1, v7, v1
	v_mul_f32_e32 v7, v6, v1
	v_fma_f32 v8, -v0, v7, v6
	v_fmac_f32_e32 v7, v8, v1
	v_fma_f32 v0, -v0, v7, v6
	v_div_fmas_f32 v0, v0, v1, v7
	v_div_fixup_f32 v0, v0, v4, v5
	global_store_dword v[2:3], v0, off
.LBB7_23:
	s_endpgm
	.section	.rodata,"a",@progbits
	.p2align	6, 0x0
	.amdhsa_kernel _ZL33flash_attn_stream_k_fixup_generalILi64ELi64ELi1EEvPfPK15HIP_vector_typeIfLj2EEiiiiS1_IjLj3EES5_S5_S5_
		.amdhsa_group_segment_fixed_size 0
		.amdhsa_private_segment_fixed_size 0
		.amdhsa_kernarg_size 336
		.amdhsa_user_sgpr_count 2
		.amdhsa_user_sgpr_dispatch_ptr 0
		.amdhsa_user_sgpr_queue_ptr 0
		.amdhsa_user_sgpr_kernarg_segment_ptr 1
		.amdhsa_user_sgpr_dispatch_id 0
		.amdhsa_user_sgpr_kernarg_preload_length 0
		.amdhsa_user_sgpr_kernarg_preload_offset 0
		.amdhsa_user_sgpr_private_segment_size 0
		.amdhsa_uses_dynamic_stack 0
		.amdhsa_enable_private_segment 0
		.amdhsa_system_sgpr_workgroup_id_x 1
		.amdhsa_system_sgpr_workgroup_id_y 1
		.amdhsa_system_sgpr_workgroup_id_z 1
		.amdhsa_system_sgpr_workgroup_info 0
		.amdhsa_system_vgpr_workitem_id 0
		.amdhsa_next_free_vgpr 18
		.amdhsa_next_free_sgpr 36
		.amdhsa_accum_offset 20
		.amdhsa_reserve_vcc 1
		.amdhsa_float_round_mode_32 0
		.amdhsa_float_round_mode_16_64 0
		.amdhsa_float_denorm_mode_32 3
		.amdhsa_float_denorm_mode_16_64 3
		.amdhsa_dx10_clamp 1
		.amdhsa_ieee_mode 1
		.amdhsa_fp16_overflow 0
		.amdhsa_tg_split 0
		.amdhsa_exception_fp_ieee_invalid_op 0
		.amdhsa_exception_fp_denorm_src 0
		.amdhsa_exception_fp_ieee_div_zero 0
		.amdhsa_exception_fp_ieee_overflow 0
		.amdhsa_exception_fp_ieee_underflow 0
		.amdhsa_exception_fp_ieee_inexact 0
		.amdhsa_exception_int_div_zero 0
	.end_amdhsa_kernel
	.section	.text._ZL33flash_attn_stream_k_fixup_generalILi64ELi64ELi1EEvPfPK15HIP_vector_typeIfLj2EEiiiiS1_IjLj3EES5_S5_S5_,"axG",@progbits,_ZL33flash_attn_stream_k_fixup_generalILi64ELi64ELi1EEvPfPK15HIP_vector_typeIfLj2EEiiiiS1_IjLj3EES5_S5_S5_,comdat
.Lfunc_end7:
	.size	_ZL33flash_attn_stream_k_fixup_generalILi64ELi64ELi1EEvPfPK15HIP_vector_typeIfLj2EEiiiiS1_IjLj3EES5_S5_S5_, .Lfunc_end7-_ZL33flash_attn_stream_k_fixup_generalILi64ELi64ELi1EEvPfPK15HIP_vector_typeIfLj2EEiiiiS1_IjLj3EES5_S5_S5_
                                        ; -- End function
	.set _ZL33flash_attn_stream_k_fixup_generalILi64ELi64ELi1EEvPfPK15HIP_vector_typeIfLj2EEiiiiS1_IjLj3EES5_S5_S5_.num_vgpr, 18
	.set _ZL33flash_attn_stream_k_fixup_generalILi64ELi64ELi1EEvPfPK15HIP_vector_typeIfLj2EEiiiiS1_IjLj3EES5_S5_S5_.num_agpr, 0
	.set _ZL33flash_attn_stream_k_fixup_generalILi64ELi64ELi1EEvPfPK15HIP_vector_typeIfLj2EEiiiiS1_IjLj3EES5_S5_S5_.numbered_sgpr, 36
	.set _ZL33flash_attn_stream_k_fixup_generalILi64ELi64ELi1EEvPfPK15HIP_vector_typeIfLj2EEiiiiS1_IjLj3EES5_S5_S5_.num_named_barrier, 0
	.set _ZL33flash_attn_stream_k_fixup_generalILi64ELi64ELi1EEvPfPK15HIP_vector_typeIfLj2EEiiiiS1_IjLj3EES5_S5_S5_.private_seg_size, 0
	.set _ZL33flash_attn_stream_k_fixup_generalILi64ELi64ELi1EEvPfPK15HIP_vector_typeIfLj2EEiiiiS1_IjLj3EES5_S5_S5_.uses_vcc, 1
	.set _ZL33flash_attn_stream_k_fixup_generalILi64ELi64ELi1EEvPfPK15HIP_vector_typeIfLj2EEiiiiS1_IjLj3EES5_S5_S5_.uses_flat_scratch, 0
	.set _ZL33flash_attn_stream_k_fixup_generalILi64ELi64ELi1EEvPfPK15HIP_vector_typeIfLj2EEiiiiS1_IjLj3EES5_S5_S5_.has_dyn_sized_stack, 0
	.set _ZL33flash_attn_stream_k_fixup_generalILi64ELi64ELi1EEvPfPK15HIP_vector_typeIfLj2EEiiiiS1_IjLj3EES5_S5_S5_.has_recursion, 0
	.set _ZL33flash_attn_stream_k_fixup_generalILi64ELi64ELi1EEvPfPK15HIP_vector_typeIfLj2EEiiiiS1_IjLj3EES5_S5_S5_.has_indirect_call, 0
	.section	.AMDGPU.csdata,"",@progbits
; Kernel info:
; codeLenInByte = 2932
; TotalNumSgprs: 42
; NumVgprs: 18
; NumAgprs: 0
; TotalNumVgprs: 18
; ScratchSize: 0
; MemoryBound: 0
; FloatMode: 240
; IeeeMode: 1
; LDSByteSize: 0 bytes/workgroup (compile time only)
; SGPRBlocks: 5
; VGPRBlocks: 2
; NumSGPRsForWavesPerEU: 42
; NumVGPRsForWavesPerEU: 18
; AccumOffset: 20
; Occupancy: 8
; WaveLimiterHint : 0
; COMPUTE_PGM_RSRC2:SCRATCH_EN: 0
; COMPUTE_PGM_RSRC2:USER_SGPR: 2
; COMPUTE_PGM_RSRC2:TRAP_HANDLER: 0
; COMPUTE_PGM_RSRC2:TGID_X_EN: 1
; COMPUTE_PGM_RSRC2:TGID_Y_EN: 1
; COMPUTE_PGM_RSRC2:TGID_Z_EN: 1
; COMPUTE_PGM_RSRC2:TIDIG_COMP_CNT: 0
; COMPUTE_PGM_RSRC3_GFX90A:ACCUM_OFFSET: 4
; COMPUTE_PGM_RSRC3_GFX90A:TG_SPLIT: 0
	.section	.text._ZL26flash_attn_combine_resultsILi64EEvPKfPK15HIP_vector_typeIfLj2EEPfi,"axG",@progbits,_ZL26flash_attn_combine_resultsILi64EEvPKfPK15HIP_vector_typeIfLj2EEPfi,comdat
	.globl	_ZL26flash_attn_combine_resultsILi64EEvPKfPK15HIP_vector_typeIfLj2EEPfi ; -- Begin function _ZL26flash_attn_combine_resultsILi64EEvPKfPK15HIP_vector_typeIfLj2EEPfi
	.p2align	8
	.type	_ZL26flash_attn_combine_resultsILi64EEvPKfPK15HIP_vector_typeIfLj2EEPfi,@function
_ZL26flash_attn_combine_resultsILi64EEvPKfPK15HIP_vector_typeIfLj2EEPfi: ; @_ZL26flash_attn_combine_resultsILi64EEvPKfPK15HIP_vector_typeIfLj2EEPfi
; %bb.0:
	s_load_dwordx2 s[6:7], s[0:1], 0x20
	s_load_dword s19, s[0:1], 0x18
	s_load_dwordx4 s[8:11], s[0:1], 0x0
	s_load_dwordx2 s[14:15], s[0:1], 0x10
	s_waitcnt lgkmcnt(0)
	s_mul_i32 s0, s6, s4
	s_add_i32 s0, s0, s2
	s_mul_i32 s18, s0, s7
	s_add_i32 s18, s18, s3
	s_lshl_b32 s20, s19, 1
	s_mul_i32 s2, s18, s19
	v_cmp_gt_i32_e32 vcc, s20, v0
	s_and_saveexec_b64 s[0:1], vcc
	s_cbranch_execz .LBB8_13
; %bb.1:
	v_xad_u32 v1, v0, -1, s20
	s_ashr_i32 s3, s2, 31
	v_cmp_lt_u32_e32 vcc, 63, v1
	s_mov_b64 s[6:7], -1
	v_mov_b32_e32 v2, v0
	s_and_saveexec_b64 s[4:5], vcc
	s_cbranch_execz .LBB8_10
; %bb.2:
	v_lshrrev_b32_e32 v6, 6, v1
	s_lshl_b64 s[6:7], s[2:3], 3
	v_add_u32_e32 v2, -1, v6
	s_add_u32 s6, s10, s6
	v_or_b32_e32 v1, 64, v0
	v_lshrrev_b32_e32 v3, 1, v2
	s_addc_u32 s7, s11, s7
	s_mov_b32 s21, 0
	v_add_u32_e32 v7, 1, v3
	v_cmp_lt_u32_e32 vcc, 13, v2
	v_mov_b32_e32 v4, 0
	v_mov_b64_e32 v[2:3], v[0:1]
	s_and_saveexec_b64 s[12:13], vcc
	s_cbranch_execz .LBB8_6
; %bb.3:
	v_and_b32_e32 v8, -8, v7
	v_lshl_add_u32 v9, v0, 2, 0
	s_mov_b64 s[16:17], 0
	v_mov_b32_e32 v5, 0
	v_mov_b64_e32 v[2:3], v[0:1]
.LBB8_4:                                ; =>This Inner Loop Header: Depth=1
	v_mov_b32_e32 v4, v2
	v_lshl_add_u64 v[24:25], v[4:5], 2, s[6:7]
	v_mov_b32_e32 v4, v3
	v_add_u32_e32 v10, 0x80, v3
	v_mov_b32_e32 v11, v5
	v_lshl_add_u64 v[26:27], v[4:5], 2, s[6:7]
	v_add_u32_e32 v4, 0x80, v2
	v_lshl_add_u64 v[10:11], v[10:11], 2, s[6:7]
	global_load_dword v1, v[24:25], off
	v_lshl_add_u64 v[24:25], v[4:5], 2, s[6:7]
	v_add_u32_e32 v4, 0x100, v2
	global_load_dword v28, v[26:27], off
	global_load_dword v29, v[24:25], off
	;; [unrolled: 1-line block ×3, first 2 shown]
	v_lshl_add_u64 v[10:11], v[4:5], 2, s[6:7]
	v_add_u32_e32 v4, 0x180, v2
	v_add_u32_e32 v12, 0x100, v3
	v_mov_b32_e32 v13, v5
	v_add_u32_e32 v14, 0x180, v3
	v_mov_b32_e32 v15, v5
	v_lshl_add_u64 v[24:25], v[4:5], 2, s[6:7]
	v_add_u32_e32 v4, 0x200, v2
	v_lshl_add_u64 v[12:13], v[12:13], 2, s[6:7]
	v_lshl_add_u64 v[14:15], v[14:15], 2, s[6:7]
	global_load_dword v26, v[10:11], off
	global_load_dword v27, v[12:13], off
	;; [unrolled: 1-line block ×4, first 2 shown]
	v_lshl_add_u64 v[10:11], v[4:5], 2, s[6:7]
	v_add_u32_e32 v4, 0x280, v2
	v_add_u32_e32 v16, 0x200, v3
	v_mov_b32_e32 v17, v5
	v_add_u32_e32 v18, 0x280, v3
	v_mov_b32_e32 v19, v5
	v_lshl_add_u64 v[12:13], v[4:5], 2, s[6:7]
	v_add_u32_e32 v4, 0x300, v2
	v_add_u32_e32 v20, 0x300, v3
	v_mov_b32_e32 v21, v5
	v_add_u32_e32 v22, 0x380, v3
	v_mov_b32_e32 v23, v5
	v_lshl_add_u64 v[16:17], v[16:17], 2, s[6:7]
	v_lshl_add_u64 v[18:19], v[18:19], 2, s[6:7]
	global_load_dword v14, v[10:11], off
	global_load_dword v15, v[16:17], off
	;; [unrolled: 1-line block ×4, first 2 shown]
	v_lshl_add_u64 v[10:11], v[4:5], 2, s[6:7]
	v_add_u32_e32 v4, 0x380, v2
	v_lshl_add_u64 v[20:21], v[20:21], 2, s[6:7]
	v_lshl_add_u64 v[22:23], v[22:23], 2, s[6:7]
	;; [unrolled: 1-line block ×3, first 2 shown]
	global_load_dword v16, v[10:11], off
	global_load_dword v17, v[20:21], off
	;; [unrolled: 1-line block ×4, first 2 shown]
	v_add_u32_e32 v8, -8, v8
	s_add_i32 s21, s21, 16
	v_cmp_eq_u32_e32 vcc, 0, v8
	v_add_u32_e32 v3, 0x400, v3
	v_mov_b32_e32 v4, s21
	s_or_b64 s[16:17], vcc, s[16:17]
	v_add_u32_e32 v2, 0x400, v2
	s_waitcnt vmcnt(14)
	ds_write2st64_b32 v9, v1, v28 offset1:1
	s_waitcnt vmcnt(12)
	ds_write2st64_b32 v9, v29, v30 offset0:2 offset1:3
	s_waitcnt vmcnt(10)
	ds_write2st64_b32 v9, v26, v27 offset0:4 offset1:5
	;; [unrolled: 2-line block ×7, first 2 shown]
	v_add_u32_e32 v9, 0x1000, v9
	s_andn2_b64 exec, exec, s[16:17]
	s_cbranch_execnz .LBB8_4
; %bb.5:
	s_or_b64 exec, exec, s[16:17]
.LBB8_6:
	s_or_b64 exec, exec, s[12:13]
	v_and_b32_e32 v1, 7, v7
	v_cmp_ne_u32_e32 vcc, 0, v1
	s_and_saveexec_b64 s[12:13], vcc
	s_cbranch_execz .LBB8_9
; %bb.7:
	v_lshlrev_b32_e32 v5, 2, v0
	v_lshl_or_b32 v4, v4, 8, v5
	v_add_u32_e32 v7, 0, v4
	s_mov_b64 s[16:17], 0
	v_mov_b32_e32 v5, 0
.LBB8_8:                                ; =>This Inner Loop Header: Depth=1
	v_mov_b32_e32 v4, v2
	v_lshl_add_u64 v[8:9], v[4:5], 2, s[6:7]
	v_mov_b32_e32 v4, v3
	v_lshl_add_u64 v[10:11], v[4:5], 2, s[6:7]
	global_load_dword v4, v[8:9], off
	global_load_dword v12, v[10:11], off
	v_add_u32_e32 v1, -1, v1
	v_cmp_eq_u32_e32 vcc, 0, v1
	v_add_u32_e32 v2, 0x80, v2
	v_add_u32_e32 v3, 0x80, v3
	s_or_b64 s[16:17], vcc, s[16:17]
	s_waitcnt vmcnt(0)
	ds_write2st64_b32 v7, v4, v12 offset1:1
	v_add_u32_e32 v7, 0x200, v7
	s_andn2_b64 exec, exec, s[16:17]
	s_cbranch_execnz .LBB8_8
.LBB8_9:
	s_or_b64 exec, exec, s[12:13]
	v_add_u32_e32 v1, 1, v6
	v_and_b32_e32 v3, 0x7fffffe, v1
	v_cmp_ne_u32_e32 vcc, v1, v3
	v_lshl_or_b32 v2, v3, 6, v0
	s_orn2_b64 s[6:7], vcc, exec
.LBB8_10:
	s_or_b64 exec, exec, s[4:5]
	s_and_b64 exec, exec, s[6:7]
	s_cbranch_execz .LBB8_13
; %bb.11:
	s_lshl_b64 s[4:5], s[2:3], 3
	s_add_u32 s4, s10, s4
	v_mov_b32_e32 v3, 0
	s_addc_u32 s5, s11, s5
	v_lshl_add_u64 v[4:5], v[2:3], 2, s[4:5]
	v_lshl_add_u32 v1, v2, 2, 0
	s_mov_b64 s[4:5], 0
	s_mov_b64 s[6:7], 0x100
.LBB8_12:                               ; =>This Inner Loop Header: Depth=1
	global_load_dword v3, v[4:5], off
	v_add_u32_e32 v2, 64, v2
	v_cmp_le_i32_e32 vcc, s20, v2
	v_lshl_add_u64 v[4:5], v[4:5], 0, s[6:7]
	s_or_b64 s[4:5], vcc, s[4:5]
	s_waitcnt vmcnt(0)
	ds_write_b32 v1, v3
	v_add_u32_e32 v1, 0x100, v1
	s_andn2_b64 exec, exec, s[4:5]
	s_cbranch_execnz .LBB8_12
.LBB8_13:
	s_or_b64 exec, exec, s[0:1]
	v_mov_b32_e32 v1, 0
	s_waitcnt lgkmcnt(0)
	; wave barrier
	ds_read_b32 v1, v1
	s_cmp_lt_i32 s19, 2
	s_cbranch_scc1 .LBB8_21
; %bb.14:
	s_cmp_eq_u32 s19, 2
	s_cbranch_scc1 .LBB8_18
; %bb.15:
	s_add_i32 s3, s19, -1
	s_and_b32 s4, s3, -2
	s_add_i32 s6, 0, 8
	s_mov_b32 s5, 2
	s_waitcnt lgkmcnt(0)
	v_mov_b32_e32 v4, v1
.LBB8_16:                               ; =>This Inner Loop Header: Depth=1
	v_mov_b32_e32 v2, v1
	v_mov_b32_e32 v1, s6
	;; [unrolled: 1-line block ×3, first 2 shown]
	ds_read2_b32 v[4:5], v1 offset1:2
	s_cmp_lg_u32 s4, s5
	s_cselect_b64 s[10:11], -1, 0
	v_max_f32_e32 v1, v3, v3
	v_max_f32_e32 v6, v2, v2
	s_waitcnt lgkmcnt(0)
	v_cmp_u_f32_e32 vcc, v5, v5
	v_max_f32_e32 v7, v5, v5
	v_max_f32_e32 v8, v4, v4
	v_cndmask_b32_e64 v5, 0, 1, vcc
	v_cmp_u_f32_e32 vcc, v4, v4
	v_readfirstlane_b32 s0, v5
	s_lshl_b32 s0, s0, 1
	v_cndmask_b32_e64 v9, 0, 1, vcc
	v_max_f32_e32 v4, v1, v7
	v_readfirstlane_b32 s1, v9
	s_or_b32 s0, s1, s0
	s_and_b32 s7, s0, 3
	s_cmp_lg_u32 s7, 0
	s_cselect_b64 s[0:1], -1, 0
	s_cmp_eq_u32 s7, 0
	s_cselect_b64 s[12:13], -1, 0
	s_and_b64 s[10:11], s[12:13], s[10:11]
	v_max_f32_e32 v1, v6, v8
	s_add_i32 s5, s5, 2
	s_add_i32 s6, s6, 16
	s_and_b64 vcc, exec, s[10:11]
	s_cbranch_vccnz .LBB8_16
; %bb.17:
	s_add_i32 s5, s5, -4
	s_and_b64 s[6:7], s[0:1], exec
	s_cselect_b32 s5, s5, s3
	s_or_b32 s5, s5, 1
	v_cndmask_b32_e64 v1, v1, v2, s[0:1]
	v_cndmask_b32_e64 v2, v4, v3, s[0:1]
	s_cmp_lg_u32 s3, s4
	v_max_f32_e32 v2, v2, v2
	v_max_f32_e32 v1, v1, v1
	s_cselect_b64 s[6:7], -1, 0
	v_max_f32_e32 v1, v1, v2
	s_or_b64 s[0:1], s[6:7], s[0:1]
	s_and_b64 vcc, exec, s[0:1]
	s_cbranch_vccnz .LBB8_19
	s_branch .LBB8_21
.LBB8_18:
	s_mov_b32 s5, 1
	s_cbranch_execz .LBB8_21
.LBB8_19:
	s_lshl_b32 s1, s5, 3
	s_sub_i32 s0, s19, s5
	s_add_i32 s1, s1, 0
.LBB8_20:                               ; =>This Inner Loop Header: Depth=1
	v_mov_b32_e32 v2, s1
	ds_read_b32 v2, v2
	s_waitcnt lgkmcnt(1)
	v_max_f32_e32 v1, v1, v1
	s_add_i32 s0, s0, -1
	s_add_i32 s1, s1, 8
	s_cmp_eq_u32 s0, 0
	s_waitcnt lgkmcnt(0)
	v_max_f32_e32 v2, v2, v2
	v_max_f32_e32 v1, v1, v2
	s_cbranch_scc0 .LBB8_20
.LBB8_21:
	s_cmp_lt_i32 s19, 1
	s_cbranch_scc1 .LBB8_26
; %bb.22:
	s_lshl_b32 s0, s2, 6
	s_ashr_i32 s1, s0, 31
	s_lshl_b64 s[0:1], s[0:1], 2
	s_add_u32 s16, s8, s0
	s_addc_u32 s17, s9, s1
	s_cmp_lt_u32 s19, 8
	s_cbranch_scc1 .LBB8_27
; %bb.23:
	v_mov_b32_e32 v7, 0
	s_and_b32 s20, s19, 0x7ffffff8
	v_or_b32_e32 v4, 0x1c0, v0
	s_mov_b32 s21, 0
	s_mov_b32 s22, 0x3fb8aa3b
	;; [unrolled: 1-line block ×4, first 2 shown]
	v_mov_b32_e32 v8, 0x7f800000
	s_mov_b32 s25, 0
	v_mov_b32_e32 v2, v7
	v_mov_b32_e32 v3, v7
.LBB8_24:                               ; =>This Inner Loop Header: Depth=1
	v_add_u32_e32 v6, 0xfffffe40, v4
	v_lshl_add_u64 v[26:27], v[6:7], 2, s[16:17]
	v_add_u32_e32 v6, 0xfffffe80, v4
	v_mov_b32_e32 v9, s21
	v_lshl_add_u64 v[30:31], v[6:7], 2, s[16:17]
	v_add_u32_e32 v6, 0xfffffec0, v4
	ds_read2_b64 v[10:13], v9 offset1:1
	ds_read2_b64 v[14:17], v9 offset0:2 offset1:3
	ds_read2_b64 v[18:21], v9 offset0:4 offset1:5
	;; [unrolled: 1-line block ×3, first 2 shown]
	global_load_dword v33, v[26:27], off
	global_load_dword v35, v[30:31], off
	v_lshl_add_u64 v[26:27], v[6:7], 2, s[16:17]
	v_add_u32_e32 v6, 0xffffff00, v4
	v_lshl_add_u64 v[30:31], v[6:7], 2, s[16:17]
	v_add_u32_e32 v6, 0xffffff40, v4
	global_load_dword v37, v[26:27], off
	global_load_dword v39, v[30:31], off
	v_lshl_add_u64 v[26:27], v[6:7], 2, s[16:17]
	v_add_u32_e32 v6, 0xffffff80, v4
	s_waitcnt lgkmcnt(3)
	v_mov_b32_e32 v32, v11
	v_sub_f32_e32 v9, v12, v1
	v_mov_b32_e32 v34, v13
	global_load_dword v11, v[26:27], off
	v_lshl_add_u64 v[12:13], v[6:7], 2, s[16:17]
	s_waitcnt lgkmcnt(2)
	v_mov_b32_e32 v36, v15
	v_subrev_u32_e32 v6, 64, v4
	global_load_dword v15, v[12:13], off
	v_mov_b32_e32 v5, v7
	v_lshl_add_u64 v[12:13], v[6:7], 2, s[16:17]
	v_lshl_add_u64 v[28:29], v[4:5], 2, s[16:17]
	v_sub_f32_e32 v5, v10, v1
	v_mov_b32_e32 v38, v17
	s_waitcnt lgkmcnt(1)
	v_mov_b32_e32 v10, v19
	global_load_dword v17, v[12:13], off
	global_load_dword v19, v[28:29], off
	v_sub_f32_e32 v30, v14, v1
	v_sub_f32_e32 v31, v16, v1
	;; [unrolled: 1-line block ×3, first 2 shown]
	v_mov_b32_e32 v14, v21
	s_waitcnt lgkmcnt(0)
	v_sub_f32_e32 v21, v22, v1
	v_mov_b32_e32 v16, v23
	v_sub_f32_e32 v22, v24, v1
	v_mul_f32_e32 v23, 0x3fb8aa3b, v5
	v_mov_b32_e32 v18, v25
	v_mul_f32_e32 v24, 0x3fb8aa3b, v9
	v_mul_f32_e32 v25, 0x3fb8aa3b, v30
	;; [unrolled: 1-line block ×5, first 2 shown]
	v_fma_f32 v43, v5, s22, -v23
	v_rndne_f32_e32 v44, v23
	v_sub_f32_e32 v20, v20, v1
	v_fma_f32 v45, v9, s22, -v24
	v_rndne_f32_e32 v46, v24
	v_fma_f32 v47, v30, s22, -v25
	v_rndne_f32_e32 v48, v25
	;; [unrolled: 2-line block ×5, first 2 shown]
	v_fmac_f32_e32 v43, 0x32a5705f, v5
	v_sub_f32_e32 v12, v23, v44
	v_mul_f32_e32 v26, 0x3fb8aa3b, v31
	v_mul_f32_e32 v41, 0x3fb8aa3b, v20
	v_fmac_f32_e32 v45, 0x32a5705f, v9
	v_sub_f32_e32 v23, v24, v46
	v_fmac_f32_e32 v47, 0x32a5705f, v30
	v_sub_f32_e32 v25, v25, v48
	;; [unrolled: 2-line block ×5, first 2 shown]
	v_add_f32_e32 v12, v12, v43
	v_fma_f32 v49, v31, s22, -v26
	v_rndne_f32_e32 v50, v26
	v_fma_f32 v53, v20, s22, -v41
	v_rndne_f32_e32 v54, v41
	v_cvt_i32_f32_e32 v13, v44
	v_add_f32_e32 v23, v23, v45
	v_add_f32_e32 v25, v25, v47
	;; [unrolled: 1-line block ×5, first 2 shown]
	v_exp_f32_e32 v12, v12
	v_cvt_i32_f32_e32 v24, v46
	v_cvt_i32_f32_e32 v28, v48
	v_fmac_f32_e32 v49, 0x32a5705f, v31
	v_sub_f32_e32 v26, v26, v50
	v_cvt_i32_f32_e32 v29, v50
	v_cvt_i32_f32_e32 v44, v52
	v_fmac_f32_e32 v53, 0x32a5705f, v20
	v_sub_f32_e32 v41, v41, v54
	v_cvt_i32_f32_e32 v48, v56
	v_cvt_i32_f32_e32 v50, v58
	v_exp_f32_e32 v23, v23
	v_exp_f32_e32 v25, v25
	;; [unrolled: 1-line block ×5, first 2 shown]
	v_add_f32_e32 v26, v26, v49
	v_add_f32_e32 v41, v41, v53
	v_cvt_i32_f32_e32 v46, v54
	v_exp_f32_e32 v26, v26
	v_exp_f32_e32 v41, v41
	v_ldexp_f32 v12, v12, v13
	v_cmp_ngt_f32_e64 s[12:13], s23, v5
	v_ldexp_f32 v13, v23, v24
	v_cmp_ngt_f32_e32 vcc, s23, v9
	v_ldexp_f32 v23, v25, v28
	v_ldexp_f32 v25, v27, v44
	;; [unrolled: 1-line block ×3, first 2 shown]
	v_cmp_ngt_f32_e64 s[8:9], s23, v21
	v_ldexp_f32 v6, v6, v50
	v_cmp_ngt_f32_e64 s[10:11], s23, v22
	v_cndmask_b32_e64 v12, 0, v12, s[12:13]
	v_cmp_nlt_f32_e64 s[12:13], s24, v5
	v_cmp_ngt_f32_e64 s[0:1], s23, v30
	v_cndmask_b32_e32 v13, 0, v13, vcc
	v_cmp_nlt_f32_e32 vcc, s24, v9
	v_cndmask_b32_e64 v27, 0, v27, s[8:9]
	v_cmp_nlt_f32_e64 s[8:9], s24, v21
	v_cndmask_b32_e64 v21, 0, v6, s[10:11]
	v_cndmask_b32_e64 v6, v8, v12, s[12:13]
	v_ldexp_f32 v24, v26, v29
	v_cmp_ngt_f32_e64 s[2:3], s23, v31
	v_cmp_ngt_f32_e64 s[4:5], s23, v40
	v_ldexp_f32 v26, v41, v46
	v_cmp_ngt_f32_e64 s[6:7], s23, v20
	v_cndmask_b32_e64 v9, 0, v23, s[0:1]
	v_cmp_nlt_f32_e64 s[0:1], s24, v30
	v_cndmask_b32_e32 v12, v8, v13, vcc
	s_waitcnt vmcnt(7)
	v_pk_fma_f32 v[2:3], v[6:7], v[32:33], v[2:3] op_sel_hi:[0,1,1]
	v_cndmask_b32_e64 v23, 0, v24, s[2:3]
	v_cmp_nlt_f32_e64 s[2:3], s24, v31
	v_cndmask_b32_e64 v24, 0, v25, s[4:5]
	v_cndmask_b32_e64 v25, 0, v26, s[6:7]
	v_cmp_nlt_f32_e64 s[6:7], s24, v20
	v_cndmask_b32_e64 v20, v8, v9, s[0:1]
	s_waitcnt vmcnt(6)
	v_pk_fma_f32 v[2:3], v[12:13], v[34:35], v[2:3] op_sel_hi:[0,1,1]
	v_cmp_nlt_f32_e64 s[4:5], s24, v40
	v_cmp_nlt_f32_e64 s[10:11], s24, v22
	v_cndmask_b32_e64 v22, v8, v23, s[2:3]
	s_waitcnt vmcnt(5)
	v_pk_fma_f32 v[2:3], v[20:21], v[36:37], v[2:3] op_sel_hi:[0,1,1]
	v_cndmask_b32_e64 v24, v8, v24, s[4:5]
	s_waitcnt vmcnt(4)
	v_pk_fma_f32 v[2:3], v[22:23], v[38:39], v[2:3] op_sel_hi:[0,1,1]
	;; [unrolled: 3-line block ×4, first 2 shown]
	s_add_i32 s25, s25, 8
	s_add_i32 s21, s21, 64
	v_cndmask_b32_e64 v30, v8, v21, s[10:11]
	s_waitcnt vmcnt(1)
	v_pk_fma_f32 v[2:3], v[28:29], v[16:17], v[2:3] op_sel_hi:[0,1,1]
	s_cmp_eq_u32 s20, s25
	v_add_u32_e32 v4, 0x200, v4
	s_waitcnt vmcnt(0)
	v_pk_fma_f32 v[2:3], v[30:31], v[18:19], v[2:3] op_sel_hi:[0,1,1]
	s_cbranch_scc0 .LBB8_24
; %bb.25:
	s_and_b32 s0, s19, 7
	s_cmp_eq_u32 s0, 0
	s_cbranch_scc0 .LBB8_28
	s_branch .LBB8_30
.LBB8_26:
	s_waitcnt lgkmcnt(0)
	v_mov_b32_e32 v1, 0x7fc00000
	s_branch .LBB8_31
.LBB8_27:
	v_mov_b32_e32 v2, 0
	s_mov_b32 s20, 0
	v_mov_b32_e32 v3, v2
	s_and_b32 s0, s19, 7
	s_cmp_eq_u32 s0, 0
	s_cbranch_scc1 .LBB8_30
.LBB8_28:
	s_lshl_b32 s1, s20, 3
	v_lshl_or_b32 v4, s20, 6, v0
	s_add_i32 s1, s1, 0
	s_mov_b32 s2, 0x3fb8aa3b
	s_mov_b32 s3, 0xc2ce8ed0
	;; [unrolled: 1-line block ×3, first 2 shown]
	v_mov_b32_e32 v6, 0x7f800000
	v_mov_b32_e32 v5, 0
.LBB8_29:                               ; =>This Inner Loop Header: Depth=1
	v_lshl_add_u64 v[8:9], v[4:5], 2, s[16:17]
	global_load_dword v9, v[8:9], off
	v_mov_b32_e32 v7, s1
	ds_read_b64 v[10:11], v7
	s_add_i32 s1, s1, 8
	s_add_i32 s0, s0, -1
	v_add_u32_e32 v4, 64, v4
	s_cmp_lg_u32 s0, 0
	s_waitcnt lgkmcnt(0)
	v_sub_f32_e32 v7, v10, v1
	v_mul_f32_e32 v8, 0x3fb8aa3b, v7
	v_fma_f32 v10, v7, s2, -v8
	v_rndne_f32_e32 v12, v8
	v_fmac_f32_e32 v10, 0x32a5705f, v7
	v_sub_f32_e32 v8, v8, v12
	v_add_f32_e32 v8, v8, v10
	v_cvt_i32_f32_e32 v12, v12
	v_exp_f32_e32 v10, v8
	v_cmp_ngt_f32_e32 vcc, s3, v7
	v_mov_b32_e32 v8, v11
	v_ldexp_f32 v10, v10, v12
	v_cndmask_b32_e32 v10, 0, v10, vcc
	v_cmp_nlt_f32_e32 vcc, s4, v7
	s_nop 1
	v_cndmask_b32_e32 v10, v6, v10, vcc
	s_waitcnt vmcnt(0)
	v_pk_fma_f32 v[2:3], v[10:11], v[8:9], v[2:3] op_sel_hi:[0,1,1]
	s_cbranch_scc1 .LBB8_29
.LBB8_30:
	s_waitcnt lgkmcnt(0)
	v_div_scale_f32 v1, s[0:1], v2, v2, v3
	v_rcp_f32_e32 v4, v1
	v_div_scale_f32 v5, vcc, v3, v2, v3
	v_fma_f32 v6, -v1, v4, 1.0
	v_fmac_f32_e32 v4, v6, v4
	v_mul_f32_e32 v6, v5, v4
	v_fma_f32 v7, -v1, v6, v5
	v_fmac_f32_e32 v6, v7, v4
	v_fma_f32 v1, -v1, v6, v5
	v_div_fmas_f32 v1, v1, v4, v6
	v_div_fixup_f32 v1, v1, v2, v3
.LBB8_31:
	s_lshl_b32 s0, s18, 6
	s_ashr_i32 s1, s0, 31
	s_lshl_b64 s[0:1], s[0:1], 2
	s_add_u32 s0, s14, s0
	s_addc_u32 s1, s15, s1
	v_lshlrev_b32_e32 v0, 2, v0
	global_store_dword v0, v1, s[0:1]
	s_endpgm
	.section	.rodata,"a",@progbits
	.p2align	6, 0x0
	.amdhsa_kernel _ZL26flash_attn_combine_resultsILi64EEvPKfPK15HIP_vector_typeIfLj2EEPfi
		.amdhsa_group_segment_fixed_size 0
		.amdhsa_private_segment_fixed_size 0
		.amdhsa_kernarg_size 288
		.amdhsa_user_sgpr_count 2
		.amdhsa_user_sgpr_dispatch_ptr 0
		.amdhsa_user_sgpr_queue_ptr 0
		.amdhsa_user_sgpr_kernarg_segment_ptr 1
		.amdhsa_user_sgpr_dispatch_id 0
		.amdhsa_user_sgpr_kernarg_preload_length 0
		.amdhsa_user_sgpr_kernarg_preload_offset 0
		.amdhsa_user_sgpr_private_segment_size 0
		.amdhsa_uses_dynamic_stack 0
		.amdhsa_enable_private_segment 0
		.amdhsa_system_sgpr_workgroup_id_x 1
		.amdhsa_system_sgpr_workgroup_id_y 1
		.amdhsa_system_sgpr_workgroup_id_z 1
		.amdhsa_system_sgpr_workgroup_info 0
		.amdhsa_system_vgpr_workitem_id 0
		.amdhsa_next_free_vgpr 59
		.amdhsa_next_free_sgpr 26
		.amdhsa_accum_offset 60
		.amdhsa_reserve_vcc 1
		.amdhsa_float_round_mode_32 0
		.amdhsa_float_round_mode_16_64 0
		.amdhsa_float_denorm_mode_32 3
		.amdhsa_float_denorm_mode_16_64 3
		.amdhsa_dx10_clamp 1
		.amdhsa_ieee_mode 1
		.amdhsa_fp16_overflow 0
		.amdhsa_tg_split 0
		.amdhsa_exception_fp_ieee_invalid_op 0
		.amdhsa_exception_fp_denorm_src 0
		.amdhsa_exception_fp_ieee_div_zero 0
		.amdhsa_exception_fp_ieee_overflow 0
		.amdhsa_exception_fp_ieee_underflow 0
		.amdhsa_exception_fp_ieee_inexact 0
		.amdhsa_exception_int_div_zero 0
	.end_amdhsa_kernel
	.section	.text._ZL26flash_attn_combine_resultsILi64EEvPKfPK15HIP_vector_typeIfLj2EEPfi,"axG",@progbits,_ZL26flash_attn_combine_resultsILi64EEvPKfPK15HIP_vector_typeIfLj2EEPfi,comdat
.Lfunc_end8:
	.size	_ZL26flash_attn_combine_resultsILi64EEvPKfPK15HIP_vector_typeIfLj2EEPfi, .Lfunc_end8-_ZL26flash_attn_combine_resultsILi64EEvPKfPK15HIP_vector_typeIfLj2EEPfi
                                        ; -- End function
	.set _ZL26flash_attn_combine_resultsILi64EEvPKfPK15HIP_vector_typeIfLj2EEPfi.num_vgpr, 59
	.set _ZL26flash_attn_combine_resultsILi64EEvPKfPK15HIP_vector_typeIfLj2EEPfi.num_agpr, 0
	.set _ZL26flash_attn_combine_resultsILi64EEvPKfPK15HIP_vector_typeIfLj2EEPfi.numbered_sgpr, 26
	.set _ZL26flash_attn_combine_resultsILi64EEvPKfPK15HIP_vector_typeIfLj2EEPfi.num_named_barrier, 0
	.set _ZL26flash_attn_combine_resultsILi64EEvPKfPK15HIP_vector_typeIfLj2EEPfi.private_seg_size, 0
	.set _ZL26flash_attn_combine_resultsILi64EEvPKfPK15HIP_vector_typeIfLj2EEPfi.uses_vcc, 1
	.set _ZL26flash_attn_combine_resultsILi64EEvPKfPK15HIP_vector_typeIfLj2EEPfi.uses_flat_scratch, 0
	.set _ZL26flash_attn_combine_resultsILi64EEvPKfPK15HIP_vector_typeIfLj2EEPfi.has_dyn_sized_stack, 0
	.set _ZL26flash_attn_combine_resultsILi64EEvPKfPK15HIP_vector_typeIfLj2EEPfi.has_recursion, 0
	.set _ZL26flash_attn_combine_resultsILi64EEvPKfPK15HIP_vector_typeIfLj2EEPfi.has_indirect_call, 0
	.section	.AMDGPU.csdata,"",@progbits
; Kernel info:
; codeLenInByte = 2900
; TotalNumSgprs: 32
; NumVgprs: 59
; NumAgprs: 0
; TotalNumVgprs: 59
; ScratchSize: 0
; MemoryBound: 0
; FloatMode: 240
; IeeeMode: 1
; LDSByteSize: 0 bytes/workgroup (compile time only)
; SGPRBlocks: 3
; VGPRBlocks: 7
; NumSGPRsForWavesPerEU: 32
; NumVGPRsForWavesPerEU: 59
; AccumOffset: 60
; Occupancy: 8
; WaveLimiterHint : 0
; COMPUTE_PGM_RSRC2:SCRATCH_EN: 0
; COMPUTE_PGM_RSRC2:USER_SGPR: 2
; COMPUTE_PGM_RSRC2:TRAP_HANDLER: 0
; COMPUTE_PGM_RSRC2:TGID_X_EN: 1
; COMPUTE_PGM_RSRC2:TGID_Y_EN: 1
; COMPUTE_PGM_RSRC2:TGID_Z_EN: 1
; COMPUTE_PGM_RSRC2:TIDIG_COMP_CNT: 0
; COMPUTE_PGM_RSRC3_GFX90A:ACCUM_OFFSET: 14
; COMPUTE_PGM_RSRC3_GFX90A:TG_SPLIT: 0
	.section	.text._ZL18flash_attn_ext_f16ILi80ELi80ELi64ELi1ELb0ELb0EEvPKcS1_S1_S1_S1_PKiPfP15HIP_vector_typeIfLj2EEffffjfiS5_IjLj3EEiiiiiiiiiiiliiliiiiil,"axG",@progbits,_ZL18flash_attn_ext_f16ILi80ELi80ELi64ELi1ELb0ELb0EEvPKcS1_S1_S1_S1_PKiPfP15HIP_vector_typeIfLj2EEffffjfiS5_IjLj3EEiiiiiiiiiiiliiliiiiil,comdat
	.globl	_ZL18flash_attn_ext_f16ILi80ELi80ELi64ELi1ELb0ELb0EEvPKcS1_S1_S1_S1_PKiPfP15HIP_vector_typeIfLj2EEffffjfiS5_IjLj3EEiiiiiiiiiiiliiliiiiil ; -- Begin function _ZL18flash_attn_ext_f16ILi80ELi80ELi64ELi1ELb0ELb0EEvPKcS1_S1_S1_S1_PKiPfP15HIP_vector_typeIfLj2EEffffjfiS5_IjLj3EEiiiiiiiiiiiliiliiiiil
	.p2align	8
	.type	_ZL18flash_attn_ext_f16ILi80ELi80ELi64ELi1ELb0ELb0EEvPKcS1_S1_S1_S1_PKiPfP15HIP_vector_typeIfLj2EEffffjfiS5_IjLj3EEiiiiiiiiiiiliiliiiiil,@function
_ZL18flash_attn_ext_f16ILi80ELi80ELi64ELi1ELb0ELb0EEvPKcS1_S1_S1_S1_PKiPfP15HIP_vector_typeIfLj2EEffffjfiS5_IjLj3EEiiiiiiiiiiiliiliiiiil: ; @_ZL18flash_attn_ext_f16ILi80ELi80ELi64ELi1ELb0ELb0EEvPKcS1_S1_S1_S1_PKiPfP15HIP_vector_typeIfLj2EEffffjfiS5_IjLj3EEiiiiiiiiiiiliiliiiiil
; %bb.0:
	s_load_dwordx2 s[10:11], s[0:1], 0x80
	s_load_dwordx4 s[96:99], s[0:1], 0x64
	s_mov_b32 s23, s2
                                        ; implicit-def: $vgpr254 : SGPR spill to VGPR lane
	s_load_dword s24, s[0:1], 0xd0
	s_mov_b32 s4, 0
	s_waitcnt lgkmcnt(0)
	s_abs_i32 s2, s11
	v_cvt_f32_u32_e32 v1, s2
	s_sub_i32 s6, 0, s2
	s_abs_i32 s5, s97
	s_xor_b32 s3, s97, s11
	v_rcp_iflag_f32_e32 v1, v1
	s_ashr_i32 s3, s3, 31
	v_mul_f32_e32 v1, 0x4f7ffffe, v1
	v_cvt_u32_f32_e32 v1, v1
	s_nop 0
	v_readfirstlane_b32 s7, v1
	s_mul_i32 s6, s6, s7
	s_mul_hi_u32 s6, s7, s6
	s_add_i32 s7, s7, s6
	s_mul_hi_u32 s6, s5, s7
	s_mul_i32 s7, s6, s2
	s_sub_i32 s5, s5, s7
	s_add_i32 s8, s6, 1
	s_sub_i32 s7, s5, s2
	s_cmp_ge_u32 s5, s2
	s_cselect_b32 s6, s8, s6
	s_cselect_b32 s5, s7, s5
	s_add_i32 s7, s6, 1
	s_cmp_ge_u32 s5, s2
	s_cselect_b32 s2, s7, s6
	s_add_i32 s5, s10, 63
	s_xor_b32 s2, s2, s3
	s_ashr_i32 s6, s5, 31
	s_sub_i32 s3, s2, s3
	s_lshr_b32 s2, s6, 26
	s_add_i32 s5, s5, s2
	s_add_i32 s2, s96, 63
	s_lshr_b32 s2, s2, 6
	s_ashr_i32 s5, s5, 6
	v_writelane_b32 v254, s2, 0
	v_writelane_b32 v254, s5, 1
	s_mul_i32 s2, s2, s5
	v_writelane_b32 v254, s3, 2
	v_writelane_b32 v254, s2, 3
	s_mul_i32 s3, s2, s3
	s_mov_b32 s2, s10
	v_writelane_b32 v254, s2, 4
	s_nop 1
	v_writelane_b32 v254, s3, 5
	s_mul_i32 s2, s3, s11
	s_mul_i32 s8, s2, s98
	v_writelane_b32 v254, s3, 6
	s_ashr_i32 s9, s8, 31
	v_writelane_b32 v254, s2, 7
	s_mul_i32 s2, s9, s23
	s_mul_hi_u32 s3, s8, s23
	s_add_i32 s5, s3, s2
	s_add_u32 s2, s0, 0xd0
	s_addc_u32 s3, s1, 0
	v_writelane_b32 v254, s2, 8
	s_cmp_lg_u64 s[4:5], 0
	s_mul_i32 s4, s8, s23
	v_writelane_b32 v254, s3, 9
	s_cbranch_scc0 .LBB9_2
; %bb.1:
	s_add_u32 s2, s24, 0
	s_addc_u32 s3, 0, 0
	s_xor_b64 s[6:7], s[2:3], 0
	v_cvt_f32_u32_e32 v1, s6
	v_cvt_f32_u32_e32 v2, s7
	s_sub_u32 s12, 0, s6
	s_subb_u32 s13, 0, s7
	s_mov_b64 s[2:3], 0
	v_fmamk_f32 v1, v2, 0x4f800000, v1
	v_rcp_f32_e32 v1, v1
	s_nop 0
	v_mul_f32_e32 v1, 0x5f7ffffc, v1
	v_mul_f32_e32 v2, 0x2f800000, v1
	v_trunc_f32_e32 v2, v2
	v_fmamk_f32 v1, v2, 0xcf800000, v1
	v_cvt_u32_f32_e32 v2, v2
	v_cvt_u32_f32_e32 v1, v1
	v_readfirstlane_b32 s14, v2
	v_readfirstlane_b32 s10, v1
	s_mul_i32 s11, s12, s14
	s_mul_hi_u32 s16, s12, s10
	s_mul_i32 s15, s13, s10
	s_add_i32 s11, s16, s11
	s_add_i32 s11, s11, s15
	s_mul_i32 s17, s12, s10
	s_mul_i32 s16, s10, s11
	s_mul_hi_u32 s18, s10, s17
	s_mul_hi_u32 s15, s10, s11
	s_add_u32 s16, s18, s16
	s_addc_u32 s15, 0, s15
	s_mul_hi_u32 s19, s14, s17
	s_mul_i32 s17, s14, s17
	s_add_u32 s16, s16, s17
	s_mul_hi_u32 s18, s14, s11
	s_addc_u32 s15, s15, s19
	s_addc_u32 s16, s18, 0
	s_mul_i32 s11, s14, s11
	s_add_u32 s11, s15, s11
	s_addc_u32 s15, 0, s16
	s_add_u32 s16, s10, s11
	s_cselect_b64 s[10:11], -1, 0
	s_cmp_lg_u64 s[10:11], 0
	s_addc_u32 s14, s14, s15
	s_mul_i32 s10, s12, s14
	s_mul_hi_u32 s11, s12, s16
	s_add_i32 s10, s11, s10
	s_mul_i32 s13, s13, s16
	s_add_i32 s10, s10, s13
	s_mul_i32 s12, s12, s16
	s_mul_hi_u32 s13, s14, s12
	s_mul_i32 s15, s14, s12
	s_mul_i32 s18, s16, s10
	s_mul_hi_u32 s12, s16, s12
	s_mul_hi_u32 s17, s16, s10
	s_add_u32 s12, s12, s18
	s_addc_u32 s17, 0, s17
	s_add_u32 s12, s12, s15
	s_mul_hi_u32 s11, s14, s10
	s_addc_u32 s12, s17, s13
	s_addc_u32 s11, s11, 0
	s_mul_i32 s10, s14, s10
	s_add_u32 s10, s12, s10
	s_addc_u32 s12, 0, s11
	s_add_u32 s15, s16, s10
	s_cselect_b64 s[10:11], -1, 0
	s_cmp_lg_u64 s[10:11], 0
	s_addc_u32 s14, s14, s12
	s_ashr_i32 s10, s5, 31
	s_add_u32 s12, s4, s10
	s_mov_b32 s11, s10
	s_addc_u32 s13, s5, s10
	s_xor_b64 s[12:13], s[12:13], s[10:11]
	s_mul_i32 s16, s12, s14
	s_mul_hi_u32 s17, s12, s15
	s_mul_hi_u32 s5, s12, s14
	s_add_u32 s16, s17, s16
	s_addc_u32 s5, 0, s5
	s_mul_hi_u32 s18, s13, s15
	s_mul_i32 s15, s13, s15
	s_add_u32 s15, s16, s15
	s_mul_hi_u32 s17, s13, s14
	s_addc_u32 s5, s5, s18
	s_addc_u32 s15, s17, 0
	s_mul_i32 s14, s13, s14
	s_add_u32 s5, s5, s14
	s_addc_u32 s18, 0, s15
	s_mul_i32 s14, s6, s18
	s_mul_hi_u32 s15, s6, s5
	s_add_i32 s14, s15, s14
	s_mul_i32 s15, s7, s5
	s_add_i32 s19, s14, s15
	s_sub_i32 s16, s13, s19
	s_mul_i32 s14, s6, s5
	s_sub_u32 s12, s12, s14
	s_cselect_b64 s[14:15], -1, 0
	s_cmp_lg_u64 s[14:15], 0
	s_subb_u32 s20, s16, s7
	s_sub_u32 s21, s12, s6
	s_cselect_b64 s[16:17], -1, 0
	s_cmp_lg_u64 s[16:17], 0
	s_subb_u32 s16, s20, 0
	s_cmp_ge_u32 s16, s7
	s_cselect_b32 s17, -1, 0
	s_cmp_ge_u32 s21, s6
	s_cselect_b32 s20, -1, 0
	s_cmp_eq_u32 s16, s7
	s_cselect_b32 s16, s20, s17
	s_add_u32 s17, s5, 1
	s_addc_u32 s20, s18, 0
	s_add_u32 s21, s5, 2
	s_addc_u32 s22, s18, 0
	s_cmp_lg_u32 s16, 0
	s_cselect_b32 s16, s21, s17
	s_cselect_b32 s17, s22, s20
	s_cmp_lg_u64 s[14:15], 0
	s_subb_u32 s13, s13, s19
	s_cmp_ge_u32 s13, s7
	s_cselect_b32 s14, -1, 0
	s_cmp_ge_u32 s12, s6
	s_cselect_b32 s6, -1, 0
	s_cmp_eq_u32 s13, s7
	s_cselect_b32 s6, s6, s14
	s_cmp_lg_u32 s6, 0
	s_cselect_b32 s7, s17, s18
	s_cselect_b32 s6, s16, s5
	s_xor_b64 s[10:11], s[10:11], 0
	s_xor_b64 s[6:7], s[6:7], s[10:11]
	s_sub_u32 s46, s6, s10
	s_branch .LBB9_3
.LBB9_2:
	s_mov_b64 s[2:3], -1
                                        ; implicit-def: $sgpr46_sgpr47
.LBB9_3:
	s_load_dwordx2 s[6:7], s[0:1], 0x74
	v_cvt_f32_u32_e32 v1, s24
	s_andn2_b64 vcc, exec, s[2:3]
	s_waitcnt lgkmcnt(0)
	v_writelane_b32 v254, s6, 10
	s_nop 1
	v_writelane_b32 v254, s7, 11
	s_cbranch_vccnz .LBB9_5
; %bb.4:
	v_rcp_iflag_f32_e32 v2, v1
	s_sub_i32 s2, 0, s24
	v_mul_f32_e32 v2, 0x4f7ffffe, v2
	v_cvt_u32_f32_e32 v2, v2
	s_nop 0
	v_readfirstlane_b32 s3, v2
	s_mul_i32 s2, s2, s3
	s_mul_hi_u32 s2, s3, s2
	s_add_i32 s3, s3, s2
	s_mul_hi_u32 s2, s4, s3
	s_mul_i32 s5, s2, s24
	s_sub_i32 s4, s4, s5
	s_add_i32 s3, s2, 1
	s_sub_i32 s5, s4, s24
	s_cmp_ge_u32 s4, s24
	s_cselect_b32 s2, s3, s2
	s_cselect_b32 s4, s5, s4
	s_add_i32 s3, s2, 1
	s_cmp_ge_u32 s4, s24
	s_cselect_b32 s46, s3, s2
.LBB9_5:
	s_add_i32 s2, s23, 1
	s_mul_i32 s3, s9, s2
	s_mul_hi_u32 s4, s8, s2
	s_add_i32 s7, s4, s3
	s_mov_b32 s6, 0
	s_cmp_lg_u64 s[6:7], 0
	s_mul_i32 s6, s8, s2
	s_cbranch_scc0 .LBB9_7
; %bb.6:
	s_add_u32 s2, s24, 0
	s_addc_u32 s3, 0, 0
	s_xor_b64 s[4:5], s[2:3], 0
	v_cvt_f32_u32_e32 v2, s4
	v_cvt_f32_u32_e32 v3, s5
	s_sub_u32 s10, 0, s4
	s_subb_u32 s11, 0, s5
	s_mov_b64 s[2:3], 0
	v_fmamk_f32 v2, v3, 0x4f800000, v2
	v_rcp_f32_e32 v2, v2
	s_nop 0
	v_mul_f32_e32 v2, 0x5f7ffffc, v2
	v_mul_f32_e32 v3, 0x2f800000, v2
	v_trunc_f32_e32 v3, v3
	v_fmamk_f32 v2, v3, 0xcf800000, v2
	v_cvt_u32_f32_e32 v3, v3
	v_cvt_u32_f32_e32 v2, v2
	v_readfirstlane_b32 s12, v3
	v_readfirstlane_b32 s8, v2
	s_mul_i32 s9, s10, s12
	s_mul_hi_u32 s14, s10, s8
	s_mul_i32 s13, s11, s8
	s_add_i32 s9, s14, s9
	s_add_i32 s9, s9, s13
	s_mul_i32 s15, s10, s8
	s_mul_i32 s14, s8, s9
	s_mul_hi_u32 s16, s8, s15
	s_mul_hi_u32 s13, s8, s9
	s_add_u32 s14, s16, s14
	s_addc_u32 s13, 0, s13
	s_mul_hi_u32 s17, s12, s15
	s_mul_i32 s15, s12, s15
	s_add_u32 s14, s14, s15
	s_mul_hi_u32 s16, s12, s9
	s_addc_u32 s13, s13, s17
	s_addc_u32 s14, s16, 0
	s_mul_i32 s9, s12, s9
	s_add_u32 s9, s13, s9
	s_addc_u32 s13, 0, s14
	s_add_u32 s14, s8, s9
	s_cselect_b64 s[8:9], -1, 0
	s_cmp_lg_u64 s[8:9], 0
	s_addc_u32 s12, s12, s13
	s_mul_i32 s8, s10, s12
	s_mul_hi_u32 s9, s10, s14
	s_add_i32 s8, s9, s8
	s_mul_i32 s11, s11, s14
	s_add_i32 s8, s8, s11
	s_mul_i32 s10, s10, s14
	s_mul_hi_u32 s11, s12, s10
	s_mul_i32 s13, s12, s10
	s_mul_i32 s16, s14, s8
	s_mul_hi_u32 s10, s14, s10
	s_mul_hi_u32 s15, s14, s8
	s_add_u32 s10, s10, s16
	s_addc_u32 s15, 0, s15
	s_add_u32 s10, s10, s13
	s_mul_hi_u32 s9, s12, s8
	s_addc_u32 s10, s15, s11
	s_addc_u32 s9, s9, 0
	s_mul_i32 s8, s12, s8
	s_add_u32 s8, s10, s8
	s_addc_u32 s10, 0, s9
	s_add_u32 s13, s14, s8
	s_cselect_b64 s[8:9], -1, 0
	s_cmp_lg_u64 s[8:9], 0
	s_addc_u32 s12, s12, s10
	s_ashr_i32 s8, s7, 31
	s_add_u32 s10, s6, s8
	s_mov_b32 s9, s8
	s_addc_u32 s11, s7, s8
	s_xor_b64 s[10:11], s[10:11], s[8:9]
	s_mul_i32 s14, s10, s12
	s_mul_hi_u32 s15, s10, s13
	s_mul_hi_u32 s7, s10, s12
	s_add_u32 s14, s15, s14
	s_addc_u32 s7, 0, s7
	s_mul_hi_u32 s16, s11, s13
	s_mul_i32 s13, s11, s13
	s_add_u32 s13, s14, s13
	s_mul_hi_u32 s15, s11, s12
	s_addc_u32 s7, s7, s16
	s_addc_u32 s13, s15, 0
	s_mul_i32 s12, s11, s12
	s_add_u32 s7, s7, s12
	s_addc_u32 s16, 0, s13
	s_mul_i32 s12, s4, s16
	s_mul_hi_u32 s13, s4, s7
	s_add_i32 s12, s13, s12
	s_mul_i32 s13, s5, s7
	s_add_i32 s17, s12, s13
	s_sub_i32 s14, s11, s17
	s_mul_i32 s12, s4, s7
	s_sub_u32 s10, s10, s12
	s_cselect_b64 s[12:13], -1, 0
	s_cmp_lg_u64 s[12:13], 0
	s_subb_u32 s18, s14, s5
	s_sub_u32 s19, s10, s4
	s_cselect_b64 s[14:15], -1, 0
	s_cmp_lg_u64 s[14:15], 0
	s_subb_u32 s14, s18, 0
	s_cmp_ge_u32 s14, s5
	s_cselect_b32 s15, -1, 0
	s_cmp_ge_u32 s19, s4
	s_cselect_b32 s18, -1, 0
	s_cmp_eq_u32 s14, s5
	s_cselect_b32 s14, s18, s15
	s_add_u32 s15, s7, 1
	s_addc_u32 s18, s16, 0
	s_add_u32 s19, s7, 2
	s_addc_u32 s20, s16, 0
	s_cmp_lg_u32 s14, 0
	s_cselect_b32 s14, s19, s15
	s_cselect_b32 s15, s20, s18
	s_cmp_lg_u64 s[12:13], 0
	s_subb_u32 s11, s11, s17
	s_cmp_ge_u32 s11, s5
	s_cselect_b32 s12, -1, 0
	s_cmp_ge_u32 s10, s4
	s_cselect_b32 s4, -1, 0
	s_cmp_eq_u32 s11, s5
	s_cselect_b32 s4, s4, s12
	s_cmp_lg_u32 s4, 0
	s_cselect_b32 s5, s15, s16
	s_cselect_b32 s4, s14, s7
	s_xor_b64 s[8:9], s[8:9], 0
	s_xor_b64 s[4:5], s[4:5], s[8:9]
	s_sub_u32 s4, s4, s8
	v_writelane_b32 v254, s4, 13
	s_nop 1
	v_writelane_b32 v254, s5, 14
	s_branch .LBB9_8
.LBB9_7:
	s_mov_b64 s[2:3], -1
                                        ; implicit-def: $sgpr4_sgpr5
                                        ; kill: killed $sgpr4_sgpr5
.LBB9_8:
	s_load_dwordx2 s[48:49], s[0:1], 0x5c
	v_writelane_b32 v254, s23, 12
	s_andn2_b64 vcc, exec, s[2:3]
	s_cbranch_vccnz .LBB9_10
; %bb.9:
	v_rcp_iflag_f32_e32 v1, v1
	s_sub_i32 s2, 0, s24
	v_mul_f32_e32 v1, 0x4f7ffffe, v1
	v_cvt_u32_f32_e32 v1, v1
	s_nop 0
	v_readfirstlane_b32 s3, v1
	s_mul_i32 s2, s2, s3
	s_mul_hi_u32 s2, s3, s2
	s_add_i32 s3, s3, s2
	s_mul_hi_u32 s2, s6, s3
	s_mul_i32 s4, s2, s24
	s_sub_i32 s4, s6, s4
	s_add_i32 s3, s2, 1
	s_sub_i32 s5, s4, s24
	s_cmp_ge_u32 s4, s24
	s_cselect_b32 s2, s3, s2
	s_cselect_b32 s4, s5, s4
	s_add_i32 s3, s2, 1
	s_cmp_ge_u32 s4, s24
	s_cselect_b32 s2, s3, s2
	v_writelane_b32 v254, s2, 13
	s_nop 1
	v_writelane_b32 v254, s3, 14
.LBB9_10:
	s_load_dwordx16 s[68:83], s[0:1], 0x0
	s_load_dwordx4 s[12:15], s[0:1], 0x40
	s_load_dword s2, s[0:1], 0x50
	v_writelane_b32 v254, s24, 15
	s_ashr_i32 s54, s99, 3
	v_bfe_u32 v128, v0, 10, 10
	s_waitcnt lgkmcnt(0)
	v_cvt_f16_f32_e32 v35, s12
	v_writelane_b32 v254, s2, 16
	s_load_dwordx2 s[2:3], s[0:1], 0x8c
	s_load_dwordx4 s[4:7], s[0:1], 0x98
	s_load_dwordx2 s[8:9], s[0:1], 0xa8
	s_load_dwordx2 s[18:19], s[0:1], 0xb8
	s_nop 0
	s_load_dwordx2 s[0:1], s[0:1], 0xc8
	s_mov_b32 s55, 0
	s_waitcnt lgkmcnt(0)
	s_ashr_i32 s98, s2, 2
	v_and_b32_e32 v32, 31, v0
	v_writelane_b32 v254, s8, 17
	s_ashr_i32 s36, s19, 1
	v_mbcnt_lo_u32_b32 v129, -1, 0
	v_writelane_b32 v254, s9, 18
	v_writelane_b32 v254, s0, 19
	s_nop 1
	v_writelane_b32 v254, s1, 20
	s_mov_b32 s1, s3
	v_readlane_b32 s9, v254, 1
	s_abs_i32 s8, s9
	v_cvt_f32_u32_e32 v1, s8
	v_writelane_b32 v254, s0, 21
	s_mov_b32 s3, s7
	v_rcp_iflag_f32_e32 v1, v1
	v_writelane_b32 v254, s1, 22
	s_mov_b64 s[0:1], s[4:5]
	v_writelane_b32 v254, s0, 23
	v_mul_f32_e32 v1, 0x4f7ffffe, v1
	v_cvt_u32_f32_e32 v1, v1
	v_writelane_b32 v254, s1, 24
	v_writelane_b32 v254, s2, 25
	;; [unrolled: 1-line block ×3, first 2 shown]
	s_sub_i32 s3, 0, s8
	v_readfirstlane_b32 s4, v1
	s_mul_i32 s3, s3, s4
	s_ashr_i32 s1, s9, 31
	s_mul_hi_u32 s3, s4, s3
	v_writelane_b32 v254, s1, 27
	s_abs_i32 s1, s46
	s_add_i32 s3, s4, s3
	v_writelane_b32 v254, s3, 28
	s_mul_hi_u32 s3, s1, s3
	s_mul_i32 s3, s3, s8
	s_sub_i32 s1, s1, s3
	s_ashr_i32 s2, s6, 2
	s_ashr_i32 s0, s46, 31
	s_sub_i32 s3, s1, s8
	s_cmp_ge_u32 s1, s8
	s_cselect_b32 s1, s3, s1
	s_sub_i32 s3, s1, s8
	s_cmp_ge_u32 s1, s8
	s_cselect_b32 s1, s3, s1
	v_writelane_b32 v254, s8, 29
	s_xor_b32 s1, s1, s0
	s_sub_i32 s64, s1, s0
	v_readlane_b32 s0, v254, 13
	v_readlane_b32 s1, v254, 14
	v_writelane_b32 v254, s68, 30
	s_mov_b32 s4, s0
	s_sub_i32 s0, s0, s46
	v_writelane_b32 v254, s69, 31
	v_writelane_b32 v254, s70, 32
	;; [unrolled: 1-line block ×8, first 2 shown]
	s_add_i32 s3, s0, s64
	v_writelane_b32 v254, s77, 39
	s_min_i32 s50, s9, s3
	v_writelane_b32 v254, s78, 40
	s_cmp_gt_i32 s4, s46
	v_writelane_b32 v254, s79, 41
	s_cselect_b64 s[38:39], -1, 0
	s_cmp_le_i32 s4, s46
	v_writelane_b32 v254, s80, 42
	s_cselect_b64 s[0:1], -1, 0
	s_cmp_gt_i32 s9, s3
	v_writelane_b32 v254, s81, 43
	s_cselect_b64 s[4:5], -1, 0
	v_writelane_b32 v254, s82, 44
	s_or_b64 s[0:1], s[4:5], s[0:1]
	v_writelane_b32 v254, s83, 45
	s_mov_b64 s[6:7], s[14:15]
	s_mov_b32 s5, s13
	v_writelane_b32 v254, s4, 46
	v_bfe_u32 v1, v0, 5, 5
	s_and_b64 vcc, exec, s[0:1]
	v_writelane_b32 v254, s5, 47
	v_writelane_b32 v254, s6, 48
	;; [unrolled: 1-line block ×4, first 2 shown]
	v_lshl_add_u32 v33, v128, 1, v1
	s_nop 0
	v_writelane_b32 v254, s19, 51
	s_cbranch_vccnz .LBB9_298
; %bb.11:
	s_cmp_lg_u64 s[74:75], 0
	v_writelane_b32 v254, s50, 54
	s_cselect_b64 s[0:1], -1, 0
	v_writelane_b32 v254, s0, 55
	s_cmp_eq_u64 s[76:77], 0
	v_bfe_u32 v1, v0, 3, 7
	v_writelane_b32 v254, s1, 56
	s_mul_i32 s0, s96, s97
	v_writelane_b32 v254, s0, 57
	s_cselect_b64 s[0:1], -1, 0
	v_writelane_b32 v254, s0, 58
	s_cmp_lg_u64 s[78:79], 0
	v_and_b32_e32 v4, 15, v0
	v_writelane_b32 v254, s1, 59
	v_cmp_nle_f32_e64 s[0:1], s13, 0
	v_lshlrev_b32_e32 v6, 2, v1
	v_mul_u32_u24_e32 v5, 0xb0, v4
	v_writelane_b32 v254, s0, 60
	v_and_b32_e32 v7, 0x78, v6
	v_and_b32_e32 v34, 0x3ff, v0
	v_writelane_b32 v254, s1, 61
	s_cselect_b64 s[0:1], -1, 0
	v_writelane_b32 v254, s0, 62
	v_lshlrev_b32_e32 v38, 1, v34
	v_lshl_add_u32 v41, v128, 3, v1
	v_writelane_b32 v254, s1, 63
	s_movk_i32 s0, 0xb00
	v_mad_u32_u24 v3, v128, s0, 0
	v_add3_u32 v130, v3, v5, v7
	v_mul_i32_i24_e32 v5, 0xfffff590, v128
	v_add3_u32 v131, v3, v5, v38
	v_bfe_u32 v5, v0, 1, 9
	s_movk_i32 s25, 0xb0
	v_lshl_add_u32 v132, v128, 5, v5
	v_lshlrev_b32_e32 v5, 2, v34
	v_mad_u32_u24 v133, v41, s25, 0
	v_and_b32_e32 v40, 28, v5
	v_lshlrev_b32_e32 v8, 2, v40
	v_add_u32_e32 v136, 0x1600, v133
	v_and_b32_e32 v48, 4, v5
	v_add_u32_e32 v134, v133, v8
	v_add_u32_e32 v137, v136, v8
	v_mad_u32_u24 v5, v132, s25, 0
	v_lshlrev_b32_e32 v8, 2, v48
	s_movk_i32 s20, 0x80
	v_lshlrev_b32_e32 v3, 4, v128
	v_add3_u32 v139, v5, v8, s20
	v_bfe_u32 v5, v0, 2, 8
	v_readlane_b32 s16, v254, 12
                                        ; implicit-def: $vgpr255 : SGPR spill to VGPR lane
	v_and_b32_e32 v140, 60, v5
	v_or_b32_e32 v8, v4, v3
	s_movk_i32 s10, 0x90
	v_writelane_b32 v255, s54, 0
	s_lshl_b32 s54, s16, 6
	s_ashr_i32 s37, s36, 31
	s_ashr_i32 s99, s98, 31
	;; [unrolled: 1-line block ×3, first 2 shown]
	v_mad_u32_u24 v9, v8, s10, 0
	v_or_b32_e32 v6, 4, v6
	v_add_u32_e32 v143, 16, v140
	v_add_u32_e32 v145, 32, v140
	v_add_u32_e32 v147, 48, v140
	v_lshlrev_b32_e32 v1, 1, v1
	s_lshl_b64 s[16:17], s[54:55], 3
	v_add_u32_e32 v7, 0, v7
	v_lshl_add_u32 v141, v140, 1, v9
	v_add_u32_e32 v142, v9, v6
	v_lshl_add_u32 v144, v143, 1, v9
	v_lshl_add_u32 v146, v145, 1, v9
	;; [unrolled: 1-line block ×3, first 2 shown]
	v_or_b32_e32 v6, 3, v1
	v_or_b32_e32 v9, 2, v1
	v_and_b32_e32 v1, 60, v1
	s_add_u32 s16, s82, s16
	v_readlane_b32 s33, v254, 7
	v_mad_u32_u24 v138, v4, s25, v7
	v_mul_u32_u24_e32 v1, 0xb0, v1
	v_lshlrev_b32_e32 v4, 1, v4
	s_addc_u32 s17, s83, s17
	s_abs_i32 s34, s33
	v_readlane_b32 s31, v254, 6
	v_mul_u32_u24_e32 v9, 0xb0, v9
	v_add3_u32 v149, 0, v1, v4
	v_cvt_f32_u32_e32 v1, s34
	s_abs_i32 s35, s31
	v_add3_u32 v150, 0, v9, v4
	v_cvt_f32_u32_e32 v9, s35
	v_mul_u32_u24_e32 v6, 0xb0, v6
	v_rcp_iflag_f32_e32 v1, v1
	v_add3_u32 v151, 0, v6, v4
	v_rcp_iflag_f32_e32 v6, v9
	v_readlane_b32 s30, v254, 3
	v_or_b32_e32 v4, v3, v34
	v_mul_f32_e32 v1, 0x4f7ffffe, v1
	s_abs_i32 s38, s30
	s_abs_i32 s18, s18
	v_lshlrev_b32_e32 v36, 3, v4
	v_cvt_u32_f32_e32 v1, v1
	v_mul_f32_e32 v4, 0x4f7ffffe, v6
	v_cvt_f32_u32_e32 v6, s38
	v_cvt_f32_u32_e32 v9, s18
	v_cvt_u32_f32_e32 v4, v4
	v_readfirstlane_b32 s26, v1
	v_rcp_iflag_f32_e32 v6, v6
	v_rcp_iflag_f32_e32 v1, v9
	v_readfirstlane_b32 s27, v4
	v_mov_b32_e32 v37, 0
	v_mul_f32_e32 v4, 0x4f7ffffe, v6
	v_mul_f32_e32 v1, 0x4f7ffffe, v1
	v_cvt_u32_f32_e32 v4, v4
	v_cvt_u32_f32_e32 v1, v1
	v_lshl_add_u64 v[52:53], s[16:17], 0, v[36:37]
	s_sub_i32 s16, 0, s18
	v_readfirstlane_b32 s28, v4
	v_mul_lo_u32 v4, s16, v1
	v_and_b32_e32 v30, 7, v0
	v_mul_hi_u32 v4, v1, v4
	v_lshlrev_b32_e32 v2, 2, v30
	v_writelane_b32 v255, s18, 1
	v_add_u32_e32 v152, v1, v4
	v_and_b32_e32 v1, 1, v0
	s_mul_i32 s29, s97, 40
	v_add_u32_e32 v49, 0, v2
	v_lshlrev_b32_e32 v36, 4, v1
	v_mul_u32_u24_e32 v1, 0xb0, v8
	v_add_u32_e32 v155, 16, v33
	v_add_u32_e32 v156, 32, v33
	;; [unrolled: 1-line block ×4, first 2 shown]
	v_writelane_b32 v255, s29, 2
	v_add_u32_e32 v160, v136, v2
	v_and_b32_e32 v2, 15, v33
	s_movk_i32 s29, 0x7f0
	v_add_u32_e32 v154, v7, v1
	v_add_u32_e32 v1, v3, v34
	v_and_or_b32 v3, v155, s29, v2
	v_and_or_b32 v4, v156, s29, v2
	;; [unrolled: 1-line block ×3, first 2 shown]
	v_mad_u32_u24 v153, v8, s25, v7
	v_mad_u32_u24 v161, v3, s25, 0
	v_mad_u32_u24 v162, v4, s25, 0
	v_mad_u32_u24 v163, v2, s25, 0
	v_mad_u32_u24 v165, v33, s25, 0
	s_ashr_i32 s25, s33, 31
	v_writelane_b32 v255, s25, 3
	s_sub_i32 s25, 0, s34
	s_mul_i32 s25, s25, s26
	s_mul_hi_u32 s25, s26, s25
	v_writelane_b32 v255, s34, 4
	s_add_i32 s25, s26, s25
	v_writelane_b32 v255, s25, 5
	s_ashr_i32 s25, s31, 31
	v_mul_u32_u24_e32 v6, 0xb0, v4
	v_mul_u32_u24_e32 v4, 0xb0, v2
	v_lshlrev_b32_e32 v2, 2, v32
	v_writelane_b32 v255, s25, 6
	s_sub_i32 s25, 0, s35
	v_or_b32_e32 v158, 3, v5
	v_mul_u32_u24_e32 v5, 0xb0, v3
	v_add_u32_e32 v3, v162, v2
	s_mul_i32 s25, s25, s27
	scratch_store_dword off, v3, off offset:20 ; 4-byte Folded Spill
	v_add_u32_e32 v3, 0x1b80, v165
	s_mul_hi_u32 s25, s27, s25
	v_add_u32_e32 v3, v3, v2
	v_writelane_b32 v255, s35, 7
	s_add_i32 s25, s27, s25
	scratch_store_dword off, v3, off offset:24 ; 4-byte Folded Spill
	v_add_u32_e32 v3, v163, v2
	v_writelane_b32 v255, s25, 8
	s_ashr_i32 s25, s30, 31
	v_mul_lo_u32 v50, s2, v132
	v_add_u32_e32 v167, 0x580, v165
	v_add_u32_e32 v180, 0x1080, v165
	scratch_store_dword off, v3, off offset:32 ; 4-byte Folded Spill
	v_add_u32_e32 v3, 0x2680, v165
	v_writelane_b32 v255, s25, 9
	s_sub_i32 s25, 0, s38
	v_ashrrev_i32_e32 v51, 31, v50
	v_add_u32_e32 v164, 0, v2
	v_add_u32_e32 v166, v165, v2
	;; [unrolled: 1-line block ×6, first 2 shown]
	s_mul_i32 s25, s25, s28
	v_mul_lo_u32 v46, s98, v132
	scratch_store_dword off, v2, off offset:36 ; 4-byte Folded Spill
	s_mul_hi_u32 s25, s28, s25
	v_lshl_add_u64 v[2:3], v[50:51], 2, v[36:37]
	v_ashrrev_i32_e32 v47, 31, v46
	v_writelane_b32 v255, s38, 10
	s_add_i32 s25, s28, s25
	v_lshl_add_u64 v[2:3], s[72:73], 0, v[2:3]
	s_mov_b64 s[56:57], 0x80
	v_writelane_b32 v255, s25, 11
	v_lshl_add_u64 v[58:59], v[2:3], 0, s[56:57]
	v_lshl_add_u64 v[2:3], v[46:47], 2, v[36:37]
	v_cmp_gt_u32_e64 s[38:39], 16, v34
	v_mul_lo_u32 v42, s98, v41
	v_add_u32_e32 v135, 32, v41
	v_lshl_add_u64 v[2:3], s[70:71], 0, v[2:3]
	v_writelane_b32 v255, s38, 12
	v_lshl_add_u32 v44, s98, 5, v42
	v_mul_lo_u32 v54, s2, v135
	v_mul_lo_u32 v56, s2, v41
	v_lshl_add_u64 v[62:63], v[2:3], 0, s[56:57]
                                        ; implicit-def: $vgpr2
	v_writelane_b32 v255, s39, 13
	s_mov_b32 s38, s36
	s_lshl_b64 s[36:37], s[36:37], 1
	s_mov_b64 s[42:43], src_private_base
	s_mov_b32 s24, 0x10001
	v_ashrrev_i32_e32 v43, 31, v42
	v_ashrrev_i32_e32 v45, 31, v44
	s_movk_i32 s10, 0x100
	s_movk_i32 s12, 0xc0
	v_ashrrev_i32_e32 v55, 31, v54
	v_ashrrev_i32_e32 v57, 31, v56
	v_mul_u32_u24_e32 v1, 0xb0, v1
	v_add_u32_e32 v2, v164, v6
	v_writelane_b32 v254, s38, 52
	v_writelane_b32 v255, s36, 14
	v_cmp_gt_u32_e64 s[0:1], 64, v34
	v_cmp_lt_u32_e64 s[92:93], 63, v34
	v_cmp_gt_u32_e64 s[4:5], 64, v132
	v_cmp_gt_u32_e64 s[6:7], 64, v41
	;; [unrolled: 1-line block ×10, first 2 shown]
	v_mov_b32_e32 v31, v37
	v_mov_b32_e32 v39, v37
	v_lshlrev_b32_e32 v60, 4, v30
	v_mov_b32_e32 v61, v37
	s_mov_b32 s97, 0x42b17218
	s_mov_b32 s42, 0x3fb8aa3b
	;; [unrolled: 1-line block ×3, first 2 shown]
	v_add_u32_e32 v178, v164, v5
	scratch_store_dword off, v2, off offset:16 ; 4-byte Folded Spill
	v_add_u32_e32 v2, v164, v4
	v_add_u32_e32 v181, 0, v1
	v_mov_b32_e32 v174, v37
	v_mov_b32_e32 v175, v37
	;; [unrolled: 1-line block ×4, first 2 shown]
	v_mul_lo_u32 v182, v35, s24
	s_mov_b32 s84, 0xc1a00000
	v_add_u32_e32 v183, 4, v128
	v_add_u32_e32 v184, 0x240, v131
	;; [unrolled: 1-line block ×30, first 2 shown]
	v_mul_u32_u24_e32 v213, 0xb0, v41
	v_add_u32_e32 v214, 18, v140
	v_add_u32_e32 v215, 34, v140
	v_add_u32_e32 v216, 50, v140
	v_or_b32_e32 v217, 1, v140
	v_or_b32_e32 v218, 2, v140
	v_add_u32_e32 v219, 17, v140
	v_add_u32_e32 v220, 19, v140
	;; [unrolled: 1-line block ×6, first 2 shown]
	v_mul_u32_u24_e32 v225, 0xb0, v33
	v_add_u32_e32 v226, 8, v33
	v_add_u32_e32 v227, 24, v33
	v_add_u32_e32 v228, 40, v33
	v_add_u32_e32 v229, 56, v33
	v_mov_b32_e32 v230, 0x7f800000
	v_mov_b32_e32 v231, 0x7fc00000
	v_mbcnt_hi_u32_b32 v232, -1, v129
	v_mov_b32_e32 v233, 0
	v_lshl_add_u64 v[64:65], v[56:57], 2, s[72:73]
	v_lshl_add_u64 v[66:67], v[54:55], 2, s[72:73]
	;; [unrolled: 1-line block ×4, first 2 shown]
	s_mov_b32 s33, 0x5040100
	v_cmp_gt_u32_e64 s[24:25], 30, v140
	v_cmp_gt_u32_e64 s[26:27], 29, v140
	;; [unrolled: 1-line block ×5, first 2 shown]
	v_writelane_b32 v254, s39, 53
	v_writelane_b32 v255, s37, 15
	s_lshl_b64 s[36:37], s[2:3], 8
	s_lshl_b64 s[44:45], s[98:99], 8
	scratch_store_dword off, v2, off offset:28 ; 4-byte Folded Spill
.LBB9_12:                               ; =>This Loop Header: Depth=1
                                        ;     Child Loop BB9_63 Depth 2
                                        ;     Child Loop BB9_210 Depth 2
	s_mov_b32 s40, s46
	v_readlane_b32 s39, v255, 3
	v_writelane_b32 v255, s40, 16
	s_ashr_i32 s38, s46, 31
	s_xor_b32 s38, s38, s39
	v_writelane_b32 v255, s41, 17
	s_abs_i32 s39, s46
	v_readlane_b32 s40, v255, 5
	s_mul_hi_u32 s40, s39, s40
	v_readlane_b32 s47, v255, 4
	s_mul_i32 s41, s40, s47
	s_sub_i32 s39, s39, s41
	s_add_i32 s41, s40, 1
	s_sub_i32 s46, s39, s47
	s_cmp_ge_u32 s39, s47
	s_cselect_b32 s40, s41, s40
	s_cselect_b32 s39, s46, s39
	s_add_i32 s41, s40, 1
	s_cmp_ge_u32 s39, s47
	s_cselect_b32 s39, s41, s40
	s_xor_b32 s39, s39, s38
	s_sub_i32 s50, s39, s38
	v_readlane_b32 s38, v254, 55
	v_readlane_b32 s39, v254, 56
	s_andn2_b64 vcc, exec, s[38:39]
	s_ashr_i32 s52, s50, 31
	s_cbranch_vccnz .LBB9_14
; %bb.13:                               ;   in Loop: Header=BB9_12 Depth=1
	s_abs_i32 s38, s50
	v_mul_hi_u32 v1, s38, v152
	v_readlane_b32 s39, v255, 1
	v_readlane_b32 s68, v254, 30
	;; [unrolled: 1-line block ×3, first 2 shown]
	v_mul_lo_u32 v1, v1, s39
	v_sub_u32_e32 v1, s38, v1
	v_subrev_u32_e32 v2, s39, v1
	v_cmp_le_u32_e32 vcc, s39, v1
	v_readlane_b32 s75, v254, 37
	v_readlane_b32 s69, v254, 31
	v_cndmask_b32_e32 v1, v1, v2, vcc
	v_subrev_u32_e32 v2, s39, v1
	v_cmp_le_u32_e32 vcc, s39, v1
	v_readlane_b32 s38, v254, 19
	v_readlane_b32 s39, v254, 20
	v_cndmask_b32_e32 v1, v1, v2, vcc
	v_xor_b32_e32 v1, s52, v1
	v_subrev_u32_e32 v1, s52, v1
	v_ashrrev_i32_e32 v2, 31, v1
	v_mul_lo_u32 v2, s38, v2
	v_mul_hi_u32 v3, s38, v1
	v_add_u32_e32 v2, v3, v2
	v_mul_lo_u32 v3, s39, v1
	v_add_u32_e32 v3, v2, v3
	v_mul_lo_u32 v2, s38, v1
	v_lshl_add_u64 v[74:75], s[74:75], 0, v[2:3]
	v_readlane_b32 s70, v254, 32
	v_readlane_b32 s71, v254, 33
	;; [unrolled: 1-line block ×12, first 2 shown]
	s_branch .LBB9_15
.LBB9_14:                               ;   in Loop: Header=BB9_12 Depth=1
	v_mov_b64_e32 v[74:75], 0
.LBB9_15:                               ;   in Loop: Header=BB9_12 Depth=1
	v_readlane_b32 s38, v254, 7
	s_mul_i32 s38, s50, s38
	v_readlane_b32 s40, v255, 16
	s_sub_i32 s38, s40, s38
	v_readlane_b32 s41, v255, 17
	s_ashr_i32 s39, s38, 31
	v_readlane_b32 s40, v255, 6
	s_xor_b32 s39, s39, s40
	s_abs_i32 s40, s38
	v_readlane_b32 s41, v255, 8
	s_mul_hi_u32 s41, s40, s41
	v_readlane_b32 s51, v255, 7
	s_mul_i32 s46, s41, s51
	s_sub_i32 s40, s40, s46
	s_add_i32 s46, s41, 1
	s_sub_i32 s47, s40, s51
	s_cmp_ge_u32 s40, s51
	s_cselect_b32 s41, s46, s41
	s_cselect_b32 s40, s47, s40
	s_add_i32 s46, s41, 1
	s_cmp_ge_u32 s40, s51
	s_cselect_b32 s40, s46, s41
	s_xor_b32 s40, s40, s39
	s_sub_i32 s58, s40, s39
	v_readlane_b32 s39, v254, 6
	s_mul_i32 s39, s58, s39
	s_sub_i32 s47, s38, s39
	s_ashr_i32 s38, s47, 31
	v_readlane_b32 s39, v255, 9
	s_xor_b32 s38, s38, s39
	s_abs_i32 s39, s47
	v_readlane_b32 s40, v255, 11
	s_mul_hi_u32 s40, s39, s40
	v_readlane_b32 s51, v255, 10
	s_mul_i32 s41, s40, s51
	s_sub_i32 s39, s39, s41
	s_add_i32 s41, s40, 1
	s_sub_i32 s46, s39, s51
	s_cmp_ge_u32 s39, s51
	s_cselect_b32 s40, s41, s40
	s_cselect_b32 s39, s46, s39
	s_add_i32 s41, s40, 1
	s_cmp_ge_u32 s39, s51
	s_cselect_b32 s39, s41, s40
	s_xor_b32 s39, s39, s38
	s_sub_i32 s51, s39, s38
	v_readlane_b32 s38, v254, 2
	s_mul_i32 s38, s58, s38
	s_add_i32 s46, s38, s51
	v_readlane_b32 s38, v254, 60
	v_readlane_b32 s39, v254, 61
	s_andn2_b64 vcc, exec, s[38:39]
	v_mov_b32_e32 v72, 1.0
	s_cbranch_vccnz .LBB9_17
; %bb.16:                               ;   in Loop: Header=BB9_12 Depth=1
	v_readlane_b32 s38, v254, 16
	v_readlane_b32 s60, v254, 46
	;; [unrolled: 1-line block ×3, first 2 shown]
	v_mov_b32_e32 v1, s38
	v_readlane_b32 s63, v254, 49
	v_sub_co_u32_e32 v1, vcc, s46, v1
	s_nop 0
	v_mov_b32_e32 v2, s63
	v_mov_b32_e32 v3, s62
	s_add_i32 s38, s46, 1
	v_lshlrev_b32_e32 v1, 1, v1
	v_cndmask_b32_e32 v2, v2, v3, vcc
	v_or_b32_e32 v1, 1, v1
	v_mov_b32_e32 v3, s38
	v_cndmask_b32_e32 v1, v1, v3, vcc
	v_cvt_f32_i32_e32 v1, v1
	v_cmp_neq_f32_e32 vcc, 1.0, v2
	s_mov_b32 s38, 0x3f2aaaab
	s_movk_i32 s40, 0x204
	v_cndmask_b32_e32 v1, 1.0, v1, vcc
	v_cmp_neq_f32_e32 vcc, 0, v1
	s_brev_b32 s54, -2
	v_readlane_b32 s61, v254, 47
	v_cndmask_b32_e32 v18, 1.0, v2, vcc
	v_frexp_mant_f32_e64 v2, |v18|
	v_cmp_gt_f32_e32 vcc, s38, v2
	s_mov_b32 s38, 0x3f317218
	v_cmp_class_f32_e64 s[60:61], v18, s40
	v_cndmask_b32_e64 v3, 1.0, 2.0, vcc
	v_mul_f32_e32 v2, v2, v3
	v_add_f32_e32 v5, 1.0, v2
	v_rcp_f32_e32 v10, v5
	v_add_f32_e32 v3, -1.0, v5
	v_sub_f32_e32 v7, v2, v3
	v_add_f32_e32 v3, -1.0, v2
	v_mul_f32_e32 v11, v3, v10
	v_mul_f32_e32 v4, v5, v11
	v_fma_f32 v6, v11, v5, -v4
	v_fmac_f32_e32 v6, v11, v7
	v_add_f32_e32 v2, v4, v6
	v_sub_f32_e32 v5, v3, v2
	v_pk_add_f32 v[8:9], v[2:3], v[4:5] neg_lo:[0,1] neg_hi:[0,1]
	v_mov_b32_e32 v7, v2
	v_pk_add_f32 v[2:3], v[8:9], v[6:7] neg_lo:[0,1] neg_hi:[0,1]
	v_mov_b32_e32 v6, 0x3e91f4c4
	v_add_f32_e32 v2, v2, v3
	v_add_f32_e32 v2, v5, v2
	v_mul_f32_e32 v3, v10, v2
	v_add_f32_e32 v2, v11, v3
	v_sub_f32_e32 v4, v2, v11
	v_sub_f32_e32 v12, v3, v4
	v_mul_f32_e32 v3, v2, v2
	v_fma_f32 v5, v2, v2, -v3
	v_add_f32_e32 v4, v12, v12
	v_fmac_f32_e32 v5, v2, v4
	v_add_f32_e32 v4, v3, v5
	v_fmamk_f32 v6, v4, 0x3e76c4e1, v6
	v_fmaak_f32 v6, v4, v6, 0x3ecccdef
	v_sub_f32_e32 v3, v4, v3
	v_sub_f32_e32 v13, v5, v3
	v_mul_f32_e32 v3, v4, v6
	v_fma_f32 v5, v4, v6, -v3
	v_fmac_f32_e32 v5, v13, v6
	v_add_f32_e32 v6, v3, v5
	v_add_f32_e32 v7, 0x3f2aaaaa, v6
	v_sub_f32_e32 v3, v6, v3
	v_sub_f32_e32 v3, v5, v3
	v_add_f32_e32 v5, 0xbf2aaaaa, v7
	v_add_f32_e32 v3, 0x31739010, v3
	v_sub_f32_e32 v5, v6, v5
	v_pk_mul_f32 v[8:9], v[2:3], v[4:5]
	v_pk_add_f32 v[10:11], v[2:3], v[4:5]
	v_fma_f32 v6, v4, v2, -v8
	v_fmac_f32_e32 v6, v4, v12
	v_mov_b32_e32 v9, v11
	v_fmac_f32_e32 v6, v13, v2
	v_pk_add_f32 v[4:5], v[8:9], v[6:7]
	v_ldexp_f32 v14, v12, 1
	v_sub_f32_e32 v3, v4, v8
	v_sub_f32_e32 v3, v6, v3
	;; [unrolled: 1-line block ×3, first 2 shown]
	v_add_f32_e32 v10, v11, v6
	v_pk_mul_f32 v[6:7], v[4:5], v[4:5] op_sel:[0,1] op_sel_hi:[1,0]
	v_cvt_f64_f32_e64 v[8:9], |v18|
	v_frexp_exp_i32_f64_e32 v7, v[8:9]
	v_subbrev_co_u32_e32 v7, vcc, 0, v7, vcc
	v_cvt_f32_i32_e32 v7, v7
	v_fma_f32 v8, v4, v5, -v6
	v_fmac_f32_e32 v8, v4, v10
	v_fmac_f32_e32 v8, v3, v5
	v_mul_f32_e32 v4, 0x3f317218, v7
	v_fma_f32 v10, v7, s38, -v4
	v_fmac_f32_e32 v10, 0xb102e308, v7
	v_ldexp_f32 v11, v2, 1
	v_add_f32_e32 v5, v6, v8
	v_pk_add_f32 v[2:3], v[4:5], v[10:11]
	v_mov_b32_e32 v12, v5
	v_mov_b32_e32 v13, v3
	v_mov_b32_e32 v7, v11
	v_pk_add_f32 v[6:7], v[12:13], v[6:7] neg_lo:[0,1] neg_hi:[0,1]
	v_mov_b32_e32 v9, v5
	v_pk_add_f32 v[6:7], v[8:9], v[6:7] neg_lo:[0,1] neg_hi:[0,1]
	v_mov_b32_e32 v11, v2
	v_add_f32_e32 v5, v14, v6
	v_add_f32_e32 v5, v5, v7
	v_pk_add_f32 v[6:7], v[2:3], v[4:5] neg_lo:[0,1] neg_hi:[0,1]
	v_pk_add_f32 v[8:9], v[2:3], v[4:5]
	v_mov_b32_e32 v16, v3
	v_mov_b32_e32 v7, v9
	v_pk_add_f32 v[12:13], v[10:11], v[6:7] neg_lo:[0,1] neg_hi:[0,1]
	v_pk_add_f32 v[6:7], v[10:11], v[6:7]
	v_mov_b32_e32 v4, v5
	v_pk_add_f32 v[10:11], v[6:7], v[2:3] op_sel:[1,0] op_sel_hi:[0,1] neg_lo:[0,1] neg_hi:[0,1]
	v_pk_add_f32 v[14:15], v[8:9], v[10:11] op_sel_hi:[1,0] neg_lo:[0,1] neg_hi:[0,1]
	v_mov_b32_e32 v8, v9
	v_mov_b32_e32 v9, v7
	;; [unrolled: 1-line block ×3, first 2 shown]
	v_pk_add_f32 v[8:9], v[8:9], v[16:17] neg_lo:[0,1] neg_hi:[0,1]
	v_mov_b32_e32 v5, v2
	v_pk_add_f32 v[2:3], v[4:5], v[8:9] neg_lo:[0,1] neg_hi:[0,1]
	v_mov_b32_e32 v14, v12
	v_pk_add_f32 v[4:5], v[14:15], v[2:3]
	v_mov_b32_e32 v13, v7
	v_pk_add_f32 v[8:9], v[4:5], v[4:5] op_sel:[0,1] op_sel_hi:[1,0]
	s_mov_b32 s38, 0x7f800000
	v_pk_add_f32 v[6:7], v[6:7], v[8:9] op_sel:[1,0] op_sel_hi:[0,1]
	v_mov_b32_e32 v5, v6
	v_pk_add_f32 v[10:11], v[4:5], v[12:13] neg_lo:[0,1] neg_hi:[0,1]
	v_mov_b32_e32 v3, v8
	v_sub_f32_e32 v4, v4, v10
	v_pk_add_f32 v[2:3], v[2:3], v[10:11] neg_lo:[0,1] neg_hi:[0,1]
	v_sub_f32_e32 v4, v12, v4
	v_add_f32_e32 v2, v2, v4
	v_add_f32_e32 v2, v2, v3
	;; [unrolled: 1-line block ×3, first 2 shown]
	v_sub_f32_e32 v4, v3, v6
	v_sub_f32_e32 v2, v2, v4
	v_mul_f32_e32 v4, v1, v3
	v_fma_f32 v3, v1, v3, -v4
	v_fmac_f32_e32 v3, v1, v2
	v_add_f32_e32 v2, v4, v3
	v_cmp_class_f32_e64 vcc, v4, s40
	v_sub_f32_e32 v5, v2, v4
	v_sub_f32_e32 v3, v3, v5
	v_cndmask_b32_e32 v2, v2, v4, vcc
	v_cmp_eq_f32_e32 vcc, s97, v2
	v_mov_b32_e32 v4, 0x37000000
	s_nop 0
	v_cndmask_b32_e32 v4, 0, v4, vcc
	v_sub_f32_e32 v5, v2, v4
	v_mul_f32_e32 v6, 0x3fb8aa3b, v5
	v_fma_f32 v7, v5, s42, -v6
	v_rndne_f32_e32 v8, v6
	v_fmac_f32_e32 v7, 0x32a5705f, v5
	v_sub_f32_e32 v6, v6, v8
	v_add_f32_e32 v6, v6, v7
	v_exp_f32_e32 v6, v6
	v_cvt_i32_f32_e32 v7, v8
	v_cmp_neq_f32_e64 vcc, |v2|, s38
	s_nop 1
	v_cndmask_b32_e32 v2, 0, v3, vcc
	v_ldexp_f32 v3, v6, v7
	v_cmp_ngt_f32_e32 vcc, s53, v5
	v_add_f32_e32 v2, v4, v2
	s_nop 0
	v_cndmask_b32_e32 v3, 0, v3, vcc
	v_cmp_nlt_f32_e32 vcc, s97, v5
	s_nop 1
	v_cndmask_b32_e32 v3, v230, v3, vcc
	v_fma_f32 v2, v3, v2, v3
	v_cmp_class_f32_e64 vcc, v3, s40
	v_cmp_gt_f32_e64 s[40:41], 0, v1
	s_nop 0
	v_cndmask_b32_e32 v2, v2, v3, vcc
	v_trunc_f32_e32 v3, v1
	v_cmp_eq_f32_e32 vcc, v3, v1
	v_mul_f32_e32 v3, 0.5, v1
	v_trunc_f32_e32 v4, v3
	v_cmp_neq_f32_e64 s[38:39], v4, v3
	s_and_b64 s[38:39], vcc, s[38:39]
	s_nop 0
	v_cndmask_b32_e64 v3, 1.0, v18, s[38:39]
	v_bfi_b32 v2, s54, v2, v3
	v_cndmask_b32_e32 v3, v231, v2, vcc
	v_cmp_gt_f32_e32 vcc, 0, v18
	s_nop 1
	v_cndmask_b32_e32 v2, v2, v3, vcc
	v_cmp_eq_f32_e32 vcc, 0, v18
	s_xor_b64 s[40:41], s[40:41], vcc
	v_cndmask_b32_e64 v1, v230, 0, s[40:41]
	v_cndmask_b32_e64 v3, 0, v18, s[38:39]
	v_bfi_b32 v1, s54, v1, v3
	s_or_b64 vcc, vcc, s[60:61]
	v_cndmask_b32_e32 v1, v2, v1, vcc
	v_cmp_o_f32_e32 vcc, v18, v18
	s_nop 1
	v_cndmask_b32_e32 v72, v231, v1, vcc
.LBB9_17:                               ;   in Loop: Header=BB9_12 Depth=1
	v_readlane_b32 s38, v254, 3
	s_mul_i32 s51, s51, s38
	s_sub_i32 s38, s47, s51
	s_ashr_i32 s39, s38, 31
	v_readlane_b32 s40, v254, 27
	s_xor_b32 s39, s39, s40
	s_abs_i32 s38, s38
	v_readlane_b32 s40, v254, 28
	s_mul_hi_u32 s40, s38, s40
	v_readlane_b32 s51, v254, 29
	s_mul_i32 s41, s40, s51
	s_sub_i32 s38, s38, s41
	s_add_i32 s41, s40, 1
	s_sub_i32 s47, s38, s51
	s_cmp_ge_u32 s38, s51
	s_cselect_b32 s40, s41, s40
	s_cselect_b32 s38, s47, s38
	s_add_i32 s41, s40, 1
	s_cmp_ge_u32 s38, s51
	s_cselect_b32 s38, s41, s40
	v_readlane_b32 s40, v254, 62
	s_xor_b32 s38, s38, s39
	v_readlane_b32 s41, v254, 63
	s_andn2_b64 vcc, exec, s[40:41]
	s_sub_i32 s59, s38, s39
	s_cbranch_vccnz .LBB9_19
; %bb.18:                               ;   in Loop: Header=BB9_12 Depth=1
	v_readlane_b32 s38, v254, 0
	s_mul_i32 s38, s50, s38
	s_add_i32 s38, s59, s38
	s_ashr_i32 s39, s38, 31
	v_readlane_b32 s68, v254, 30
	s_lshl_b64 s[38:39], s[38:39], 2
	v_readlane_b32 s78, v254, 40
	v_readlane_b32 s79, v254, 41
	s_add_u32 s38, s78, s38
	s_addc_u32 s39, s79, s39
	global_load_dword v1, v37, s[38:39]
	v_readlane_b32 s69, v254, 31
	v_readlane_b32 s70, v254, 32
	;; [unrolled: 1-line block ×13, first 2 shown]
	s_waitcnt vmcnt(0)
	v_readfirstlane_b32 s38, v1
	s_ashr_i32 s39, s38, 31
	s_lshr_b32 s39, s39, 26
	s_add_i32 s38, s38, s39
	s_ashr_i32 s38, s38, 6
	v_readlane_b32 s39, v254, 54
	s_min_i32 s39, s39, s38
	s_nop 0
	v_writelane_b32 v254, s39, 54
	s_branch .LBB9_20
.LBB9_19:                               ;   in Loop: Header=BB9_12 Depth=1
	v_readlane_b32 s68, v254, 30
	v_readlane_b32 s69, v254, 31
	;; [unrolled: 1-line block ×16, first 2 shown]
.LBB9_20:                               ;   in Loop: Header=BB9_12 Depth=1
	v_readlane_b32 s38, v254, 57
	s_mul_i32 s38, s38, s50
	s_add_i32 s38, s46, s38
	s_mul_i32 s54, s38, 40
	s_lshl_b64 s[38:39], s[54:55], 3
	s_add_u32 s38, s80, s38
	s_addc_u32 s39, s81, s39
	v_writelane_b32 v255, s38, 18
	v_readlane_b32 s40, v254, 17
	v_readlane_b32 s41, v254, 18
	v_writelane_b32 v255, s39, 19
	s_mul_i32 s38, s40, s52
	s_mul_hi_u32 s39, s40, s50
	s_add_i32 s38, s39, s38
	s_mul_i32 s39, s41, s50
	v_readlane_b32 s60, v254, 23
	s_add_i32 s39, s38, s39
	s_mul_i32 s38, s40, s50
	v_readlane_b32 s63, v254, 26
	v_writelane_b32 v255, s38, 20
	s_add_u32 s38, s72, s38
	s_mul_i32 s40, s58, s63
	v_writelane_b32 v255, s39, 21
	s_addc_u32 s39, s73, s39
	s_ashr_i32 s41, s40, 31
	v_writelane_b32 v255, s40, 22
	s_add_u32 s51, s38, s40
	v_writelane_b32 v255, s41, 23
	s_addc_u32 s38, s39, s41
	s_ashr_i32 s47, s46, 31
	v_writelane_b32 v255, s38, 24
	s_lshl_b64 s[38:39], s[46:47], 2
	s_add_u32 s40, s76, s38
	s_addc_u32 s41, s77, s39
	v_readlane_b32 s38, v254, 58
	v_readlane_b32 s39, v254, 59
	s_and_b64 s[38:39], s[38:39], exec
	s_cselect_b32 s73, 0, s41
	s_cselect_b32 s72, 0, s40
	v_readlane_b32 s40, v254, 10
	v_readlane_b32 s41, v254, 11
	s_mul_i32 s38, s50, s41
	s_ashr_i32 s39, s38, 31
	s_add_u32 s38, s68, s38
	s_mul_i32 s40, s46, s40
	s_addc_u32 s39, s69, s39
	s_ashr_i32 s41, s40, 31
	s_add_u32 s46, s38, s40
	v_readlane_b32 s61, v254, 24
	s_addc_u32 s47, s39, s41
	s_mul_i32 s38, s60, s52
	s_mul_hi_u32 s39, s60, s50
	s_add_i32 s38, s39, s38
	s_mul_i32 s39, s61, s50
	s_add_i32 s39, s38, s39
	s_mul_i32 s38, s60, s50
	v_readlane_b32 s40, v254, 21
	v_writelane_b32 v255, s38, 25
	v_readlane_b32 s41, v254, 22
	s_add_u32 s38, s70, s38
	v_writelane_b32 v255, s39, 26
	s_mul_i32 s40, s58, s41
	s_addc_u32 s39, s71, s39
	s_ashr_i32 s41, s40, 31
	v_writelane_b32 v255, s40, 27
	v_writelane_b32 v255, s41, 28
	s_add_u32 s52, s38, s40
	v_writelane_b32 v255, s72, 29
	s_addc_u32 s50, s39, s41
	s_cmp_lg_u32 s64, 0
	v_writelane_b32 v255, s73, 30
	v_writelane_b32 v255, s59, 31
	v_readlane_b32 s62, v254, 25
	s_cbranch_scc0 .LBB9_81
; %bb.21:                               ;   in Loop: Header=BB9_12 Depth=1
	s_lshl_b32 s65, s59, 6
	v_add_u32_e32 v126, s65, v33
	v_cmp_gt_i32_e64 s[38:39], s96, v126
	v_cmp_le_i32_e32 vcc, s96, v126
	s_nop 0
	v_writelane_b32 v255, s38, 35
	s_nop 1
	v_writelane_b32 v255, s39, 36
	s_and_saveexec_b64 s[38:39], vcc
	s_xor_b64 s[38:39], exec, s[38:39]
; %bb.22:                               ;   in Loop: Header=BB9_12 Depth=1
	v_add_u32_e32 v1, v164, v225
	ds_write_b32 v1, v37
; %bb.23:                               ;   in Loop: Header=BB9_12 Depth=1
	s_or_saveexec_b64 s[38:39], s[38:39]
	v_readlane_b32 s54, v255, 0
	v_readlane_b32 s67, v255, 24
	s_xor_b64 exec, exec, s[38:39]
	s_cbranch_execz .LBB9_25
; %bb.24:                               ;   in Loop: Header=BB9_12 Depth=1
	v_mad_u64_u32 v[2:3], s[40:41], v126, s54, v[32:33]
	v_ashrrev_i32_e32 v3, 31, v2
	v_lshl_add_u64 v[2:3], v[2:3], 3, s[46:47]
	global_load_dwordx2 v[2:3], v[2:3], off
	s_waitcnt vmcnt(0)
	v_cvt_pk_f16_f32 v1, v2, v3
	v_pk_mul_f16 v1, v1, v182
	v_add_u32_e32 v2, v164, v225
	ds_write_b32 v2, v1
.LBB9_25:                               ;   in Loop: Header=BB9_12 Depth=1
	s_or_b64 exec, exec, s[38:39]
	v_add_u32_e32 v125, s65, v226
	v_cmp_gt_i32_e64 s[38:39], s96, v125
	v_cmp_le_i32_e32 vcc, s96, v125
	s_nop 0
	v_writelane_b32 v255, s38, 37
	s_nop 1
	v_writelane_b32 v255, s39, 38
	s_and_saveexec_b64 s[38:39], vcc
	s_xor_b64 s[38:39], exec, s[38:39]
; %bb.26:                               ;   in Loop: Header=BB9_12 Depth=1
	v_add_u32_e32 v1, v164, v225
	ds_write_b32 v1, v37 offset:1408
; %bb.27:                               ;   in Loop: Header=BB9_12 Depth=1
	s_andn2_saveexec_b64 s[38:39], s[38:39]
	s_cbranch_execz .LBB9_29
; %bb.28:                               ;   in Loop: Header=BB9_12 Depth=1
	v_mad_u64_u32 v[2:3], s[40:41], v125, s54, v[32:33]
	v_ashrrev_i32_e32 v3, 31, v2
	v_lshl_add_u64 v[2:3], v[2:3], 3, s[46:47]
	global_load_dwordx2 v[2:3], v[2:3], off
	s_waitcnt vmcnt(0)
	v_cvt_pk_f16_f32 v1, v2, v3
	v_pk_mul_f16 v1, v1, v182
	v_add_u32_e32 v2, v164, v225
	ds_write_b32 v2, v1 offset:1408
.LBB9_29:                               ;   in Loop: Header=BB9_12 Depth=1
	s_or_b64 exec, exec, s[38:39]
	v_add_u32_e32 v124, s65, v155
	v_cmp_gt_i32_e64 s[38:39], s96, v124
	v_cmp_le_i32_e32 vcc, s96, v124
	s_nop 0
	v_writelane_b32 v255, s38, 39
	s_nop 1
	v_writelane_b32 v255, s39, 40
	s_and_saveexec_b64 s[38:39], vcc
	s_xor_b64 s[38:39], exec, s[38:39]
; %bb.30:                               ;   in Loop: Header=BB9_12 Depth=1
	v_add_u32_e32 v1, v164, v225
	ds_write_b32 v1, v37 offset:2816
; %bb.31:                               ;   in Loop: Header=BB9_12 Depth=1
	s_andn2_saveexec_b64 s[38:39], s[38:39]
	s_cbranch_execz .LBB9_33
; %bb.32:                               ;   in Loop: Header=BB9_12 Depth=1
	v_mad_u64_u32 v[2:3], s[40:41], v124, s54, v[32:33]
	v_ashrrev_i32_e32 v3, 31, v2
	v_lshl_add_u64 v[2:3], v[2:3], 3, s[46:47]
	global_load_dwordx2 v[2:3], v[2:3], off
	s_waitcnt vmcnt(0)
	v_cvt_pk_f16_f32 v1, v2, v3
	v_pk_mul_f16 v1, v1, v182
	v_add_u32_e32 v2, v164, v225
	ds_write_b32 v2, v1 offset:2816
.LBB9_33:                               ;   in Loop: Header=BB9_12 Depth=1
	;; [unrolled: 27-line block ×7, first 2 shown]
	s_or_b64 exec, exec, s[38:39]
	v_add_u32_e32 v119, s65, v41
	v_cmp_gt_i32_e64 s[38:39], s96, v119
	v_cmp_le_i32_e32 vcc, s96, v119
	s_nop 0
	v_writelane_b32 v255, s38, 33
	s_nop 1
	v_writelane_b32 v255, s39, 34
	s_and_saveexec_b64 s[38:39], vcc
	s_xor_b64 s[38:39], exec, s[38:39]
; %bb.54:                               ;   in Loop: Header=BB9_12 Depth=1
	ds_write_b32 v159, v37 offset:128
; %bb.55:                               ;   in Loop: Header=BB9_12 Depth=1
	s_andn2_saveexec_b64 s[38:39], s[38:39]
	s_cbranch_execz .LBB9_57
; %bb.56:                               ;   in Loop: Header=BB9_12 Depth=1
	v_mul_lo_u32 v2, v119, s54
	v_ashrrev_i32_e32 v3, 31, v2
	v_lshl_add_u64 v[2:3], v[2:3], 0, v[30:31]
	v_lshl_add_u64 v[2:3], v[2:3], 3, s[46:47]
	global_load_dwordx2 v[2:3], v[2:3], off offset:256
	s_waitcnt vmcnt(0)
	v_cvt_pk_f16_f32 v1, v2, v3
	v_pk_mul_f16 v1, v1, v182
	v_add_u32_e32 v2, v49, v213
	ds_write_b32 v2, v1 offset:128
.LBB9_57:                               ;   in Loop: Header=BB9_12 Depth=1
	s_or_b64 exec, exec, s[38:39]
	v_add_u32_e32 v234, s65, v135
	v_cmp_gt_i32_e64 s[38:39], s96, v234
	v_cmp_le_i32_e32 vcc, s96, v234
	s_nop 0
	v_writelane_b32 v255, s38, 51
	s_nop 1
	v_writelane_b32 v255, s39, 52
	s_and_saveexec_b64 s[38:39], vcc
	s_xor_b64 s[38:39], exec, s[38:39]
; %bb.58:                               ;   in Loop: Header=BB9_12 Depth=1
	ds_write_b32 v160, v37 offset:128
; %bb.59:                               ;   in Loop: Header=BB9_12 Depth=1
	s_andn2_saveexec_b64 s[38:39], s[38:39]
	s_cbranch_execz .LBB9_61
; %bb.60:                               ;   in Loop: Header=BB9_12 Depth=1
	v_mul_lo_u32 v2, v234, s54
	v_ashrrev_i32_e32 v3, 31, v2
	v_lshl_add_u64 v[2:3], v[2:3], 0, v[30:31]
	v_lshl_add_u64 v[2:3], v[2:3], 3, s[46:47]
	global_load_dwordx2 v[2:3], v[2:3], off offset:256
	s_waitcnt vmcnt(0)
	v_cvt_pk_f16_f32 v1, v2, v3
	v_pk_mul_f16 v1, v1, v182
	v_add_u32_e32 v2, v49, v213
	ds_write_b32 v2, v1 offset:5760
.LBB9_61:                               ;   in Loop: Header=BB9_12 Depth=1
	s_or_b64 exec, exec, s[38:39]
	s_waitcnt lgkmcnt(0)
	s_barrier
	ds_read2_b64 v[6:9], v130 offset1:4
	ds_read2_b64 v[2:5], v130 offset0:8 offset1:12
	ds_read_b64 v[76:77], v130 offset:128
	v_readlane_b32 s38, v254, 54
	s_add_i32 s66, s38, -1
	s_cmp_ge_i32 s64, s66
	s_waitcnt lgkmcnt(0)
	s_barrier
	s_cbranch_scc1 .LBB9_83
; %bb.62:                               ;   in Loop: Header=BB9_12 Depth=1
	v_add_u32_e32 v1, s65, v128
	v_mul_hi_u32 v10, s48, v1
	v_add_u32_e32 v10, v1, v10
	v_lshrrev_b32_e32 v10, s49, v10
	v_mul_lo_u32 v10, v10, s96
	v_sub_u32_e32 v1, v1, v10
	v_readlane_b32 s40, v254, 52
	v_lshlrev_b32_e32 v36, 1, v34
	v_cmp_ne_u64_e64 s[58:59], 0, v[74:75]
	v_mad_i64_i32 v[80:81], s[38:39], v1, s40, 0
	v_add_u32_e32 v1, s65, v183
	v_mul_hi_u32 v10, s48, v1
	v_add_u32_e32 v10, v1, v10
	v_lshrrev_b32_e32 v10, s49, v10
	v_mul_lo_u32 v10, v10, s96
	v_sub_u32_e32 v1, v1, v10
	v_mad_i64_i32 v[82:83], s[38:39], v1, s40, 0
	v_add_u32_e32 v1, s65, v185
	v_mul_hi_u32 v10, s48, v1
	v_add_u32_e32 v10, v1, v10
	v_lshrrev_b32_e32 v10, s49, v10
	v_mul_lo_u32 v10, v10, s96
	v_sub_u32_e32 v1, v1, v10
	;; [unrolled: 7-line block ×15, first 2 shown]
	v_mad_i64_i32 v[110:111], s[38:39], v1, s40, 0
	v_and_b32_e32 v1, 64, v232
	v_add_u32_e32 v1, 64, v1
	v_xor_b32_e32 v10, 32, v232
	v_cmp_lt_i32_e32 vcc, v10, v1
	v_lshl_add_u64 v[78:79], v[74:75], 0, v[36:37]
	v_mov_b32_e32 v112, v72
	v_cndmask_b32_e32 v10, v232, v10, vcc
	v_lshlrev_b32_e32 v235, 2, v10
	v_xor_b32_e32 v10, 16, v232
	v_cmp_lt_i32_e32 vcc, v10, v1
	v_mov_b32_e32 v113, v72
	s_lshl_b32 s62, s64, 6
	v_cndmask_b32_e32 v1, v232, v10, vcc
	v_lshlrev_b32_e32 v236, 2, v1
	v_mov_b32_e32 v27, 0
	v_mov_b32_e32 v240, 0xfeffffff
	;; [unrolled: 1-line block ×12, first 2 shown]
	v_readlane_b32 s41, v254, 53
.LBB9_63:                               ;   Parent Loop BB9_12 Depth=1
                                        ; =>  This Inner Loop Header: Depth=2
	v_cndmask_b32_e64 v1, 0, 1, s[58:59]
	v_cmp_ne_u32_e64 s[60:61], 1, v1
	s_andn2_b64 vcc, exec, s[58:59]
	s_ashr_i32 s63, s62, 31
	s_cbranch_vccnz .LBB9_73
; %bb.64:                               ;   in Loop: Header=BB9_63 Depth=2
	s_and_saveexec_b64 s[38:39], s[92:93]
	s_xor_b64 s[38:39], exec, s[38:39]
	s_cbranch_execz .LBB9_66
; %bb.65:                               ;   in Loop: Header=BB9_63 Depth=2
	ds_write_b16 v131, v37 offset:11264
	ds_write_b16 v184, v37 offset:11264
	;; [unrolled: 1-line block ×4, first 2 shown]
.LBB9_66:                               ;   in Loop: Header=BB9_63 Depth=2
	s_or_saveexec_b64 s[40:41], s[38:39]
	v_lshl_add_u64 v[10:11], s[62:63], 1, v[78:79]
	v_mov_b32_e32 v1, 0
	v_mov_b32_e32 v12, 0
	;; [unrolled: 1-line block ×4, first 2 shown]
	s_xor_b64 exec, exec, s[40:41]
	s_cbranch_execz .LBB9_68
; %bb.67:                               ;   in Loop: Header=BB9_63 Depth=2
	v_lshl_add_u64 v[12:13], v[80:81], 1, v[10:11]
	global_load_ushort v1, v[12:13], off
	v_lshl_add_u64 v[12:13], v[82:83], 1, v[10:11]
	global_load_ushort v14, v[12:13], off
	;; [unrolled: 2-line block ×4, first 2 shown]
	s_waitcnt vmcnt(3)
	ds_write_b16 v131, v1 offset:11264
	s_waitcnt vmcnt(2)
	ds_write_b16 v184, v14 offset:11264
	;; [unrolled: 2-line block ×4, first 2 shown]
	v_lshl_add_u64 v[12:13], v[88:89], 1, v[10:11]
	global_load_ushort v1, v[12:13], off
	v_lshl_add_u64 v[12:13], v[90:91], 1, v[10:11]
	v_lshl_add_u64 v[14:15], v[92:93], 1, v[10:11]
	global_load_ushort v12, v[12:13], off
	s_nop 0
	global_load_ushort v13, v[14:15], off
	v_lshl_add_u64 v[14:15], v[94:95], 1, v[10:11]
	global_load_ushort v14, v[14:15], off
.LBB9_68:                               ;   in Loop: Header=BB9_63 Depth=2
	s_or_b64 exec, exec, s[40:41]
	s_waitcnt vmcnt(3)
	ds_write_b16 v190, v1 offset:11264
	s_waitcnt vmcnt(2)
	ds_write_b16 v192, v12 offset:11264
	;; [unrolled: 2-line block ×4, first 2 shown]
	s_and_saveexec_b64 s[38:39], s[92:93]
	s_xor_b64 s[38:39], exec, s[38:39]
	s_cbranch_execz .LBB9_70
; %bb.69:                               ;   in Loop: Header=BB9_63 Depth=2
	ds_write_b16 v198, v37 offset:11264
	ds_write_b16 v200, v37 offset:11264
	ds_write_b16 v202, v37 offset:11264
	ds_write_b16 v204, v37 offset:11264
                                        ; implicit-def: $vgpr10_vgpr11
.LBB9_70:                               ;   in Loop: Header=BB9_63 Depth=2
	s_or_saveexec_b64 s[40:41], s[38:39]
	v_mov_b32_e32 v1, 0
	v_mov_b32_e32 v12, 0
	;; [unrolled: 1-line block ×4, first 2 shown]
	s_xor_b64 exec, exec, s[40:41]
	s_cbranch_execz .LBB9_72
; %bb.71:                               ;   in Loop: Header=BB9_63 Depth=2
	v_lshl_add_u64 v[12:13], v[96:97], 1, v[10:11]
	global_load_ushort v1, v[12:13], off
	v_lshl_add_u64 v[12:13], v[98:99], 1, v[10:11]
	global_load_ushort v14, v[12:13], off
	;; [unrolled: 2-line block ×4, first 2 shown]
	s_waitcnt vmcnt(3)
	ds_write_b16 v198, v1 offset:11264
	s_waitcnt vmcnt(2)
	ds_write_b16 v200, v14 offset:11264
	;; [unrolled: 2-line block ×4, first 2 shown]
	v_lshl_add_u64 v[12:13], v[104:105], 1, v[10:11]
	global_load_ushort v1, v[12:13], off
	v_lshl_add_u64 v[12:13], v[106:107], 1, v[10:11]
	v_lshl_add_u64 v[14:15], v[108:109], 1, v[10:11]
	;; [unrolled: 1-line block ×3, first 2 shown]
	global_load_ushort v12, v[12:13], off
	s_nop 0
	global_load_ushort v13, v[14:15], off
	s_nop 0
	global_load_ushort v14, v[10:11], off
.LBB9_72:                               ;   in Loop: Header=BB9_63 Depth=2
	s_or_b64 exec, exec, s[40:41]
	s_waitcnt vmcnt(3)
	ds_write_b16 v206, v1 offset:11264
	s_waitcnt vmcnt(2)
	ds_write_b16 v208, v12 offset:11264
	;; [unrolled: 2-line block ×4, first 2 shown]
.LBB9_73:                               ;   in Loop: Header=BB9_63 Depth=2
	s_mul_hi_i32 s39, s62, s98
	s_mul_i32 s38, s62, s98
	s_lshl_b64 s[38:39], s[38:39], 2
	s_add_u32 s40, s52, s38
	s_addc_u32 s41, s50, s39
	scratch_store_dwordx4 off, v[174:177], off
	s_and_saveexec_b64 s[38:39], s[4:5]
	s_cbranch_execz .LBB9_75
; %bb.74:                               ;   in Loop: Header=BB9_63 Depth=2
	v_lshl_add_u64 v[10:11], v[46:47], 2, s[40:41]
	v_lshlrev_b32_e32 v36, 2, v48
	v_lshl_add_u64 v[10:11], v[10:11], 0, v[36:37]
	global_load_dwordx4 v[10:13], v[10:11], off offset:128
	s_waitcnt vmcnt(0)
	ds_write_b128 v139, v[10:13]
.LBB9_75:                               ;   in Loop: Header=BB9_63 Depth=2
	s_or_b64 exec, exec, s[38:39]
	v_lshl_add_u64 v[10:11], v[42:43], 2, s[40:41]
	v_lshlrev_b32_e32 v36, 2, v40
	v_lshl_add_u64 v[10:11], v[10:11], 0, v[36:37]
	v_mov_b32_e32 v1, s43
	v_lshl_add_u64 v[12:13], v[44:45], 2, s[40:41]
	v_cndmask_b32_e64 v11, v1, v11, s[6:7]
	v_cndmask_b32_e64 v10, v233, v10, s[6:7]
	v_lshl_add_u64 v[12:13], v[12:13], 0, v[36:37]
	v_cndmask_b32_e64 v15, v1, v13, s[8:9]
	v_cndmask_b32_e64 v14, v233, v12, s[8:9]
	flat_load_dwordx4 v[10:13], v[10:11]
	v_add_u32_e32 v1, 0x800, v138
	s_and_b64 vcc, exec, s[60:61]
	s_waitcnt vmcnt(0) lgkmcnt(0)
	ds_write_b128 v134, v[10:13]
	flat_load_dwordx4 v[10:13], v[14:15]
	s_waitcnt vmcnt(0) lgkmcnt(0)
	ds_write_b128 v137, v[10:13]
	s_waitcnt lgkmcnt(0)
	s_barrier
	ds_read2_b64 v[10:13], v138 offset1:4
	s_waitcnt lgkmcnt(0)
	v_mfma_f32_16x16x16_f16 v[14:17], v[10:11], v[6:7], 0
	v_mfma_f32_16x16x16_f16 v[10:13], v[12:13], v[8:9], v[14:17]
	s_nop 6
	ds_read2_b64 v[14:17], v138 offset0:8 offset1:12
	s_waitcnt lgkmcnt(0)
	v_mfma_f32_16x16x16_f16 v[10:13], v[14:15], v[2:3], v[10:13]
	ds_read_b64 v[14:15], v138 offset:128
	v_mfma_f32_16x16x16_f16 v[10:13], v[16:17], v[4:5], v[10:13]
	s_waitcnt lgkmcnt(0)
	v_mfma_f32_16x16x16_f16 v[10:13], v[14:15], v[76:77], v[10:13]
	ds_read2_b64 v[14:17], v1 offset0:96 offset1:100
	s_waitcnt lgkmcnt(0)
	v_mfma_f32_16x16x16_f16 v[18:21], v[14:15], v[6:7], 0
	v_mfma_f32_16x16x16_f16 v[14:17], v[16:17], v[8:9], v[18:21]
	s_nop 6
	ds_read2_b64 v[18:21], v1 offset0:104 offset1:108
	s_waitcnt lgkmcnt(0)
	v_mfma_f32_16x16x16_f16 v[14:17], v[18:19], v[2:3], v[14:17]
	ds_read_b64 v[18:19], v138 offset:2944
	v_add_u32_e32 v1, 0x1000, v138
	v_mfma_f32_16x16x16_f16 v[14:17], v[20:21], v[4:5], v[14:17]
	s_waitcnt lgkmcnt(0)
	v_mfma_f32_16x16x16_f16 v[14:17], v[18:19], v[76:77], v[14:17]
	ds_read2_b64 v[18:21], v1 offset0:192 offset1:196
	s_waitcnt lgkmcnt(0)
	v_mfma_f32_16x16x16_f16 v[22:25], v[18:19], v[6:7], 0
	v_mfma_f32_16x16x16_f16 v[18:21], v[20:21], v[8:9], v[22:25]
	s_nop 6
	ds_read2_b64 v[22:25], v1 offset0:200 offset1:204
	s_waitcnt lgkmcnt(0)
	v_mfma_f32_16x16x16_f16 v[18:21], v[22:23], v[2:3], v[18:21]
	ds_read_b64 v[22:23], v138 offset:5760
	v_add_u32_e32 v1, 0x2000, v138
	v_mfma_f32_16x16x16_f16 v[18:21], v[24:25], v[4:5], v[18:21]
	s_waitcnt lgkmcnt(0)
	v_mfma_f32_16x16x16_f16 v[18:21], v[22:23], v[76:77], v[18:21]
	ds_read2_b64 v[22:25], v1 offset0:32 offset1:36
	s_waitcnt lgkmcnt(0)
	v_mfma_f32_16x16x16_f16 v[170:173], v[22:23], v[6:7], 0
	v_mfma_f32_16x16x16_f16 v[22:25], v[24:25], v[8:9], v[170:173]
	s_nop 6
	ds_read2_b64 v[170:173], v1 offset0:40 offset1:44
	s_waitcnt lgkmcnt(0)
	v_mfma_f32_16x16x16_f16 v[22:25], v[170:171], v[2:3], v[22:25]
	ds_read_b64 v[170:171], v138 offset:8576
	s_waitcnt lgkmcnt(0)
	s_barrier
	v_mfma_f32_16x16x16_f16 v[22:25], v[172:173], v[4:5], v[22:25]
	v_mfma_f32_16x16x16_f16 v[22:25], v[170:171], v[76:77], v[22:25]
	s_cbranch_vccnz .LBB9_77
; %bb.76:                               ;   in Loop: Header=BB9_63 Depth=2
	ds_read_b32 v1, v141 offset:11264
	v_mov_b32_e32 v73, v72
	s_waitcnt lgkmcnt(0)
	v_cvt_f32_f16_sdwa v171, v1 dst_sel:DWORD dst_unused:UNUSED_PAD src0_sel:WORD_1
	v_cvt_f32_f16_e32 v170, v1
	ds_read_b32 v1, v142 offset:11264
	v_pk_fma_f32 v[10:11], v[112:113], v[170:171], v[10:11]
	s_waitcnt lgkmcnt(0)
	v_cvt_f32_f16_sdwa v173, v1 dst_sel:DWORD dst_unused:UNUSED_PAD src0_sel:WORD_1
	v_cvt_f32_f16_e32 v172, v1
	v_add_u32_e32 v1, 0x2c00, v144
	ds_read2_b32 v[170:171], v1 offset1:1
	v_add_u32_e32 v1, 0x2c00, v146
	v_pk_fma_f32 v[12:13], v[72:73], v[172:173], v[12:13]
	s_waitcnt lgkmcnt(0)
	v_cvt_f32_f16_e32 v172, v170
	v_cvt_f32_f16_sdwa v173, v170 dst_sel:DWORD dst_unused:UNUSED_PAD src0_sel:WORD_1
	v_cvt_f32_f16_e32 v170, v171
	v_cvt_f32_f16_sdwa v171, v171 dst_sel:DWORD dst_unused:UNUSED_PAD src0_sel:WORD_1
	v_pk_fma_f32 v[14:15], v[112:113], v[172:173], v[14:15]
	v_pk_fma_f32 v[16:17], v[72:73], v[170:171], v[16:17]
	ds_read2_b32 v[170:171], v1 offset1:1
	v_add_u32_e32 v1, 0x2c00, v148
	s_waitcnt lgkmcnt(0)
	v_cvt_f32_f16_e32 v172, v170
	v_cvt_f32_f16_sdwa v173, v170 dst_sel:DWORD dst_unused:UNUSED_PAD src0_sel:WORD_1
	v_cvt_f32_f16_e32 v170, v171
	v_cvt_f32_f16_sdwa v171, v171 dst_sel:DWORD dst_unused:UNUSED_PAD src0_sel:WORD_1
	v_pk_fma_f32 v[18:19], v[112:113], v[172:173], v[18:19]
	v_pk_fma_f32 v[20:21], v[72:73], v[170:171], v[20:21]
	ds_read2_b32 v[170:171], v1 offset1:1
	s_waitcnt lgkmcnt(0)
	v_cvt_f32_f16_e32 v172, v170
	v_cvt_f32_f16_sdwa v173, v170 dst_sel:DWORD dst_unused:UNUSED_PAD src0_sel:WORD_1
	v_cvt_f32_f16_e32 v170, v171
	v_cvt_f32_f16_sdwa v171, v171 dst_sel:DWORD dst_unused:UNUSED_PAD src0_sel:WORD_1
	v_pk_fma_f32 v[22:23], v[112:113], v[172:173], v[22:23]
	v_pk_fma_f32 v[24:25], v[72:73], v[170:171], v[24:25]
.LBB9_77:                               ;   in Loop: Header=BB9_63 Depth=2
	v_add_f32_e32 v1, 0x40051340, v10
	v_max_f32_e32 v73, v240, v240
	v_max_f32_e32 v1, v73, v1
	v_cndmask_b32_e64 v1, v240, v1, s[10:11]
	v_add_f32_e32 v73, 0x40051340, v11
	v_max_f32_e32 v1, v1, v1
	v_max_f32_e32 v1, v1, v73
	v_cndmask_b32_e64 v1, v240, v1, s[10:11]
	v_add_f32_e32 v73, 0x40051340, v12
	v_max_f32_e32 v1, v1, v1
	v_max_f32_e32 v1, v1, v73
	v_cndmask_b32_e64 v1, v240, v1, s[10:11]
	v_add_f32_e32 v73, 0x40051340, v13
	v_max_f32_e32 v1, v1, v1
	v_max_f32_e32 v1, v1, v73
	v_cndmask_b32_e64 v1, v240, v1, s[10:11]
	v_add_f32_e32 v73, 0x40051340, v14
	v_max_f32_e32 v127, v1, v1
	v_max_f32_e32 v73, v127, v73
	v_cndmask_b32_e64 v1, v1, v73, s[12:13]
	v_add_f32_e32 v73, 0x40051340, v15
	v_max_f32_e32 v127, v1, v1
	v_max_f32_e32 v73, v127, v73
	v_cndmask_b32_e64 v1, v1, v73, s[14:15]
	v_add_f32_e32 v73, 0x40051340, v16
	v_max_f32_e32 v127, v1, v1
	v_max_f32_e32 v73, v127, v73
	v_cndmask_b32_e64 v1, v1, v73, s[16:17]
	v_add_f32_e32 v73, 0x40051340, v17
	v_max_f32_e32 v127, v1, v1
	v_max_f32_e32 v73, v127, v73
	v_cndmask_b32_e64 v1, v1, v73, s[18:19]
	v_add_f32_e32 v73, 0x40051340, v18
	v_max_f32_e32 v127, v1, v1
	v_max_f32_e32 v73, v127, v73
	v_cndmask_b32_e64 v1, v1, v73, s[20:21]
	v_add_f32_e32 v73, 0x40051340, v19
	v_max_f32_e32 v127, v1, v1
	v_max_f32_e32 v73, v127, v73
	v_cndmask_b32_e64 v1, v1, v73, s[22:23]
	v_add_f32_e32 v73, 0x40051340, v20
	v_max_f32_e32 v127, v1, v1
	v_max_f32_e32 v73, v127, v73
	v_cndmask_b32_e64 v1, v1, v73, s[24:25]
	v_add_f32_e32 v73, 0x40051340, v21
	v_max_f32_e32 v127, v1, v1
	v_max_f32_e32 v73, v127, v73
	v_cndmask_b32_e64 v1, v1, v73, s[26:27]
	v_add_f32_e32 v73, 0x40051340, v22
	v_max_f32_e32 v127, v1, v1
	v_max_f32_e32 v73, v127, v73
	v_cndmask_b32_e64 v1, v1, v73, s[0:1]
	v_add_f32_e32 v73, 0x40051340, v23
	v_max_f32_e32 v127, v1, v1
	v_max_f32_e32 v73, v127, v73
	v_cndmask_b32_e64 v1, v1, v73, s[28:29]
	v_add_f32_e32 v73, 0x40051340, v24
	v_max_f32_e32 v127, v1, v1
	v_max_f32_e32 v73, v127, v73
	v_cndmask_b32_e64 v1, v1, v73, s[30:31]
	v_add_f32_e32 v73, 0x40051340, v25
	v_max_f32_e32 v127, v1, v1
	v_max_f32_e32 v73, v127, v73
	v_cndmask_b32_e64 v1, v1, v73, s[34:35]
	ds_bpermute_b32 v73, v235, v1
	v_max_f32_e32 v1, v1, v1
	s_mul_hi_i32 s39, s62, s2
	s_mul_i32 s38, s62, s2
	s_lshl_b64 s[38:39], s[38:39], 2
	s_waitcnt lgkmcnt(0)
	v_max_f32_e32 v73, v73, v73
	v_max_f32_e32 v1, v1, v73
	ds_bpermute_b32 v73, v236, v1
	s_add_u32 s40, s51, s38
	s_addc_u32 s41, s67, s39
	scratch_store_dwordx4 off, v[174:177], off
	s_and_saveexec_b64 s[38:39], s[4:5]
	s_cbranch_execz .LBB9_79
; %bb.78:                               ;   in Loop: Header=BB9_63 Depth=2
	v_lshl_add_u64 v[170:171], v[50:51], 2, s[40:41]
	v_lshlrev_b32_e32 v172, 2, v48
	v_mov_b32_e32 v173, v37
	v_lshl_add_u64 v[170:171], v[170:171], 0, v[172:173]
	global_load_dwordx4 v[170:173], v[170:171], off offset:128
	s_waitcnt vmcnt(0)
	ds_write_b128 v139, v[170:173]
.LBB9_79:                               ;   in Loop: Header=BB9_63 Depth=2
	s_or_b64 exec, exec, s[38:39]
	s_waitcnt lgkmcnt(0)
	v_max_f32_e32 v73, v73, v73
	v_max_f32_e32 v1, v1, v1
	;; [unrolled: 1-line block ×3, first 2 shown]
	v_sub_f32_e32 v1, v10, v73
	v_mul_f32_e32 v10, 0x3fb8aa3b, v1
	v_fma_f32 v127, v1, s42, -v10
	v_rndne_f32_e32 v170, v10
	v_fmac_f32_e32 v127, 0x32a5705f, v1
	v_sub_f32_e32 v10, v10, v170
	v_add_f32_e32 v10, v10, v127
	v_exp_f32_e32 v10, v10
	v_cvt_i32_f32_e32 v127, v170
	v_sub_f32_e32 v11, v11, v73
	v_cmp_ngt_f32_e32 vcc, s53, v1
	s_add_i32 s64, s64, 1
	v_ldexp_f32 v10, v10, v127
	v_mul_f32_e32 v127, 0x3fb8aa3b, v11
	v_fma_f32 v170, v11, s42, -v127
	v_rndne_f32_e32 v171, v127
	v_fmac_f32_e32 v170, 0x32a5705f, v11
	v_sub_f32_e32 v127, v127, v171
	v_add_f32_e32 v127, v127, v170
	v_exp_f32_e32 v127, v127
	v_cvt_i32_f32_e32 v170, v171
	v_cndmask_b32_e32 v10, 0, v10, vcc
	v_cmp_nlt_f32_e32 vcc, s97, v1
	s_add_i32 s62, s62, 64
	v_ldexp_f32 v127, v127, v170
	v_cndmask_b32_e32 v1, v230, v10, vcc
	v_cmp_ngt_f32_e32 vcc, s53, v11
	v_cndmask_b32_e64 v10, 0, v1, s[10:11]
	s_cmp_lt_i32 s64, s66
	v_cndmask_b32_e32 v127, 0, v127, vcc
	v_cmp_nlt_f32_e32 vcc, s97, v11
	s_nop 1
	v_cndmask_b32_e32 v11, v230, v127, vcc
	v_add_f32_e32 v127, v1, v11
	v_mov_b32_e32 v1, s55
	v_cndmask_b32_e64 v1, v1, v11, s[10:11]
	v_sub_f32_e32 v11, v12, v73
	v_mul_f32_e32 v12, 0x3fb8aa3b, v11
	v_fma_f32 v170, v11, s42, -v12
	v_rndne_f32_e32 v171, v12
	v_fmac_f32_e32 v170, 0x32a5705f, v11
	v_sub_f32_e32 v12, v12, v171
	v_add_f32_e32 v12, v12, v170
	v_exp_f32_e32 v12, v12
	v_cvt_i32_f32_e32 v170, v171
	v_cmp_ngt_f32_e32 vcc, s53, v11
	v_ldexp_f32 v12, v12, v170
	s_nop 0
	v_cndmask_b32_e32 v12, 0, v12, vcc
	v_cmp_nlt_f32_e32 vcc, s97, v11
	s_nop 1
	v_cndmask_b32_e32 v11, v230, v12, vcc
	v_mov_b32_e32 v12, s55
	v_add_f32_e32 v127, v127, v11
	v_cndmask_b32_e64 v12, v12, v11, s[10:11]
	v_sub_f32_e32 v11, v13, v73
	v_mul_f32_e32 v13, 0x3fb8aa3b, v11
	v_fma_f32 v170, v11, s42, -v13
	v_rndne_f32_e32 v171, v13
	v_fmac_f32_e32 v170, 0x32a5705f, v11
	v_sub_f32_e32 v13, v13, v171
	v_add_f32_e32 v13, v13, v170
	v_exp_f32_e32 v13, v13
	v_cvt_i32_f32_e32 v170, v171
	v_cmp_ngt_f32_e32 vcc, s53, v11
	v_ldexp_f32 v13, v13, v170
	s_nop 0
	v_cndmask_b32_e32 v13, 0, v13, vcc
	v_cmp_nlt_f32_e32 vcc, s97, v11
	s_nop 1
	v_cndmask_b32_e32 v170, v230, v13, vcc
	v_sub_f32_e32 v13, v14, v73
	v_mul_f32_e32 v14, 0x3fb8aa3b, v13
	v_add_f32_e32 v11, v127, v170
	v_fma_f32 v127, v13, s42, -v14
	v_rndne_f32_e32 v171, v14
	v_fmac_f32_e32 v127, 0x32a5705f, v13
	v_sub_f32_e32 v14, v14, v171
	v_add_f32_e32 v14, v14, v127
	v_exp_f32_e32 v14, v14
	v_cvt_i32_f32_e32 v127, v171
	v_cmp_ngt_f32_e32 vcc, s53, v13
	v_cndmask_b32_e64 v11, 0, v11, s[10:11]
	v_ldexp_f32 v14, v14, v127
	v_cndmask_b32_e32 v14, 0, v14, vcc
	v_cmp_nlt_f32_e32 vcc, s97, v13
	s_nop 1
	v_cndmask_b32_e32 v13, v230, v14, vcc
	v_add_f32_e32 v127, v13, v11
	v_mov_b32_e32 v14, s55
	v_cndmask_b32_e64 v14, v14, v13, s[12:13]
	v_cndmask_b32_e64 v13, v11, v127, s[12:13]
	v_sub_f32_e32 v11, v15, v73
	v_mul_f32_e32 v15, 0x3fb8aa3b, v11
	v_fma_f32 v127, v11, s42, -v15
	v_rndne_f32_e32 v171, v15
	v_fmac_f32_e32 v127, 0x32a5705f, v11
	v_sub_f32_e32 v15, v15, v171
	v_add_f32_e32 v15, v15, v127
	v_exp_f32_e32 v15, v15
	v_cvt_i32_f32_e32 v127, v171
	v_cmp_ngt_f32_e32 vcc, s53, v11
	v_ldexp_f32 v15, v15, v127
	s_nop 0
	v_cndmask_b32_e32 v15, 0, v15, vcc
	v_cmp_nlt_f32_e32 vcc, s97, v11
	v_mov_b32_e32 v11, s55
	s_nop 0
	v_cndmask_b32_e32 v15, v230, v15, vcc
	v_add_f32_e32 v127, v15, v13
	v_cndmask_b32_e64 v11, v11, v15, s[14:15]
	v_sub_f32_e32 v15, v16, v73
	v_mul_f32_e32 v16, 0x3fb8aa3b, v15
	v_cndmask_b32_e64 v13, v13, v127, s[14:15]
	v_fma_f32 v127, v15, s42, -v16
	v_rndne_f32_e32 v171, v16
	v_fmac_f32_e32 v127, 0x32a5705f, v15
	v_sub_f32_e32 v16, v16, v171
	v_add_f32_e32 v16, v16, v127
	v_exp_f32_e32 v16, v16
	v_cvt_i32_f32_e32 v127, v171
	v_cmp_ngt_f32_e32 vcc, s53, v15
	v_ldexp_f32 v16, v16, v127
	s_nop 0
	v_cndmask_b32_e32 v16, 0, v16, vcc
	v_cmp_nlt_f32_e32 vcc, s97, v15
	s_nop 1
	v_cndmask_b32_e32 v15, v230, v16, vcc
	v_mov_b32_e32 v16, s55
	v_add_f32_e32 v127, v15, v13
	v_cndmask_b32_e64 v16, v16, v15, s[16:17]
	v_sub_f32_e32 v15, v17, v73
	v_mul_f32_e32 v17, 0x3fb8aa3b, v15
	v_cndmask_b32_e64 v13, v13, v127, s[16:17]
	v_fma_f32 v127, v15, s42, -v17
	v_rndne_f32_e32 v171, v17
	v_fmac_f32_e32 v127, 0x32a5705f, v15
	v_sub_f32_e32 v17, v17, v171
	v_add_f32_e32 v17, v17, v127
	v_exp_f32_e32 v17, v17
	v_cvt_i32_f32_e32 v127, v171
	v_cmp_ngt_f32_e32 vcc, s53, v15
	v_ldexp_f32 v17, v17, v127
	s_nop 0
	v_cndmask_b32_e32 v17, 0, v17, vcc
	v_cmp_nlt_f32_e32 vcc, s97, v15
	s_nop 1
	v_cndmask_b32_e32 v171, v230, v17, vcc
	v_add_f32_e32 v15, v171, v13
	v_cndmask_b32_e64 v13, v13, v15, s[18:19]
	v_sub_f32_e32 v15, v18, v73
	v_mul_f32_e32 v17, 0x3fb8aa3b, v15
	v_fma_f32 v18, v15, s42, -v17
	v_rndne_f32_e32 v127, v17
	v_fmac_f32_e32 v18, 0x32a5705f, v15
	v_sub_f32_e32 v17, v17, v127
	v_add_f32_e32 v17, v17, v18
	v_exp_f32_e32 v17, v17
	v_cvt_i32_f32_e32 v18, v127
	v_cmp_ngt_f32_e32 vcc, s53, v15
	v_ldexp_f32 v17, v17, v18
	s_nop 0
	v_cndmask_b32_e32 v17, 0, v17, vcc
	v_cmp_nlt_f32_e32 vcc, s97, v15
	v_mov_b32_e32 v18, s55
	s_nop 0
	v_cndmask_b32_e32 v15, v230, v17, vcc
	v_add_f32_e32 v17, v15, v13
	v_cndmask_b32_e64 v18, v18, v15, s[20:21]
	v_cndmask_b32_e64 v15, v13, v17, s[20:21]
	v_sub_f32_e32 v13, v19, v73
	v_mul_f32_e32 v17, 0x3fb8aa3b, v13
	v_fma_f32 v19, v13, s42, -v17
	v_rndne_f32_e32 v127, v17
	v_fmac_f32_e32 v19, 0x32a5705f, v13
	v_sub_f32_e32 v17, v17, v127
	v_add_f32_e32 v17, v17, v19
	v_exp_f32_e32 v17, v17
	v_cvt_i32_f32_e32 v19, v127
	v_cmp_ngt_f32_e32 vcc, s53, v13
	v_ldexp_f32 v17, v17, v19
	s_nop 0
	v_cndmask_b32_e32 v17, 0, v17, vcc
	v_cmp_nlt_f32_e32 vcc, s97, v13
	v_mov_b32_e32 v13, s55
	s_nop 0
	v_cndmask_b32_e32 v17, v230, v17, vcc
	v_add_f32_e32 v19, v17, v15
	v_cndmask_b32_e64 v13, v13, v17, s[22:23]
	v_sub_f32_e32 v17, v20, v73
	v_cndmask_b32_e64 v15, v15, v19, s[22:23]
	v_mul_f32_e32 v19, 0x3fb8aa3b, v17
	v_fma_f32 v20, v17, s42, -v19
	v_rndne_f32_e32 v127, v19
	v_fmac_f32_e32 v20, 0x32a5705f, v17
	v_sub_f32_e32 v19, v19, v127
	v_add_f32_e32 v19, v19, v20
	v_exp_f32_e32 v19, v19
	v_cvt_i32_f32_e32 v20, v127
	v_cmp_ngt_f32_e32 vcc, s53, v17
	v_ldexp_f32 v19, v19, v20
	s_nop 0
	v_cndmask_b32_e32 v19, 0, v19, vcc
	v_cmp_nlt_f32_e32 vcc, s97, v17
	v_mov_b32_e32 v20, s55
	s_nop 0
	v_cndmask_b32_e32 v17, v230, v19, vcc
	v_add_f32_e32 v19, v17, v15
	v_cndmask_b32_e64 v20, v20, v17, s[24:25]
	v_sub_f32_e32 v17, v21, v73
	v_cndmask_b32_e64 v15, v15, v19, s[24:25]
	v_mul_f32_e32 v19, 0x3fb8aa3b, v17
	v_fma_f32 v21, v17, s42, -v19
	v_rndne_f32_e32 v127, v19
	v_fmac_f32_e32 v21, 0x32a5705f, v17
	v_sub_f32_e32 v19, v19, v127
	v_add_f32_e32 v19, v19, v21
	v_exp_f32_e32 v19, v19
	v_cvt_i32_f32_e32 v21, v127
	v_cmp_ngt_f32_e32 vcc, s53, v17
	v_ldexp_f32 v19, v19, v21
	s_nop 0
	v_cndmask_b32_e32 v19, 0, v19, vcc
	v_cmp_nlt_f32_e32 vcc, s97, v17
	s_nop 1
	v_cndmask_b32_e32 v172, v230, v19, vcc
	v_add_f32_e32 v17, v172, v15
	v_cndmask_b32_e64 v15, v15, v17, s[26:27]
	v_sub_f32_e32 v17, v22, v73
	v_mul_f32_e32 v19, 0x3fb8aa3b, v17
	v_fma_f32 v21, v17, s42, -v19
	v_rndne_f32_e32 v22, v19
	v_fmac_f32_e32 v21, 0x32a5705f, v17
	v_sub_f32_e32 v19, v19, v22
	v_add_f32_e32 v19, v19, v21
	v_exp_f32_e32 v19, v19
	v_cvt_i32_f32_e32 v21, v22
	v_cmp_ngt_f32_e32 vcc, s53, v17
	v_mov_b32_e32 v22, s55
	v_ldexp_f32 v19, v19, v21
	v_cndmask_b32_e32 v19, 0, v19, vcc
	v_cmp_nlt_f32_e32 vcc, s97, v17
	s_nop 1
	v_cndmask_b32_e32 v17, v230, v19, vcc
	v_add_f32_e32 v19, v17, v15
	v_cndmask_b32_e64 v22, v22, v17, s[0:1]
	v_cndmask_b32_e64 v17, v15, v19, s[0:1]
	v_sub_f32_e32 v15, v23, v73
	v_mul_f32_e32 v19, 0x3fb8aa3b, v15
	v_fma_f32 v21, v15, s42, -v19
	v_rndne_f32_e32 v23, v19
	v_fmac_f32_e32 v21, 0x32a5705f, v15
	v_sub_f32_e32 v19, v19, v23
	v_add_f32_e32 v19, v19, v21
	v_exp_f32_e32 v19, v19
	v_cvt_i32_f32_e32 v21, v23
	v_cmp_ngt_f32_e32 vcc, s53, v15
	v_ldexp_f32 v19, v19, v21
	s_nop 0
	v_cndmask_b32_e32 v19, 0, v19, vcc
	v_cmp_nlt_f32_e32 vcc, s97, v15
	v_mov_b32_e32 v15, s55
	s_nop 0
	v_cndmask_b32_e32 v19, v230, v19, vcc
	v_add_f32_e32 v21, v19, v17
	v_cndmask_b32_e64 v15, v15, v19, s[28:29]
	v_sub_f32_e32 v19, v24, v73
	v_cndmask_b32_e64 v17, v17, v21, s[28:29]
	v_mul_f32_e32 v21, 0x3fb8aa3b, v19
	v_fma_f32 v23, v19, s42, -v21
	v_rndne_f32_e32 v24, v21
	v_fmac_f32_e32 v23, 0x32a5705f, v19
	v_sub_f32_e32 v21, v21, v24
	v_add_f32_e32 v21, v21, v23
	v_exp_f32_e32 v21, v21
	v_cvt_i32_f32_e32 v23, v24
	v_cmp_ngt_f32_e32 vcc, s53, v19
	v_mov_b32_e32 v24, s55
	v_ldexp_f32 v21, v21, v23
	v_cndmask_b32_e32 v21, 0, v21, vcc
	v_cmp_nlt_f32_e32 vcc, s97, v19
	s_nop 1
	v_cndmask_b32_e32 v19, v230, v21, vcc
	v_add_f32_e32 v21, v19, v17
	v_cndmask_b32_e64 v24, v24, v19, s[30:31]
	v_sub_f32_e32 v19, v25, v73
	v_cndmask_b32_e64 v17, v17, v21, s[30:31]
	v_mul_f32_e32 v21, 0x3fb8aa3b, v19
	v_fma_f32 v23, v19, s42, -v21
	v_rndne_f32_e32 v25, v21
	v_fmac_f32_e32 v23, 0x32a5705f, v19
	v_sub_f32_e32 v21, v21, v25
	v_add_f32_e32 v21, v21, v23
	v_exp_f32_e32 v21, v21
	v_cvt_i32_f32_e32 v23, v25
	v_cmp_ngt_f32_e32 vcc, s53, v19
	v_ldexp_f32 v21, v21, v23
	s_nop 0
	v_cndmask_b32_e32 v21, 0, v21, vcc
	v_cmp_nlt_f32_e32 vcc, s97, v19
	s_nop 1
	v_cndmask_b32_e32 v173, v230, v21, vcc
	v_add_f32_e32 v19, v173, v17
	v_cndmask_b32_e64 v127, v17, v19, s[34:35]
	v_sub_f32_e32 v17, v240, v73
	v_mul_f32_e32 v19, 0x3fb8aa3b, v17
	v_fma_f32 v21, v17, s42, -v19
	v_rndne_f32_e32 v23, v19
	v_fmac_f32_e32 v21, 0x32a5705f, v17
	v_sub_f32_e32 v19, v19, v23
	v_add_f32_e32 v19, v19, v21
	v_exp_f32_e32 v19, v19
	v_cvt_i32_f32_e32 v21, v23
	v_cmp_ngt_f32_e32 vcc, s53, v17
	v_ldexp_f32 v19, v19, v21
	s_nop 0
	v_cndmask_b32_e32 v19, 0, v19, vcc
	v_cmp_nlt_f32_e32 vcc, s97, v17
	s_nop 1
	v_cndmask_b32_e32 v19, v230, v19, vcc
	v_cmp_le_f32_e32 vcc, s84, v17
	s_nop 1
	v_cndmask_b32_e32 v17, 0, v19, vcc
	v_fmac_f32_e32 v127, v26, v17
	v_cvt_f16_f32_e32 v17, v17
	v_mul_u32_u24_e32 v26, 0x10001, v17
	v_pk_mul_f16 v242, v239, v26
	v_pk_mul_f16 v239, v27, v26
	v_mov_b32_e32 v27, s55
	v_pk_mul_f16 v241, v238, v26
	v_pk_mul_f16 v17, v117, v26
	;; [unrolled: 1-line block ×8, first 2 shown]
	v_cndmask_b32_e64 v240, v27, v173, s[34:35]
	v_cndmask_b32_e64 v116, v27, v172, s[26:27]
	;; [unrolled: 1-line block ×4, first 2 shown]
	v_lshl_add_u64 v[26:27], v[56:57], 2, s[40:41]
	v_lshl_add_u64 v[26:27], v[26:27], 0, v[36:37]
	v_mov_b32_e32 v117, s43
	v_cndmask_b32_e64 v27, v117, v27, s[6:7]
	v_cndmask_b32_e64 v26, v233, v26, s[6:7]
	flat_load_dwordx4 v[26:29], v[26:27]
	v_cvt_f32_f16_e32 v172, v241
	v_cvt_f32_f16_sdwa v173, v241 dst_sel:DWORD dst_unused:UNUSED_PAD src0_sel:WORD_1
	v_cvt_f32_f16_e32 v170, v242
	v_cvt_f32_f16_sdwa v171, v242 dst_sel:DWORD dst_unused:UNUSED_PAD src0_sel:WORD_1
	s_waitcnt vmcnt(0) lgkmcnt(0)
	ds_write_b128 v134, v[26:29]
	v_lshl_add_u64 v[26:27], v[54:55], 2, s[40:41]
	v_lshl_add_u64 v[26:27], v[26:27], 0, v[36:37]
	v_cndmask_b32_e64 v27, v117, v27, s[8:9]
	v_cndmask_b32_e64 v26, v233, v26, s[8:9]
	flat_load_dwordx4 v[26:29], v[26:27]
	s_waitcnt vmcnt(0) lgkmcnt(0)
	ds_write_b128 v137, v[26:29]
	s_waitcnt lgkmcnt(0)
	s_barrier
	ds_read_u16 v26, v149 offset:176
	ds_read_u16 v27, v150
	ds_read_u16 v36, v150 offset:32
	ds_read_u16 v28, v151
	ds_read_u16 v241, v151 offset:32
	v_cvt_pk_f16_f32 v29, v12, v115
	s_waitcnt lgkmcnt(1)
	v_perm_b32 v27, v28, v27, s33
	ds_read_u16 v28, v149
	ds_read_u16 v242, v149 offset:32
	s_waitcnt lgkmcnt(1)
	v_perm_b32 v26, v26, v28, s33
	v_cvt_pk_f16_f32 v28, v10, v1
	s_nop 1
	v_mfma_f32_16x16x16_f16 v[170:173], v[26:27], v[28:29], v[170:173]
	ds_read_u16 v115, v149 offset:2816
	ds_read_u16 v117, v149 offset:2992
	;; [unrolled: 1-line block ×4, first 2 shown]
	s_nop 3
	v_cvt_f16_f32_e32 v26, v173
	v_cvt_f16_f32_e32 v1, v170
	;; [unrolled: 1-line block ×4, first 2 shown]
	v_cvt_f32_f16_e32 v173, v26
	s_waitcnt lgkmcnt(0)
	v_perm_b32 v27, v243, v27, s33
	v_perm_b32 v26, v117, v115, s33
	v_cvt_f32_f16_e32 v170, v1
	v_cvt_f32_f16_e32 v171, v10
	;; [unrolled: 1-line block ×3, first 2 shown]
	v_cvt_pk_f16_f32 v115, v16, v114
	v_cvt_pk_f16_f32 v114, v14, v11
	;; [unrolled: 1-line block ×4, first 2 shown]
	v_mfma_f32_16x16x16_f16 v[170:173], v[26:27], v[114:115], v[170:173]
	ds_read_u16 v14, v149 offset:5632
	ds_read_u16 v16, v149 offset:5808
	;; [unrolled: 1-line block ×4, first 2 shown]
	s_nop 3
	v_cvt_f16_f32_e32 v10, v171
	v_cvt_f16_f32_e32 v11, v172
	v_cvt_f16_f32_e32 v1, v170
	v_cvt_f16_f32_e32 v12, v173
	v_cvt_f32_f16_e32 v171, v10
	v_cvt_f32_f16_e32 v172, v11
	s_waitcnt lgkmcnt(0)
	v_perm_b32 v11, v27, v26, s33
	v_perm_b32 v10, v16, v14, s33
	v_cvt_f32_f16_e32 v170, v1
	v_cvt_f32_f16_e32 v173, v12
	ds_read_u16 v14, v149 offset:8448
	ds_read_u16 v16, v149 offset:8624
	ds_read_u16 v18, v150 offset:8448
	ds_read_u16 v20, v151 offset:8448
	v_mfma_f32_16x16x16_f16 v[10:13], v[10:11], v[116:117], v[170:173]
	v_cvt_pk_f16_f32 v27, v24, v240
	s_waitcnt lgkmcnt(0)
	s_nop 0
	v_perm_b32 v171, v20, v18, s33
	v_perm_b32 v170, v16, v14, s33
	s_nop 2
	v_cvt_f16_f32_e32 v1, v10
	v_cvt_f16_f32_e32 v11, v11
	;; [unrolled: 1-line block ×4, first 2 shown]
	v_cvt_f32_f16_e32 v10, v1
	ds_read_u16 v1, v149 offset:208
	v_cvt_f32_f16_e32 v11, v11
	v_cvt_f32_f16_e32 v12, v12
	;; [unrolled: 1-line block ×3, first 2 shown]
	v_cvt_pk_f16_f32 v26, v22, v15
	v_cvt_f32_f16_e32 v14, v239
	v_cvt_f32_f16_sdwa v15, v239 dst_sel:DWORD dst_unused:UNUSED_PAD src0_sel:WORD_1
	v_mfma_f32_16x16x16_f16 v[10:13], v[170:171], v[26:27], v[10:13]
	v_perm_b32 v171, v241, v36, s33
	s_waitcnt lgkmcnt(0)
	v_perm_b32 v170, v1, v242, s33
	v_cvt_f32_f16_e32 v16, v17
	v_cvt_f32_f16_sdwa v17, v17 dst_sel:DWORD dst_unused:UNUSED_PAD src0_sel:WORD_1
	ds_read_u16 v18, v149 offset:2848
	ds_read_u16 v20, v149 offset:3024
	;; [unrolled: 1-line block ×4, first 2 shown]
	v_mfma_f32_16x16x16_f16 v[14:17], v[170:171], v[28:29], v[14:17]
	s_waitcnt lgkmcnt(2)
	v_perm_b32 v170, v20, v18, s33
	s_waitcnt lgkmcnt(0)
	v_perm_b32 v171, v24, v22, s33
	ds_read_u16 v18, v149 offset:5664
	ds_read_u16 v20, v149 offset:5840
	;; [unrolled: 1-line block ×4, first 2 shown]
	v_cvt_f16_f32_e32 v1, v14
	v_cvt_f16_f32_e32 v15, v15
	;; [unrolled: 1-line block ×4, first 2 shown]
	v_cvt_f32_f16_e32 v14, v1
	v_cvt_f32_f16_e32 v15, v15
	;; [unrolled: 1-line block ×5, first 2 shown]
	v_cvt_f32_f16_sdwa v173, v19 dst_sel:DWORD dst_unused:UNUSED_PAD src0_sel:WORD_1
	v_mfma_f32_16x16x16_f16 v[14:17], v[170:171], v[114:115], v[14:17]
	s_waitcnt lgkmcnt(0)
	v_perm_b32 v171, v24, v22, s33
	v_perm_b32 v170, v20, v18, s33
	ds_read_u16 v18, v149 offset:8480
	ds_read_u16 v20, v149 offset:8656
	;; [unrolled: 1-line block ×4, first 2 shown]
	s_nop 0
	v_cvt_f16_f32_e32 v1, v14
	v_cvt_f16_f32_e32 v15, v15
	;; [unrolled: 1-line block ×4, first 2 shown]
	v_cvt_f32_f16_e32 v14, v1
	v_cvt_f32_f16_e32 v15, v15
	;; [unrolled: 1-line block ×4, first 2 shown]
	s_nop 1
	v_mfma_f32_16x16x16_f16 v[14:17], v[170:171], v[116:117], v[14:17]
	s_waitcnt lgkmcnt(0)
	v_perm_b32 v171, v24, v22, s33
	v_perm_b32 v170, v20, v18, s33
	s_nop 4
	v_cvt_f16_f32_e32 v1, v14
	v_cvt_f16_f32_e32 v15, v15
	;; [unrolled: 1-line block ×4, first 2 shown]
	v_cvt_f32_f16_e32 v14, v1
	ds_read_u16 v1, v149 offset:64
	ds_read_u16 v18, v149 offset:240
	;; [unrolled: 1-line block ×4, first 2 shown]
	v_cvt_f32_f16_e32 v15, v15
	v_cvt_f32_f16_e32 v16, v16
	;; [unrolled: 1-line block ×3, first 2 shown]
	s_waitcnt lgkmcnt(2)
	v_perm_b32 v18, v18, v1, s33
	s_waitcnt lgkmcnt(0)
	v_perm_b32 v19, v22, v20, s33
	v_mfma_f32_16x16x16_f16 v[14:17], v[170:171], v[26:27], v[14:17]
	v_cvt_f32_f16_e32 v170, v21
	v_cvt_f32_f16_sdwa v171, v21 dst_sel:DWORD dst_unused:UNUSED_PAD src0_sel:WORD_1
	s_nop 1
	v_mfma_f32_16x16x16_f16 v[18:21], v[18:19], v[28:29], v[170:173]
	ds_read_u16 v22, v149 offset:2880
	ds_read_u16 v24, v149 offset:3056
	;; [unrolled: 1-line block ×4, first 2 shown]
	v_cvt_f32_f16_e32 v172, v23
	v_cvt_f32_f16_sdwa v173, v23 dst_sel:DWORD dst_unused:UNUSED_PAD src0_sel:WORD_1
	s_nop 1
	v_cvt_f16_f32_e32 v1, v18
	v_cvt_f16_f32_e32 v19, v19
	;; [unrolled: 1-line block ×4, first 2 shown]
	s_waitcnt lgkmcnt(0)
	v_perm_b32 v171, v170, v36, s33
	v_perm_b32 v170, v24, v22, s33
	v_cvt_f32_f16_e32 v18, v1
	v_cvt_f32_f16_e32 v19, v19
	v_cvt_f32_f16_e32 v20, v20
	v_cvt_f32_f16_e32 v21, v21
	s_nop 1
	v_mfma_f32_16x16x16_f16 v[18:21], v[170:171], v[114:115], v[18:21]
	ds_read_u16 v22, v149 offset:5696
	ds_read_u16 v24, v149 offset:5872
	;; [unrolled: 1-line block ×4, first 2 shown]
	s_nop 3
	v_cvt_f16_f32_e32 v1, v18
	v_cvt_f16_f32_e32 v19, v19
	;; [unrolled: 1-line block ×4, first 2 shown]
	s_waitcnt lgkmcnt(0)
	v_perm_b32 v171, v170, v36, s33
	v_perm_b32 v170, v24, v22, s33
	v_cvt_f32_f16_e32 v18, v1
	v_cvt_f32_f16_e32 v19, v19
	;; [unrolled: 1-line block ×4, first 2 shown]
	s_nop 1
	v_mfma_f32_16x16x16_f16 v[18:21], v[170:171], v[116:117], v[18:21]
	ds_read_u16 v22, v149 offset:8512
	ds_read_u16 v24, v149 offset:8688
	ds_read_u16 v36, v150 offset:8512
	ds_read_u16 v170, v151 offset:8512
	s_nop 3
	v_cvt_f16_f32_e32 v1, v18
	v_cvt_f16_f32_e32 v19, v19
	;; [unrolled: 1-line block ×4, first 2 shown]
	v_cvt_f32_f16_e32 v18, v1
	s_waitcnt lgkmcnt(0)
	v_perm_b32 v171, v170, v36, s33
	v_perm_b32 v170, v24, v22, s33
	ds_read_u16 v1, v149 offset:96
	ds_read_u16 v22, v149 offset:272
	;; [unrolled: 1-line block ×4, first 2 shown]
	v_cvt_f32_f16_e32 v19, v19
	v_cvt_f32_f16_e32 v20, v20
	;; [unrolled: 1-line block ×3, first 2 shown]
	s_waitcnt lgkmcnt(2)
	v_perm_b32 v22, v22, v1, s33
	s_waitcnt lgkmcnt(0)
	v_perm_b32 v23, v36, v24, s33
	v_mfma_f32_16x16x16_f16 v[18:21], v[170:171], v[26:27], v[18:21]
	v_cvt_f32_f16_e32 v170, v25
	v_cvt_f32_f16_sdwa v171, v25 dst_sel:DWORD dst_unused:UNUSED_PAD src0_sel:WORD_1
	s_nop 1
	v_mfma_f32_16x16x16_f16 v[22:25], v[22:23], v[28:29], v[170:173]
	ds_read_u16 v36, v149 offset:2912
	s_nop 1
	ds_read_u16 v170, v149 offset:3088
	ds_read_u16 v171, v150 offset:2912
	;; [unrolled: 1-line block ×3, first 2 shown]
	v_cvt_f32_f16_sdwa v173, v237 dst_sel:DWORD dst_unused:UNUSED_PAD src0_sel:WORD_1
	s_nop 0
	v_cvt_f16_f32_e32 v1, v22
	v_cvt_f16_f32_e32 v23, v23
	;; [unrolled: 1-line block ×4, first 2 shown]
	s_waitcnt lgkmcnt(0)
	v_perm_b32 v171, v172, v171, s33
	v_perm_b32 v170, v170, v36, s33
	v_cvt_f32_f16_e32 v22, v1
	v_cvt_f32_f16_e32 v23, v23
	;; [unrolled: 1-line block ×4, first 2 shown]
	s_nop 1
	v_mfma_f32_16x16x16_f16 v[22:25], v[170:171], v[114:115], v[22:25]
	ds_read_u16 v36, v149 offset:5728
	ds_read_u16 v170, v149 offset:5904
	ds_read_u16 v171, v150 offset:5728
	ds_read_u16 v172, v151 offset:5728
	s_nop 3
	v_cvt_f16_f32_e32 v1, v22
	v_cvt_f16_f32_e32 v23, v23
	;; [unrolled: 1-line block ×4, first 2 shown]
	s_waitcnt lgkmcnt(0)
	v_perm_b32 v171, v172, v171, s33
	v_perm_b32 v170, v170, v36, s33
	v_cvt_f32_f16_e32 v22, v1
	v_cvt_f32_f16_e32 v23, v23
	;; [unrolled: 1-line block ×4, first 2 shown]
	s_nop 1
	v_mfma_f32_16x16x16_f16 v[22:25], v[170:171], v[116:117], v[22:25]
	ds_read_u16 v36, v149 offset:8544
	ds_read_u16 v170, v149 offset:8720
	;; [unrolled: 1-line block ×4, first 2 shown]
	s_nop 3
	v_cvt_f16_f32_e32 v1, v22
	v_cvt_f16_f32_e32 v23, v23
	;; [unrolled: 1-line block ×4, first 2 shown]
	v_cvt_f32_f16_e32 v22, v1
	s_waitcnt lgkmcnt(0)
	v_perm_b32 v171, v172, v171, s33
	v_perm_b32 v170, v170, v36, s33
	ds_read_u16 v1, v149 offset:128
	ds_read_u16 v36, v149 offset:304
	;; [unrolled: 1-line block ×4, first 2 shown]
	v_cvt_f32_f16_e32 v23, v23
	v_cvt_f32_f16_e32 v24, v24
	;; [unrolled: 1-line block ×4, first 2 shown]
	s_waitcnt lgkmcnt(0)
	v_perm_b32 v239, v240, v239, s33
	v_mfma_f32_16x16x16_f16 v[22:25], v[170:171], v[26:27], v[22:25]
	v_cvt_f32_f16_e32 v170, v238
	v_cvt_f32_f16_sdwa v171, v238 dst_sel:DWORD dst_unused:UNUSED_PAD src0_sel:WORD_1
	v_perm_b32 v238, v36, v1, s33
	s_nop 1
	v_mfma_f32_16x16x16_f16 v[170:173], v[238:239], v[28:29], v[170:173]
	ds_read_u16 v237, v149 offset:2944
	ds_read_u16 v238, v149 offset:3120
	;; [unrolled: 1-line block ×4, first 2 shown]
	s_nop 3
	v_cvt_f16_f32_e32 v28, v171
	v_cvt_f16_f32_e32 v29, v172
	;; [unrolled: 1-line block ×4, first 2 shown]
	v_cvt_f32_f16_e32 v171, v28
	v_cvt_f32_f16_e32 v172, v29
	s_waitcnt lgkmcnt(0)
	v_perm_b32 v29, v240, v239, s33
	v_perm_b32 v28, v238, v237, s33
	v_cvt_f32_f16_e32 v170, v1
	v_cvt_f32_f16_e32 v173, v36
	v_cvt_pk_f16_f32 v239, v10, v11
	s_nop 0
	v_mfma_f32_16x16x16_f16 v[170:173], v[28:29], v[114:115], v[170:173]
	ds_read_u16 v114, v149 offset:5760
	ds_read_u16 v115, v149 offset:5936
	;; [unrolled: 1-line block ×4, first 2 shown]
	s_nop 3
	v_cvt_f16_f32_e32 v28, v171
	v_cvt_f16_f32_e32 v29, v172
	;; [unrolled: 1-line block ×4, first 2 shown]
	v_cvt_f32_f16_e32 v171, v28
	v_cvt_f32_f16_e32 v172, v29
	s_waitcnt lgkmcnt(0)
	v_perm_b32 v29, v238, v237, s33
	v_perm_b32 v28, v115, v114, s33
	v_cvt_f32_f16_e32 v170, v1
	v_cvt_f32_f16_e32 v173, v36
	v_cvt_pk_f16_f32 v238, v12, v13
	v_cvt_pk_f16_f32 v237, v18, v19
	v_mfma_f32_16x16x16_f16 v[114:117], v[28:29], v[116:117], v[170:173]
	s_nop 7
	v_cvt_f16_f32_e32 v29, v114
	v_cvt_f16_f32_e32 v36, v115
	v_cvt_f16_f32_e32 v114, v116
	v_cvt_f16_f32_e32 v115, v117
	ds_read_u16 v1, v149 offset:8576
	ds_read_u16 v28, v149 offset:8752
	;; [unrolled: 1-line block ×4, first 2 shown]
	v_cvt_f32_f16_e32 v170, v29
	v_cvt_f32_f16_e32 v171, v36
	s_waitcnt lgkmcnt(2)
	v_perm_b32 v28, v28, v1, s33
	v_cvt_f32_f16_e32 v172, v114
	s_waitcnt lgkmcnt(0)
	v_perm_b32 v29, v117, v116, s33
	v_cvt_f32_f16_e32 v173, v115
	v_cvt_pk_f16_f32 v117, v16, v17
	v_cvt_pk_f16_f32 v116, v20, v21
	v_mfma_f32_16x16x16_f16 v[170:173], v[28:29], v[26:27], v[170:173]
	v_cvt_pk_f16_f32 v27, v14, v15
	v_cvt_pk_f16_f32 v115, v22, v23
	;; [unrolled: 1-line block ×3, first 2 shown]
	s_nop 4
	v_cvt_pk_f16_f32 v29, v170, v171
	v_cvt_pk_f16_f32 v28, v172, v173
	s_barrier
	s_cbranch_scc0 .LBB9_84
; %bb.80:                               ;   in Loop: Header=BB9_63 Depth=2
	v_mov_b32_e32 v26, v127
	v_mov_b32_e32 v240, v73
	s_branch .LBB9_63
.LBB9_81:                               ;   in Loop: Header=BB9_12 Depth=1
	s_mov_b64 s[38:39], 0
	v_writelane_b32 v255, s38, 33
                                        ; implicit-def: $vgpr2_vgpr3
                                        ; implicit-def: $vgpr234
	s_nop 1
	v_writelane_b32 v255, s39, 34
	s_nop 0
	v_readlane_b32 s54, v255, 0
	s_cbranch_execnz .LBB9_159
.LBB9_82:                               ;   in Loop: Header=BB9_12 Depth=1
	v_readlane_b32 s50, v255, 16
	v_readlane_b32 s60, v255, 33
	;; [unrolled: 1-line block ×4, first 2 shown]
	s_and_saveexec_b64 s[38:39], s[60:61]
	s_cbranch_execnz .LBB9_295
	s_branch .LBB9_296
.LBB9_83:                               ;   in Loop: Header=BB9_12 Depth=1
	v_mov_b32_e32 v73, 0xfeffffff
	v_mov_b32_e32 v127, 0
	v_mov_b32_e32 v28, 0
	v_mov_b32_e32 v29, 0
	v_mov_b32_e32 v114, 0
	v_mov_b32_e32 v115, 0
	v_mov_b32_e32 v116, 0
	v_mov_b32_e32 v237, 0
	v_mov_b32_e32 v238, 0
	v_mov_b32_e32 v239, 0
	v_mov_b32_e32 v117, 0
	v_mov_b32_e32 v27, 0
.LBB9_84:                               ;   in Loop: Header=BB9_12 Depth=1
	s_lshl_b32 s40, s64, 6
	v_readlane_b32 s38, v254, 4
	v_cmp_eq_u64_e32 vcc, 0, v[74:75]
	s_sub_i32 s54, s38, s40
	v_cmp_ne_u64_e64 s[62:63], 0, v[74:75]
	s_ashr_i32 s41, s40, 31
	v_readlane_b32 s39, v254, 5
	s_cbranch_vccnz .LBB9_102
; %bb.85:                               ;   in Loop: Header=BB9_12 Depth=1
	v_cmp_le_i32_e32 vcc, s54, v34
	s_and_saveexec_b64 s[38:39], vcc
	s_xor_b64 s[38:39], exec, s[38:39]
	s_cbranch_execz .LBB9_87
; %bb.86:                               ;   in Loop: Header=BB9_12 Depth=1
	ds_write_b16 v131, v37 offset:11264
	ds_write_b16 v184, v37 offset:11264
.LBB9_87:                               ;   in Loop: Header=BB9_12 Depth=1
	s_or_saveexec_b64 s[58:59], s[38:39]
	s_lshl_b64 s[38:39], s[40:41], 1
	v_lshl_add_u64 v[10:11], v[74:75], 0, s[38:39]
	v_lshlrev_b32_e32 v36, 1, v34
	v_lshl_add_u64 v[10:11], v[10:11], 0, v[36:37]
	v_mov_b32_e32 v1, 0
	v_mov_b32_e32 v12, 0
	s_xor_b64 exec, exec, s[58:59]
	s_cbranch_execz .LBB9_89
; %bb.88:                               ;   in Loop: Header=BB9_12 Depth=1
	v_add_u32_e32 v1, s65, v128
	v_mul_hi_u32 v12, s48, v1
	v_add_u32_e32 v12, v1, v12
	v_lshrrev_b32_e32 v12, s49, v12
	v_mul_lo_u32 v12, v12, s96
	v_readlane_b32 s38, v254, 52
	v_sub_u32_e32 v1, v1, v12
	v_readlane_b32 s39, v254, 53
	s_mov_b32 s60, s38
	v_mad_i64_i32 v[12:13], s[38:39], v1, s60, 0
	v_lshl_add_u64 v[12:13], v[12:13], 1, v[10:11]
	global_load_ushort v1, v[12:13], off
	v_add_u32_e32 v12, s65, v183
	v_mul_hi_u32 v13, s48, v12
	v_add_u32_e32 v13, v12, v13
	v_lshrrev_b32_e32 v13, s49, v13
	v_mul_lo_u32 v13, v13, s96
	v_sub_u32_e32 v12, v12, v13
	v_mad_i64_i32 v[12:13], s[38:39], v12, s60, 0
	v_lshl_add_u64 v[12:13], v[12:13], 1, v[10:11]
	global_load_ushort v12, v[12:13], off
	s_waitcnt vmcnt(1)
	ds_write_b16 v131, v1 offset:11264
	s_waitcnt vmcnt(0)
	ds_write_b16 v184, v12 offset:11264
	v_add_u32_e32 v1, s65, v185
	v_mul_hi_u32 v12, s48, v1
	v_add_u32_e32 v12, v1, v12
	v_lshrrev_b32_e32 v12, s49, v12
	v_mul_lo_u32 v12, v12, s96
	v_sub_u32_e32 v1, v1, v12
	v_mad_i64_i32 v[12:13], s[38:39], v1, s60, 0
	v_lshl_add_u64 v[12:13], v[12:13], 1, v[10:11]
	global_load_ushort v1, v[12:13], off
	v_add_u32_e32 v12, s65, v187
	v_mul_hi_u32 v13, s48, v12
	v_add_u32_e32 v13, v12, v13
	v_lshrrev_b32_e32 v13, s49, v13
	v_mul_lo_u32 v13, v13, s96
	v_sub_u32_e32 v12, v12, v13
	v_mad_i64_i32 v[12:13], s[38:39], v12, s60, 0
	v_lshl_add_u64 v[12:13], v[12:13], 1, v[10:11]
	global_load_ushort v12, v[12:13], off
.LBB9_89:                               ;   in Loop: Header=BB9_12 Depth=1
	s_or_b64 exec, exec, s[58:59]
	s_waitcnt vmcnt(1)
	ds_write_b16 v186, v1 offset:11264
	s_waitcnt vmcnt(0)
	ds_write_b16 v188, v12 offset:11264
	s_and_saveexec_b64 s[38:39], vcc
	s_xor_b64 s[38:39], exec, s[38:39]
	s_cbranch_execz .LBB9_91
; %bb.90:                               ;   in Loop: Header=BB9_12 Depth=1
	ds_write_b16 v190, v37 offset:11264
	ds_write_b16 v192, v37 offset:11264
.LBB9_91:                               ;   in Loop: Header=BB9_12 Depth=1
	s_or_saveexec_b64 s[58:59], s[38:39]
	v_mov_b32_e32 v1, 0
	v_mov_b32_e32 v12, 0
	s_xor_b64 exec, exec, s[58:59]
	s_cbranch_execz .LBB9_93
; %bb.92:                               ;   in Loop: Header=BB9_12 Depth=1
	v_add_u32_e32 v1, s65, v189
	v_mul_hi_u32 v12, s48, v1
	v_add_u32_e32 v12, v1, v12
	v_lshrrev_b32_e32 v12, s49, v12
	v_mul_lo_u32 v12, v12, s96
	v_readlane_b32 s38, v254, 52
	v_sub_u32_e32 v1, v1, v12
	v_readlane_b32 s39, v254, 53
	s_mov_b32 s60, s38
	v_mad_i64_i32 v[12:13], s[38:39], v1, s60, 0
	v_lshl_add_u64 v[12:13], v[12:13], 1, v[10:11]
	global_load_ushort v1, v[12:13], off
	v_add_u32_e32 v12, s65, v191
	v_mul_hi_u32 v13, s48, v12
	v_add_u32_e32 v13, v12, v13
	v_lshrrev_b32_e32 v13, s49, v13
	v_mul_lo_u32 v13, v13, s96
	v_sub_u32_e32 v12, v12, v13
	v_mad_i64_i32 v[12:13], s[38:39], v12, s60, 0
	v_lshl_add_u64 v[12:13], v[12:13], 1, v[10:11]
	global_load_ushort v12, v[12:13], off
	s_waitcnt vmcnt(1)
	ds_write_b16 v190, v1 offset:11264
	s_waitcnt vmcnt(0)
	ds_write_b16 v192, v12 offset:11264
	v_add_u32_e32 v1, s65, v193
	v_mul_hi_u32 v12, s48, v1
	v_add_u32_e32 v12, v1, v12
	v_lshrrev_b32_e32 v12, s49, v12
	v_mul_lo_u32 v12, v12, s96
	v_sub_u32_e32 v1, v1, v12
	v_mad_i64_i32 v[12:13], s[38:39], v1, s60, 0
	v_lshl_add_u64 v[12:13], v[12:13], 1, v[10:11]
	global_load_ushort v1, v[12:13], off
	v_add_u32_e32 v12, s65, v195
	v_mul_hi_u32 v13, s48, v12
	v_add_u32_e32 v13, v12, v13
	v_lshrrev_b32_e32 v13, s49, v13
	v_mul_lo_u32 v13, v13, s96
	v_sub_u32_e32 v12, v12, v13
	v_mad_i64_i32 v[12:13], s[38:39], v12, s60, 0
	v_lshl_add_u64 v[12:13], v[12:13], 1, v[10:11]
	global_load_ushort v12, v[12:13], off
.LBB9_93:                               ;   in Loop: Header=BB9_12 Depth=1
	s_or_b64 exec, exec, s[58:59]
	s_waitcnt vmcnt(1)
	ds_write_b16 v194, v1 offset:11264
	s_waitcnt vmcnt(0)
	ds_write_b16 v196, v12 offset:11264
	s_and_saveexec_b64 s[38:39], vcc
	s_xor_b64 s[38:39], exec, s[38:39]
	s_cbranch_execz .LBB9_95
; %bb.94:                               ;   in Loop: Header=BB9_12 Depth=1
	ds_write_b16 v198, v37 offset:11264
	ds_write_b16 v200, v37 offset:11264
.LBB9_95:                               ;   in Loop: Header=BB9_12 Depth=1
	s_or_saveexec_b64 s[58:59], s[38:39]
	v_mov_b32_e32 v1, 0
	v_mov_b32_e32 v12, 0
	s_xor_b64 exec, exec, s[58:59]
	s_cbranch_execz .LBB9_97
; %bb.96:                               ;   in Loop: Header=BB9_12 Depth=1
	v_add_u32_e32 v1, s65, v197
	v_mul_hi_u32 v12, s48, v1
	v_add_u32_e32 v12, v1, v12
	v_lshrrev_b32_e32 v12, s49, v12
	v_mul_lo_u32 v12, v12, s96
	v_readlane_b32 s38, v254, 52
	v_sub_u32_e32 v1, v1, v12
	v_readlane_b32 s39, v254, 53
	s_mov_b32 s60, s38
	v_mad_i64_i32 v[12:13], s[38:39], v1, s60, 0
	v_lshl_add_u64 v[12:13], v[12:13], 1, v[10:11]
	global_load_ushort v1, v[12:13], off
	v_add_u32_e32 v12, s65, v199
	v_mul_hi_u32 v13, s48, v12
	v_add_u32_e32 v13, v12, v13
	v_lshrrev_b32_e32 v13, s49, v13
	v_mul_lo_u32 v13, v13, s96
	v_sub_u32_e32 v12, v12, v13
	v_mad_i64_i32 v[12:13], s[38:39], v12, s60, 0
	v_lshl_add_u64 v[12:13], v[12:13], 1, v[10:11]
	global_load_ushort v12, v[12:13], off
	s_waitcnt vmcnt(1)
	ds_write_b16 v198, v1 offset:11264
	s_waitcnt vmcnt(0)
	ds_write_b16 v200, v12 offset:11264
	v_add_u32_e32 v1, s65, v201
	v_mul_hi_u32 v12, s48, v1
	v_add_u32_e32 v12, v1, v12
	v_lshrrev_b32_e32 v12, s49, v12
	v_mul_lo_u32 v12, v12, s96
	v_sub_u32_e32 v1, v1, v12
	v_mad_i64_i32 v[12:13], s[38:39], v1, s60, 0
	v_lshl_add_u64 v[12:13], v[12:13], 1, v[10:11]
	global_load_ushort v1, v[12:13], off
	v_add_u32_e32 v12, s65, v203
	v_mul_hi_u32 v13, s48, v12
	v_add_u32_e32 v13, v12, v13
	v_lshrrev_b32_e32 v13, s49, v13
	v_mul_lo_u32 v13, v13, s96
	v_sub_u32_e32 v12, v12, v13
	v_mad_i64_i32 v[12:13], s[38:39], v12, s60, 0
	v_lshl_add_u64 v[12:13], v[12:13], 1, v[10:11]
	global_load_ushort v12, v[12:13], off
.LBB9_97:                               ;   in Loop: Header=BB9_12 Depth=1
	s_or_b64 exec, exec, s[58:59]
	s_waitcnt vmcnt(1)
	ds_write_b16 v202, v1 offset:11264
	s_waitcnt vmcnt(0)
	ds_write_b16 v204, v12 offset:11264
	s_and_saveexec_b64 s[38:39], vcc
	s_xor_b64 s[38:39], exec, s[38:39]
	s_cbranch_execz .LBB9_99
; %bb.98:                               ;   in Loop: Header=BB9_12 Depth=1
	ds_write_b16 v206, v37 offset:11264
	ds_write_b16 v208, v37 offset:11264
                                        ; implicit-def: $vgpr10_vgpr11
.LBB9_99:                               ;   in Loop: Header=BB9_12 Depth=1
	s_or_saveexec_b64 s[58:59], s[38:39]
	v_mov_b32_e32 v1, 0
	v_mov_b32_e32 v12, 0
	s_xor_b64 exec, exec, s[58:59]
	s_cbranch_execz .LBB9_101
; %bb.100:                              ;   in Loop: Header=BB9_12 Depth=1
	v_add_u32_e32 v1, s65, v205
	v_mul_hi_u32 v12, s48, v1
	v_add_u32_e32 v12, v1, v12
	v_lshrrev_b32_e32 v12, s49, v12
	v_mul_lo_u32 v12, v12, s96
	v_readlane_b32 s38, v254, 52
	v_sub_u32_e32 v1, v1, v12
	v_readlane_b32 s39, v254, 53
	s_mov_b32 s60, s38
	v_mad_i64_i32 v[12:13], s[38:39], v1, s60, 0
	v_lshl_add_u64 v[12:13], v[12:13], 1, v[10:11]
	global_load_ushort v1, v[12:13], off
	v_add_u32_e32 v12, s65, v207
	v_mul_hi_u32 v13, s48, v12
	v_add_u32_e32 v13, v12, v13
	v_lshrrev_b32_e32 v13, s49, v13
	v_mul_lo_u32 v13, v13, s96
	v_sub_u32_e32 v12, v12, v13
	v_mad_i64_i32 v[12:13], s[38:39], v12, s60, 0
	v_lshl_add_u64 v[12:13], v[12:13], 1, v[10:11]
	global_load_ushort v12, v[12:13], off
	s_waitcnt vmcnt(1)
	ds_write_b16 v206, v1 offset:11264
	s_waitcnt vmcnt(0)
	ds_write_b16 v208, v12 offset:11264
	v_add_u32_e32 v1, s65, v209
	v_mul_hi_u32 v12, s48, v1
	v_add_u32_e32 v12, v1, v12
	v_lshrrev_b32_e32 v12, s49, v12
	v_mul_lo_u32 v12, v12, s96
	v_sub_u32_e32 v1, v1, v12
	v_mad_i64_i32 v[12:13], s[38:39], v1, s60, 0
	v_lshl_add_u64 v[12:13], v[12:13], 1, v[10:11]
	global_load_ushort v1, v[12:13], off
	v_add_u32_e32 v12, s65, v211
	v_mul_hi_u32 v13, s48, v12
	v_add_u32_e32 v13, v12, v13
	v_lshrrev_b32_e32 v13, s49, v13
	v_mul_lo_u32 v13, v13, s96
	v_sub_u32_e32 v12, v12, v13
	v_mad_i64_i32 v[12:13], s[38:39], v12, s60, 0
	v_lshl_add_u64 v[10:11], v[12:13], 1, v[10:11]
	global_load_ushort v12, v[10:11], off
.LBB9_101:                              ;   in Loop: Header=BB9_12 Depth=1
	s_or_b64 exec, exec, s[58:59]
	s_waitcnt vmcnt(1)
	ds_write_b16 v210, v1 offset:11264
	s_waitcnt vmcnt(0)
	ds_write_b16 v212, v12 offset:11264
.LBB9_102:                              ;   in Loop: Header=BB9_12 Depth=1
	s_mul_hi_i32 s39, s40, s98
	s_mul_i32 s38, s40, s98
	s_lshl_b64 s[38:39], s[38:39], 2
	s_add_u32 s58, s52, s38
	s_addc_u32 s59, s50, s39
	scratch_store_dwordx4 off, v[174:177], off
	s_and_saveexec_b64 s[38:39], s[4:5]
	s_cbranch_execz .LBB9_104
; %bb.103:                              ;   in Loop: Header=BB9_12 Depth=1
	v_lshl_add_u64 v[10:11], v[46:47], 2, s[58:59]
	v_lshlrev_b32_e32 v36, 2, v48
	v_lshl_add_u64 v[10:11], v[10:11], 0, v[36:37]
	v_lshl_add_u64 v[10:11], v[10:11], 0, s[56:57]
	v_mov_b32_e32 v1, s43
	v_cmp_gt_i32_e32 vcc, s54, v132
	s_nop 1
	v_cndmask_b32_e32 v11, v1, v11, vcc
	v_cndmask_b32_e32 v10, v233, v10, vcc
	flat_load_dwordx4 v[10:13], v[10:11]
	s_waitcnt vmcnt(0) lgkmcnt(0)
	ds_write_b128 v139, v[10:13]
.LBB9_104:                              ;   in Loop: Header=BB9_12 Depth=1
	s_or_b64 exec, exec, s[38:39]
	v_lshl_add_u64 v[10:11], v[42:43], 2, s[58:59]
	v_lshlrev_b32_e32 v36, 2, v40
	v_lshl_add_u64 v[10:11], v[10:11], 0, v[36:37]
	v_mov_b32_e32 v1, s43
	v_cmp_gt_i32_e64 s[60:61], s54, v41
	v_lshl_add_u64 v[14:15], v[44:45], 2, s[58:59]
	v_lshl_add_u64 v[14:15], v[14:15], 0, v[36:37]
	v_cndmask_b32_e64 v11, v1, v11, s[60:61]
	v_cndmask_b32_e64 v10, v233, v10, s[60:61]
	flat_load_dwordx4 v[10:13], v[10:11]
	v_cmp_gt_i32_e64 s[58:59], s54, v135
	v_add_u32_e32 v26, 0x1000, v138
	v_add_u32_e32 v94, 0x2000, v138
	v_cndmask_b32_e64 v15, v1, v15, s[58:59]
	v_cndmask_b32_e64 v14, v233, v14, s[58:59]
	v_add_u32_e32 v1, 0x800, v138
	s_andn2_b64 vcc, exec, s[62:63]
	s_waitcnt vmcnt(0) lgkmcnt(0)
	ds_write_b128 v134, v[10:13]
	flat_load_dwordx4 v[10:13], v[14:15]
	s_waitcnt vmcnt(0) lgkmcnt(0)
	ds_write_b128 v137, v[10:13]
	s_waitcnt lgkmcnt(0)
	s_barrier
	ds_read2_b64 v[10:13], v138 offset1:4
	ds_read2_b64 v[18:21], v1 offset0:96 offset1:100
	ds_read2_b64 v[78:81], v26 offset0:192 offset1:196
	;; [unrolled: 1-line block ×3, first 2 shown]
	s_waitcnt lgkmcnt(3)
	v_mfma_f32_16x16x16_f16 v[14:17], v[10:11], v[6:7], 0
	s_waitcnt lgkmcnt(2)
	v_mfma_f32_16x16x16_f16 v[22:25], v[18:19], v[6:7], 0
	;; [unrolled: 2-line block ×4, first 2 shown]
	v_mfma_f32_16x16x16_f16 v[10:13], v[12:13], v[8:9], v[14:17]
	v_mfma_f32_16x16x16_f16 v[14:17], v[20:21], v[8:9], v[22:25]
	;; [unrolled: 1-line block ×3, first 2 shown]
	s_nop 1
	ds_read2_b64 v[22:25], v138 offset0:8 offset1:12
	ds_read2_b64 v[78:81], v1 offset0:104 offset1:108
	v_mfma_f32_16x16x16_f16 v[6:9], v[88:89], v[8:9], v[90:93]
	ds_read2_b64 v[82:85], v26 offset0:200 offset1:204
	ds_read2_b64 v[86:89], v94 offset0:40 offset1:44
	s_waitcnt lgkmcnt(3)
	v_mfma_f32_16x16x16_f16 v[10:13], v[22:23], v[2:3], v[10:13]
	s_waitcnt lgkmcnt(2)
	v_mfma_f32_16x16x16_f16 v[14:17], v[78:79], v[2:3], v[14:17]
	s_waitcnt lgkmcnt(1)
	v_mfma_f32_16x16x16_f16 v[18:21], v[82:83], v[2:3], v[18:21]
	s_waitcnt lgkmcnt(0)
	v_mfma_f32_16x16x16_f16 v[6:9], v[86:87], v[2:3], v[6:9]
	ds_read_b64 v[2:3], v138 offset:128
	v_mfma_f32_16x16x16_f16 v[10:13], v[24:25], v[4:5], v[10:13]
	v_mfma_f32_16x16x16_f16 v[14:17], v[80:81], v[4:5], v[14:17]
	;; [unrolled: 1-line block ×3, first 2 shown]
	s_nop 3
	ds_read_b64 v[6:7], v138 offset:2944
	ds_read_b64 v[78:79], v138 offset:5760
	ds_read_b64 v[80:81], v138 offset:8576
	s_waitcnt lgkmcnt(0)
	s_barrier
	v_mfma_f32_16x16x16_f16 v[18:21], v[84:85], v[4:5], v[18:21]
	v_mfma_f32_16x16x16_f16 v[2:5], v[2:3], v[76:77], v[10:13]
	;; [unrolled: 1-line block ×5, first 2 shown]
	s_cbranch_vccnz .LBB9_106
; %bb.105:                              ;   in Loop: Header=BB9_12 Depth=1
	ds_read_b32 v1, v141 offset:11264
	s_waitcnt lgkmcnt(0)
	s_nop 0
	v_cvt_f32_f16_sdwa v19, v1 dst_sel:DWORD dst_unused:UNUSED_PAD src0_sel:WORD_1
	v_cvt_f32_f16_e32 v18, v1
	ds_read_b32 v1, v142 offset:11264
	v_pk_fma_f32 v[2:3], v[72:73], v[18:19], v[2:3] op_sel_hi:[0,1,1]
	s_waitcnt lgkmcnt(0)
	v_cvt_f32_f16_sdwa v21, v1 dst_sel:DWORD dst_unused:UNUSED_PAD src0_sel:WORD_1
	v_cvt_f32_f16_e32 v20, v1
	v_add_u32_e32 v1, 0x2c00, v144
	ds_read2_b32 v[18:19], v1 offset1:1
	v_add_u32_e32 v1, 0x2c00, v146
	v_pk_fma_f32 v[4:5], v[72:73], v[20:21], v[4:5] op_sel_hi:[0,1,1]
	s_waitcnt lgkmcnt(0)
	v_cvt_f32_f16_e32 v20, v18
	v_cvt_f32_f16_sdwa v21, v18 dst_sel:DWORD dst_unused:UNUSED_PAD src0_sel:WORD_1
	v_cvt_f32_f16_e32 v18, v19
	v_cvt_f32_f16_sdwa v19, v19 dst_sel:DWORD dst_unused:UNUSED_PAD src0_sel:WORD_1
	v_pk_fma_f32 v[6:7], v[72:73], v[20:21], v[6:7] op_sel_hi:[0,1,1]
	v_pk_fma_f32 v[8:9], v[72:73], v[18:19], v[8:9] op_sel_hi:[0,1,1]
	ds_read2_b32 v[18:19], v1 offset1:1
	v_add_u32_e32 v1, 0x2c00, v148
	s_waitcnt lgkmcnt(0)
	v_cvt_f32_f16_e32 v20, v18
	v_cvt_f32_f16_sdwa v21, v18 dst_sel:DWORD dst_unused:UNUSED_PAD src0_sel:WORD_1
	v_cvt_f32_f16_e32 v18, v19
	v_cvt_f32_f16_sdwa v19, v19 dst_sel:DWORD dst_unused:UNUSED_PAD src0_sel:WORD_1
	v_pk_fma_f32 v[10:11], v[72:73], v[20:21], v[10:11] op_sel_hi:[0,1,1]
	v_pk_fma_f32 v[12:13], v[72:73], v[18:19], v[12:13] op_sel_hi:[0,1,1]
	ds_read2_b32 v[18:19], v1 offset1:1
	s_waitcnt lgkmcnt(0)
	v_cvt_f32_f16_e32 v20, v18
	v_cvt_f32_f16_sdwa v21, v18 dst_sel:DWORD dst_unused:UNUSED_PAD src0_sel:WORD_1
	v_cvt_f32_f16_e32 v18, v19
	v_cvt_f32_f16_sdwa v19, v19 dst_sel:DWORD dst_unused:UNUSED_PAD src0_sel:WORD_1
	v_pk_fma_f32 v[14:15], v[72:73], v[20:21], v[14:15] op_sel_hi:[0,1,1]
	v_pk_fma_f32 v[16:17], v[72:73], v[18:19], v[16:17] op_sel_hi:[0,1,1]
.LBB9_106:                              ;   in Loop: Header=BB9_12 Depth=1
	s_nop 3
	v_add_f32_e32 v1, 0x40051340, v2
	v_max_f32_e32 v18, v73, v73
	v_max_f32_e32 v1, v18, v1
	v_cmp_gt_u32_e64 s[90:91], s54, v140
	v_add_f32_e32 v18, 0x40051340, v3
	v_cmp_gt_u32_e64 s[88:89], s54, v217
	v_cndmask_b32_e64 v1, v73, v1, s[90:91]
	v_max_f32_e32 v19, v1, v1
	v_max_f32_e32 v18, v19, v18
	v_cndmask_b32_e64 v1, v1, v18, s[88:89]
	v_add_f32_e32 v18, 0x40051340, v4
	v_max_f32_e32 v19, v1, v1
	v_max_f32_e32 v18, v19, v18
	v_cmp_gt_u32_e64 s[86:87], s54, v218
	v_cmp_gt_u32_e32 vcc, s54, v158
	v_cmp_gt_u32_e64 s[84:85], s54, v143
	v_cndmask_b32_e64 v1, v1, v18, s[86:87]
	v_add_f32_e32 v18, 0x40051340, v5
	v_max_f32_e32 v19, v1, v1
	v_max_f32_e32 v18, v19, v18
	v_cndmask_b32_e32 v1, v1, v18, vcc
	v_add_f32_e32 v18, 0x40051340, v6
	v_max_f32_e32 v19, v1, v1
	v_max_f32_e32 v18, v19, v18
	v_cndmask_b32_e64 v1, v1, v18, s[84:85]
	v_add_f32_e32 v18, 0x40051340, v7
	v_max_f32_e32 v19, v1, v1
	v_max_f32_e32 v18, v19, v18
	v_cmp_gt_u32_e64 s[82:83], s54, v219
	v_cmp_gt_u32_e64 s[80:81], s54, v214
	v_cmp_gt_u32_e64 s[62:63], s54, v220
	v_cndmask_b32_e64 v1, v1, v18, s[82:83]
	v_add_f32_e32 v18, 0x40051340, v8
	v_max_f32_e32 v19, v1, v1
	v_max_f32_e32 v18, v19, v18
	v_cndmask_b32_e64 v1, v1, v18, s[80:81]
	v_add_f32_e32 v18, 0x40051340, v9
	v_max_f32_e32 v19, v1, v1
	v_max_f32_e32 v18, v19, v18
	v_cndmask_b32_e64 v1, v1, v18, s[62:63]
	v_add_f32_e32 v18, 0x40051340, v10
	v_max_f32_e32 v19, v1, v1
	v_max_f32_e32 v18, v19, v18
	v_cmp_gt_u32_e64 s[78:79], s54, v145
	v_cmp_gt_u32_e64 s[76:77], s54, v221
	v_cmp_gt_u32_e64 s[74:75], s54, v215
	v_cndmask_b32_e64 v1, v1, v18, s[78:79]
	v_add_f32_e32 v18, 0x40051340, v11
	v_max_f32_e32 v19, v1, v1
	v_max_f32_e32 v18, v19, v18
	v_cndmask_b32_e64 v1, v1, v18, s[76:77]
	;; [unrolled: 15-line block ×3, first 2 shown]
	v_add_f32_e32 v18, 0x40051340, v15
	v_max_f32_e32 v19, v1, v1
	v_max_f32_e32 v18, v19, v18
	v_cndmask_b32_e64 v1, v1, v18, s[70:71]
	v_add_f32_e32 v18, 0x40051340, v16
	v_max_f32_e32 v19, v1, v1
	v_max_f32_e32 v18, v19, v18
	v_cmp_gt_u32_e64 s[68:69], s54, v216
	v_cmp_gt_u32_e64 s[66:67], s54, v224
	s_mul_hi_i32 s39, s40, s2
	v_cndmask_b32_e64 v1, v1, v18, s[68:69]
	v_add_f32_e32 v18, 0x40051340, v17
	v_max_f32_e32 v19, v1, v1
	v_max_f32_e32 v18, v19, v18
	v_cndmask_b32_e64 v1, v1, v18, s[66:67]
	v_and_b32_e32 v18, 64, v232
	v_add_u32_e32 v18, 64, v18
	v_xor_b32_e32 v19, 32, v232
	v_cmp_lt_i32_e64 s[94:95], v19, v18
	s_mul_i32 s38, s40, s2
	s_lshl_b64 s[38:39], s[38:39], 2
	v_cndmask_b32_e64 v19, v232, v19, s[94:95]
	v_lshlrev_b32_e32 v26, 2, v19
	ds_bpermute_b32 v19, v26, v1
	v_max_f32_e32 v1, v1, v1
	s_add_u32 s40, s51, s38
	v_readlane_b32 s38, v255, 24
	s_addc_u32 s41, s38, s39
	s_waitcnt lgkmcnt(0)
	v_max_f32_e32 v19, v19, v19
	v_max_f32_e32 v1, v1, v19
	v_xor_b32_e32 v19, 16, v232
	v_cmp_lt_i32_e64 s[94:95], v19, v18
	scratch_store_dwordx4 off, v[174:177], off
	s_nop 0
	v_cndmask_b32_e64 v18, v232, v19, s[94:95]
	v_lshlrev_b32_e32 v23, 2, v18
	ds_bpermute_b32 v18, v23, v1
	s_and_saveexec_b64 s[38:39], s[4:5]
	s_cbranch_execz .LBB9_108
; %bb.107:                              ;   in Loop: Header=BB9_12 Depth=1
	v_lshl_add_u64 v[20:21], v[50:51], 2, s[40:41]
	v_lshlrev_b32_e32 v24, 2, v48
	v_mov_b32_e32 v25, v37
	v_lshl_add_u64 v[20:21], v[20:21], 0, v[24:25]
	v_lshl_add_u64 v[20:21], v[20:21], 0, s[56:57]
	v_mov_b32_e32 v19, s43
	v_cmp_gt_i32_e64 s[94:95], s54, v132
	s_nop 1
	v_cndmask_b32_e64 v21, v19, v21, s[94:95]
	v_cndmask_b32_e64 v20, v233, v20, s[94:95]
	flat_load_dwordx4 v[76:79], v[20:21]
	s_waitcnt vmcnt(0) lgkmcnt(0)
	ds_write_b128 v139, v[76:79]
.LBB9_108:                              ;   in Loop: Header=BB9_12 Depth=1
	s_or_b64 exec, exec, s[38:39]
	s_waitcnt lgkmcnt(0)
	v_max_f32_e32 v18, v18, v18
	v_max_f32_e32 v1, v1, v1
	;; [unrolled: 1-line block ×3, first 2 shown]
	v_sub_f32_e32 v1, v2, v22
	v_mul_f32_e32 v2, 0x3fb8aa3b, v1
	v_fma_f32 v18, v1, s42, -v2
	v_rndne_f32_e32 v19, v2
	v_fmac_f32_e32 v18, 0x32a5705f, v1
	v_sub_f32_e32 v2, v2, v19
	v_add_f32_e32 v2, v2, v18
	v_exp_f32_e32 v2, v2
	v_cvt_i32_f32_e32 v18, v19
	v_cmp_ngt_f32_e64 s[94:95], s53, v1
	v_sub_f32_e32 v4, v4, v22
	v_sub_f32_e32 v5, v5, v22
	v_ldexp_f32 v2, v2, v18
	v_cndmask_b32_e64 v2, 0, v2, s[94:95]
	v_cmp_nlt_f32_e64 s[94:95], s97, v1
	s_nop 1
	v_cndmask_b32_e64 v1, v230, v2, s[94:95]
	v_cndmask_b32_e64 v2, 0, v1, s[90:91]
	v_sub_f32_e32 v1, v3, v22
	v_mul_f32_e32 v3, 0x3fb8aa3b, v1
	v_fma_f32 v18, v1, s42, -v3
	v_rndne_f32_e32 v19, v3
	v_fmac_f32_e32 v18, 0x32a5705f, v1
	v_sub_f32_e32 v3, v3, v19
	v_add_f32_e32 v3, v3, v18
	v_exp_f32_e32 v3, v3
	v_cvt_i32_f32_e32 v18, v19
	v_cmp_ngt_f32_e64 s[90:91], s53, v1
	v_ldexp_f32 v3, v3, v18
	s_nop 0
	v_cndmask_b32_e64 v3, 0, v3, s[90:91]
	v_cmp_nlt_f32_e64 s[90:91], s97, v1
	v_mov_b32_e32 v1, s55
	s_nop 0
	v_cndmask_b32_e64 v3, v230, v3, s[90:91]
	v_add_f32_e32 v18, v3, v2
	v_cndmask_b32_e64 v1, v1, v3, s[88:89]
	v_cndmask_b32_e64 v3, v2, v18, s[88:89]
	v_mul_f32_e32 v18, 0x3fb8aa3b, v4
	v_fma_f32 v19, v4, s42, -v18
	v_rndne_f32_e32 v20, v18
	v_fmac_f32_e32 v19, 0x32a5705f, v4
	v_sub_f32_e32 v18, v18, v20
	v_add_f32_e32 v18, v18, v19
	v_exp_f32_e32 v18, v18
	v_cvt_i32_f32_e32 v19, v20
	v_cmp_ngt_f32_e64 s[88:89], s53, v4
	v_ldexp_f32 v18, v18, v19
	s_nop 0
	v_cndmask_b32_e64 v18, 0, v18, s[88:89]
	v_cmp_nlt_f32_e64 s[88:89], s97, v4
	v_mov_b32_e32 v4, s55
	s_nop 0
	v_cndmask_b32_e64 v18, v230, v18, s[88:89]
	v_add_f32_e32 v19, v3, v18
	v_cndmask_b32_e64 v4, v4, v18, s[86:87]
	v_mul_f32_e32 v18, 0x3fb8aa3b, v5
	v_cndmask_b32_e64 v3, v3, v19, s[86:87]
	v_fma_f32 v19, v5, s42, -v18
	v_rndne_f32_e32 v20, v18
	v_fmac_f32_e32 v19, 0x32a5705f, v5
	v_sub_f32_e32 v18, v18, v20
	v_add_f32_e32 v18, v18, v19
	v_exp_f32_e32 v18, v18
	v_cvt_i32_f32_e32 v19, v20
	v_cmp_ngt_f32_e64 s[86:87], s53, v5
	v_ldexp_f32 v18, v18, v19
	s_nop 0
	v_cndmask_b32_e64 v18, 0, v18, s[86:87]
	v_cmp_nlt_f32_e64 s[86:87], s97, v5
	s_nop 1
	v_cndmask_b32_e64 v18, v230, v18, s[86:87]
	v_add_f32_e32 v5, v3, v18
	v_cndmask_b32_e32 v3, v3, v5, vcc
	v_sub_f32_e32 v5, v6, v22
	v_mul_f32_e32 v6, 0x3fb8aa3b, v5
	v_fma_f32 v19, v5, s42, -v6
	v_rndne_f32_e32 v20, v6
	v_fmac_f32_e32 v19, 0x32a5705f, v5
	v_sub_f32_e32 v6, v6, v20
	v_add_f32_e32 v6, v6, v19
	v_exp_f32_e32 v6, v6
	v_cvt_i32_f32_e32 v19, v20
	v_cmp_ngt_f32_e64 s[86:87], s53, v5
	v_ldexp_f32 v6, v6, v19
	s_nop 0
	v_cndmask_b32_e64 v6, 0, v6, s[86:87]
	v_cmp_nlt_f32_e64 s[86:87], s97, v5
	s_nop 1
	v_cndmask_b32_e64 v5, v230, v6, s[86:87]
	v_add_f32_e32 v19, v5, v3
	v_mov_b32_e32 v6, s55
	v_cndmask_b32_e64 v6, v6, v5, s[84:85]
	v_cndmask_b32_e64 v5, v3, v19, s[84:85]
	v_sub_f32_e32 v3, v7, v22
	v_mul_f32_e32 v7, 0x3fb8aa3b, v3
	v_fma_f32 v19, v3, s42, -v7
	v_rndne_f32_e32 v20, v7
	v_fmac_f32_e32 v19, 0x32a5705f, v3
	v_sub_f32_e32 v7, v7, v20
	v_add_f32_e32 v7, v7, v19
	v_exp_f32_e32 v7, v7
	v_cvt_i32_f32_e32 v19, v20
	v_cmp_ngt_f32_e64 s[84:85], s53, v3
	v_ldexp_f32 v7, v7, v19
	s_nop 0
	v_cndmask_b32_e64 v7, 0, v7, s[84:85]
	v_cmp_nlt_f32_e64 s[84:85], s97, v3
	v_mov_b32_e32 v3, s55
	s_nop 0
	v_cndmask_b32_e64 v7, v230, v7, s[84:85]
	v_add_f32_e32 v19, v7, v5
	v_cndmask_b32_e64 v3, v3, v7, s[82:83]
	v_sub_f32_e32 v7, v8, v22
	v_mul_f32_e32 v8, 0x3fb8aa3b, v7
	v_cndmask_b32_e64 v5, v5, v19, s[82:83]
	v_fma_f32 v19, v7, s42, -v8
	v_rndne_f32_e32 v20, v8
	v_fmac_f32_e32 v19, 0x32a5705f, v7
	v_sub_f32_e32 v8, v8, v20
	v_add_f32_e32 v8, v8, v19
	v_exp_f32_e32 v8, v8
	v_cvt_i32_f32_e32 v19, v20
	v_cmp_ngt_f32_e64 s[82:83], s53, v7
	s_mov_b32 s84, 0xc1a00000
	v_ldexp_f32 v8, v8, v19
	v_cndmask_b32_e64 v8, 0, v8, s[82:83]
	v_cmp_nlt_f32_e64 s[82:83], s97, v7
	s_nop 1
	v_cndmask_b32_e64 v7, v230, v8, s[82:83]
	v_mov_b32_e32 v8, s55
	v_add_f32_e32 v19, v7, v5
	v_cndmask_b32_e64 v8, v8, v7, s[80:81]
	v_sub_f32_e32 v7, v9, v22
	v_mul_f32_e32 v9, 0x3fb8aa3b, v7
	v_cndmask_b32_e64 v5, v5, v19, s[80:81]
	v_fma_f32 v19, v7, s42, -v9
	v_rndne_f32_e32 v20, v9
	v_fmac_f32_e32 v19, 0x32a5705f, v7
	v_sub_f32_e32 v9, v9, v20
	v_add_f32_e32 v9, v9, v19
	v_exp_f32_e32 v9, v9
	v_cvt_i32_f32_e32 v19, v20
	v_cmp_ngt_f32_e64 s[80:81], s53, v7
	v_ldexp_f32 v9, v9, v19
	s_nop 0
	v_cndmask_b32_e64 v9, 0, v9, s[80:81]
	v_cmp_nlt_f32_e64 s[80:81], s97, v7
	s_nop 1
	v_cndmask_b32_e64 v20, v230, v9, s[80:81]
	v_add_f32_e32 v7, v20, v5
	v_cndmask_b32_e64 v5, v5, v7, s[62:63]
	v_sub_f32_e32 v7, v10, v22
	v_mul_f32_e32 v9, 0x3fb8aa3b, v7
	v_fma_f32 v10, v7, s42, -v9
	v_rndne_f32_e32 v19, v9
	v_fmac_f32_e32 v10, 0x32a5705f, v7
	v_sub_f32_e32 v9, v9, v19
	v_add_f32_e32 v9, v9, v10
	v_exp_f32_e32 v9, v9
	v_cvt_i32_f32_e32 v10, v19
	v_cmp_ngt_f32_e64 s[80:81], s53, v7
	v_ldexp_f32 v9, v9, v10
	s_nop 0
	v_cndmask_b32_e64 v9, 0, v9, s[80:81]
	v_cmp_nlt_f32_e64 s[80:81], s97, v7
	v_mov_b32_e32 v10, s55
	s_nop 0
	v_cndmask_b32_e64 v7, v230, v9, s[80:81]
	v_add_f32_e32 v9, v7, v5
	v_cndmask_b32_e64 v10, v10, v7, s[78:79]
	v_cndmask_b32_e64 v7, v5, v9, s[78:79]
	v_sub_f32_e32 v5, v11, v22
	v_mul_f32_e32 v9, 0x3fb8aa3b, v5
	v_fma_f32 v11, v5, s42, -v9
	v_rndne_f32_e32 v19, v9
	v_fmac_f32_e32 v11, 0x32a5705f, v5
	v_sub_f32_e32 v9, v9, v19
	v_add_f32_e32 v9, v9, v11
	v_exp_f32_e32 v9, v9
	v_cvt_i32_f32_e32 v11, v19
	v_cmp_ngt_f32_e64 s[78:79], s53, v5
	v_ldexp_f32 v9, v9, v11
	s_nop 0
	v_cndmask_b32_e64 v9, 0, v9, s[78:79]
	v_cmp_nlt_f32_e64 s[78:79], s97, v5
	v_mov_b32_e32 v5, s55
	s_nop 0
	v_cndmask_b32_e64 v9, v230, v9, s[78:79]
	v_add_f32_e32 v11, v9, v7
	v_cndmask_b32_e64 v5, v5, v9, s[76:77]
	v_sub_f32_e32 v9, v12, v22
	v_cndmask_b32_e64 v7, v7, v11, s[76:77]
	v_mul_f32_e32 v11, 0x3fb8aa3b, v9
	v_fma_f32 v12, v9, s42, -v11
	v_rndne_f32_e32 v19, v11
	v_fmac_f32_e32 v12, 0x32a5705f, v9
	v_sub_f32_e32 v11, v11, v19
	v_add_f32_e32 v11, v11, v12
	v_exp_f32_e32 v11, v11
	v_cvt_i32_f32_e32 v12, v19
	v_cmp_ngt_f32_e64 s[76:77], s53, v9
	v_ldexp_f32 v11, v11, v12
	s_nop 0
	v_cndmask_b32_e64 v11, 0, v11, s[76:77]
	v_cmp_nlt_f32_e64 s[76:77], s97, v9
	v_mov_b32_e32 v12, s55
	s_nop 0
	v_cndmask_b32_e64 v9, v230, v11, s[76:77]
	v_add_f32_e32 v11, v9, v7
	v_cndmask_b32_e64 v12, v12, v9, s[74:75]
	v_sub_f32_e32 v9, v13, v22
	v_cndmask_b32_e64 v7, v7, v11, s[74:75]
	v_mul_f32_e32 v11, 0x3fb8aa3b, v9
	v_fma_f32 v13, v9, s42, -v11
	v_rndne_f32_e32 v19, v11
	v_fmac_f32_e32 v13, 0x32a5705f, v9
	v_sub_f32_e32 v11, v11, v19
	v_add_f32_e32 v11, v11, v13
	v_exp_f32_e32 v11, v11
	v_cvt_i32_f32_e32 v13, v19
	v_cmp_ngt_f32_e64 s[74:75], s53, v9
	v_ldexp_f32 v11, v11, v13
	s_nop 0
	v_cndmask_b32_e64 v11, 0, v11, s[74:75]
	v_cmp_nlt_f32_e64 s[74:75], s97, v9
	s_nop 1
	v_cndmask_b32_e64 v21, v230, v11, s[74:75]
	v_add_f32_e32 v9, v21, v7
	v_cndmask_b32_e64 v7, v7, v9, s[64:65]
	v_sub_f32_e32 v9, v14, v22
	v_mul_f32_e32 v11, 0x3fb8aa3b, v9
	v_fma_f32 v13, v9, s42, -v11
	v_rndne_f32_e32 v14, v11
	v_fmac_f32_e32 v13, 0x32a5705f, v9
	v_sub_f32_e32 v11, v11, v14
	v_add_f32_e32 v11, v11, v13
	v_exp_f32_e32 v11, v11
	v_cvt_i32_f32_e32 v13, v14
	v_cmp_ngt_f32_e64 s[74:75], s53, v9
	v_mov_b32_e32 v14, s55
	v_ldexp_f32 v11, v11, v13
	v_cndmask_b32_e64 v11, 0, v11, s[74:75]
	v_cmp_nlt_f32_e64 s[74:75], s97, v9
	s_nop 1
	v_cndmask_b32_e64 v9, v230, v11, s[74:75]
	v_add_f32_e32 v11, v9, v7
	v_cndmask_b32_e64 v14, v14, v9, s[72:73]
	v_cndmask_b32_e64 v9, v7, v11, s[72:73]
	v_sub_f32_e32 v7, v15, v22
	v_mul_f32_e32 v11, 0x3fb8aa3b, v7
	v_fma_f32 v13, v7, s42, -v11
	v_rndne_f32_e32 v15, v11
	v_fmac_f32_e32 v13, 0x32a5705f, v7
	v_sub_f32_e32 v11, v11, v15
	v_add_f32_e32 v11, v11, v13
	v_exp_f32_e32 v11, v11
	v_cvt_i32_f32_e32 v13, v15
	v_cmp_ngt_f32_e64 s[72:73], s53, v7
	v_ldexp_f32 v11, v11, v13
	s_nop 0
	v_cndmask_b32_e64 v11, 0, v11, s[72:73]
	v_cmp_nlt_f32_e64 s[72:73], s97, v7
	v_mov_b32_e32 v7, s55
	s_nop 0
	v_cndmask_b32_e64 v11, v230, v11, s[72:73]
	v_add_f32_e32 v13, v11, v9
	v_cndmask_b32_e64 v7, v7, v11, s[70:71]
	v_sub_f32_e32 v11, v16, v22
	v_cndmask_b32_e64 v9, v9, v13, s[70:71]
	v_mul_f32_e32 v13, 0x3fb8aa3b, v11
	v_fma_f32 v15, v11, s42, -v13
	v_rndne_f32_e32 v16, v13
	v_fmac_f32_e32 v15, 0x32a5705f, v11
	v_sub_f32_e32 v13, v13, v16
	v_add_f32_e32 v13, v13, v15
	v_exp_f32_e32 v13, v13
	v_cvt_i32_f32_e32 v15, v16
	v_cmp_ngt_f32_e64 s[70:71], s53, v11
	v_mov_b32_e32 v16, s55
	v_readlane_b32 s72, v255, 29
	v_ldexp_f32 v13, v13, v15
	v_cndmask_b32_e64 v13, 0, v13, s[70:71]
	v_cmp_nlt_f32_e64 s[70:71], s97, v11
	v_readlane_b32 s73, v255, 30
	s_cmp_eq_u64 s[72:73], 0
	v_cndmask_b32_e64 v11, v230, v13, s[70:71]
	v_add_f32_e32 v13, v11, v9
	v_cndmask_b32_e64 v16, v16, v11, s[68:69]
	v_sub_f32_e32 v11, v17, v22
	v_cndmask_b32_e64 v9, v9, v13, s[68:69]
	v_mul_f32_e32 v13, 0x3fb8aa3b, v11
	v_fma_f32 v15, v11, s42, -v13
	v_rndne_f32_e32 v17, v13
	v_fmac_f32_e32 v15, 0x32a5705f, v11
	v_sub_f32_e32 v13, v13, v17
	v_add_f32_e32 v13, v13, v15
	v_exp_f32_e32 v13, v13
	v_cvt_i32_f32_e32 v15, v17
	v_cmp_ngt_f32_e64 s[68:69], s53, v11
	v_ldexp_f32 v13, v13, v15
	s_nop 0
	v_cndmask_b32_e64 v13, 0, v13, s[68:69]
	v_cmp_nlt_f32_e64 s[68:69], s97, v11
	s_nop 1
	v_cndmask_b32_e64 v19, v230, v13, s[68:69]
	v_add_f32_e32 v11, v19, v9
	v_cndmask_b32_e64 v15, v9, v11, s[66:67]
	v_sub_f32_e32 v9, v73, v22
	v_mul_f32_e32 v11, 0x3fb8aa3b, v9
	v_fma_f32 v13, v9, s42, -v11
	v_rndne_f32_e32 v17, v11
	v_fmac_f32_e32 v13, 0x32a5705f, v9
	v_sub_f32_e32 v11, v11, v17
	v_add_f32_e32 v11, v11, v13
	v_exp_f32_e32 v11, v11
	v_cvt_i32_f32_e32 v13, v17
	v_cmp_ngt_f32_e64 s[68:69], s53, v9
	v_ldexp_f32 v11, v11, v13
	s_nop 0
	v_cndmask_b32_e64 v11, 0, v11, s[68:69]
	v_cmp_nlt_f32_e64 s[68:69], s97, v9
	s_nop 1
	v_cndmask_b32_e64 v11, v230, v11, s[68:69]
	v_cmp_le_f32_e64 s[68:69], s84, v9
	s_nop 1
	v_cndmask_b32_e64 v9, 0, v11, s[68:69]
	v_fmac_f32_e32 v15, v127, v9
	v_cvt_f16_f32_e32 v9, v9
	v_mul_u32_u24_e32 v13, 0x10001, v9
	v_pk_mul_f16 v80, v239, v13
	v_pk_mul_f16 v79, v238, v13
	;; [unrolled: 1-line block ×10, first 2 shown]
	v_mov_b32_e32 v13, s55
	v_cndmask_b32_e64 v13, v13, v19, s[66:67]
	v_mov_b32_e32 v19, s55
	v_cndmask_b32_e64 v24, v19, v21, s[64:65]
	v_cndmask_b32_e64 v25, v19, v20, s[62:63]
	v_cndmask_b32_e32 v28, v19, v18, vcc
	v_lshl_add_u64 v[18:19], v[56:57], 2, s[40:41]
	v_lshl_add_u64 v[18:19], v[18:19], 0, v[36:37]
	v_mov_b32_e32 v29, s43
	v_cndmask_b32_e64 v19, v29, v19, s[60:61]
	v_cndmask_b32_e64 v18, v233, v18, s[60:61]
	flat_load_dwordx4 v[18:21], v[18:19]
	v_cvt_f32_f16_e32 v84, v79
	v_cvt_f32_f16_sdwa v85, v79 dst_sel:DWORD dst_unused:UNUSED_PAD src0_sel:WORD_1
	v_cvt_f32_f16_e32 v82, v80
	v_cvt_f32_f16_sdwa v83, v80 dst_sel:DWORD dst_unused:UNUSED_PAD src0_sel:WORD_1
	v_cvt_pk_f16_f32 v13, v16, v13
	s_waitcnt vmcnt(0) lgkmcnt(0)
	ds_write_b128 v134, v[18:21]
	v_lshl_add_u64 v[18:19], v[54:55], 2, s[40:41]
	v_lshl_add_u64 v[18:19], v[18:19], 0, v[36:37]
	v_cndmask_b32_e64 v19, v29, v19, s[58:59]
	v_cndmask_b32_e64 v18, v233, v18, s[58:59]
	flat_load_dwordx4 v[18:21], v[18:19]
	s_waitcnt vmcnt(0) lgkmcnt(0)
	ds_write_b128 v137, v[18:21]
	s_waitcnt lgkmcnt(0)
	s_barrier
	ds_read_u16 v18, v149 offset:176
	ds_read_u16 v19, v150
	ds_read_u16 v36, v150 offset:32
	ds_read_u16 v20, v151
	ds_read_u16 v79, v151 offset:32
	s_waitcnt lgkmcnt(1)
	v_perm_b32 v21, v20, v19, s33
	ds_read_u16 v19, v149
	ds_read_u16 v86, v149 offset:32
	s_waitcnt lgkmcnt(1)
	v_perm_b32 v20, v18, v19, s33
	v_cvt_pk_f16_f32 v19, v4, v28
	v_cvt_pk_f16_f32 v18, v2, v1
	s_nop 1
	v_mfma_f32_16x16x16_f16 v[80:83], v[20:21], v[18:19], v[82:85]
	ds_read_u16 v21, v149 offset:2816
	ds_read_u16 v28, v149 offset:2992
	;; [unrolled: 1-line block ×4, first 2 shown]
	s_waitcnt lgkmcnt(2)
	v_perm_b32 v28, v28, v21, s33
	s_nop 1
	v_cvt_f16_f32_e32 v1, v80
	v_cvt_f16_f32_e32 v2, v81
	;; [unrolled: 1-line block ×4, first 2 shown]
	s_waitcnt lgkmcnt(0)
	v_perm_b32 v29, v84, v29, s33
	v_cvt_f32_f16_e32 v80, v1
	v_cvt_f32_f16_e32 v81, v2
	;; [unrolled: 1-line block ×4, first 2 shown]
	v_cvt_pk_f16_f32 v21, v8, v25
	v_cvt_pk_f16_f32 v20, v6, v3
	s_nop 1
	v_mfma_f32_16x16x16_f16 v[80:83], v[28:29], v[20:21], v[80:83]
	ds_read_u16 v6, v149 offset:5632
	ds_read_u16 v8, v149 offset:5808
	;; [unrolled: 1-line block ×4, first 2 shown]
	s_nop 3
	v_cvt_f16_f32_e32 v2, v81
	v_cvt_f16_f32_e32 v3, v82
	;; [unrolled: 1-line block ×4, first 2 shown]
	v_cvt_f32_f16_e32 v81, v2
	v_cvt_f32_f16_e32 v82, v3
	s_waitcnt lgkmcnt(0)
	v_perm_b32 v3, v28, v25, s33
	v_perm_b32 v2, v8, v6, s33
	v_cvt_f32_f16_e32 v80, v1
	v_cvt_f32_f16_e32 v83, v4
	v_cvt_pk_f16_f32 v25, v12, v24
	v_cvt_pk_f16_f32 v24, v10, v5
	ds_read_u16 v6, v149 offset:8448
	ds_read_u16 v8, v149 offset:8624
	;; [unrolled: 1-line block ×4, first 2 shown]
	v_mfma_f32_16x16x16_f16 v[2:5], v[2:3], v[24:25], v[80:83]
	s_waitcnt lgkmcnt(2)
	v_perm_b32 v28, v8, v6, s33
	ds_read_u16 v8, v149 offset:208
	s_waitcnt lgkmcnt(1)
	v_perm_b32 v29, v12, v10, s33
	v_cvt_pk_f16_f32 v12, v14, v7
	s_nop 1
	v_cvt_f16_f32_e32 v1, v2
	v_cvt_f16_f32_e32 v3, v3
	;; [unrolled: 1-line block ×4, first 2 shown]
	v_cvt_f32_f16_e32 v2, v1
	v_cvt_f32_f16_e32 v3, v3
	;; [unrolled: 1-line block ×5, first 2 shown]
	v_cvt_f32_f16_sdwa v7, v77 dst_sel:DWORD dst_unused:UNUSED_PAD src0_sel:WORD_1
	v_mfma_f32_16x16x16_f16 v[2:5], v[28:29], v[12:13], v[2:5]
	v_perm_b32 v29, v79, v36, s33
	s_waitcnt lgkmcnt(0)
	v_perm_b32 v28, v8, v86, s33
	ds_read_u16 v8, v149 offset:2848
	ds_read_u16 v10, v149 offset:3024
	;; [unrolled: 1-line block ×4, first 2 shown]
	s_nop 0
	v_cvt_f16_f32_e32 v1, v4
	v_cvt_f16_f32_e32 v4, v5
	v_cvt_f32_f16_sdwa v5, v78 dst_sel:DWORD dst_unused:UNUSED_PAD src0_sel:WORD_1
	v_cvt_f32_f16_sdwa v77, v27 dst_sel:DWORD dst_unused:UNUSED_PAD src0_sel:WORD_1
	;; [unrolled: 1-line block ×3, first 2 shown]
	v_perm_b32 v1, v4, v1, s33
	v_cvt_f32_f16_e32 v4, v78
	v_cvt_f32_f16_e32 v78, v17
	s_nop 0
	v_mfma_f32_16x16x16_f16 v[4:7], v[28:29], v[18:19], v[4:7]
	s_waitcnt lgkmcnt(0)
	v_perm_b32 v29, v16, v14, s33
	v_perm_b32 v28, v10, v8, s33
	ds_read_u16 v8, v149 offset:5664
	ds_read_u16 v10, v149 offset:5840
	;; [unrolled: 1-line block ×4, first 2 shown]
	s_nop 0
	v_cvt_f16_f32_e32 v4, v4
	v_cvt_f16_f32_e32 v5, v5
	;; [unrolled: 1-line block ×4, first 2 shown]
	v_cvt_f32_f16_e32 v4, v4
	v_cvt_f32_f16_e32 v5, v5
	;; [unrolled: 1-line block ×4, first 2 shown]
	s_nop 1
	v_mfma_f32_16x16x16_f16 v[4:7], v[28:29], v[20:21], v[4:7]
	s_waitcnt lgkmcnt(0)
	v_perm_b32 v29, v16, v14, s33
	v_perm_b32 v28, v10, v8, s33
	ds_read_u16 v8, v149 offset:8480
	ds_read_u16 v10, v149 offset:8656
	;; [unrolled: 1-line block ×4, first 2 shown]
	s_nop 0
	v_cvt_f16_f32_e32 v4, v4
	v_cvt_f16_f32_e32 v5, v5
	;; [unrolled: 1-line block ×4, first 2 shown]
	v_cvt_f32_f16_e32 v4, v4
	v_cvt_f32_f16_e32 v5, v5
	;; [unrolled: 1-line block ×4, first 2 shown]
	s_nop 1
	v_mfma_f32_16x16x16_f16 v[4:7], v[28:29], v[24:25], v[4:7]
	s_waitcnt lgkmcnt(0)
	v_perm_b32 v29, v16, v14, s33
	v_perm_b32 v28, v10, v8, s33
	v_cvt_f32_f16_e32 v8, v9
	v_cvt_f32_f16_sdwa v9, v9 dst_sel:DWORD dst_unused:UNUSED_PAD src0_sel:WORD_1
	s_nop 2
	v_cvt_f16_f32_e32 v4, v4
	v_cvt_f16_f32_e32 v5, v5
	;; [unrolled: 1-line block ×4, first 2 shown]
	v_cvt_f32_f16_e32 v4, v4
	v_cvt_f32_f16_e32 v5, v5
	v_cvt_f32_f16_e32 v6, v6
	v_cvt_f32_f16_e32 v7, v7
	s_nop 1
	v_mfma_f32_16x16x16_f16 v[4:7], v[28:29], v[12:13], v[4:7]
	ds_read_u16 v10, v149 offset:64
	ds_read_u16 v16, v149 offset:240
	;; [unrolled: 1-line block ×4, first 2 shown]
	s_nop 3
	v_cvt_f16_f32_e32 v6, v6
	v_cvt_f16_f32_e32 v7, v7
	s_waitcnt lgkmcnt(0)
	v_perm_b32 v29, v29, v28, s33
	v_perm_b32 v28, v16, v10, s33
	;; [unrolled: 1-line block ×3, first 2 shown]
	v_cvt_f32_f16_e32 v6, v76
	v_cvt_f32_f16_sdwa v7, v76 dst_sel:DWORD dst_unused:UNUSED_PAD src0_sel:WORD_1
	s_nop 1
	v_mfma_f32_16x16x16_f16 v[6:9], v[28:29], v[18:19], v[6:9]
	ds_read_u16 v10, v149 offset:2880
	ds_read_u16 v16, v149 offset:3056
	ds_read_u16 v28, v150 offset:2880
	ds_read_u16 v29, v151 offset:2880
	s_nop 3
	v_cvt_f16_f32_e32 v6, v6
	v_cvt_f16_f32_e32 v7, v7
	v_cvt_f16_f32_e32 v8, v8
	v_cvt_f16_f32_e32 v9, v9
	s_waitcnt lgkmcnt(0)
	v_perm_b32 v29, v29, v28, s33
	v_perm_b32 v28, v16, v10, s33
	v_cvt_f32_f16_e32 v6, v6
	v_cvt_f32_f16_e32 v7, v7
	v_cvt_f32_f16_e32 v8, v8
	v_cvt_f32_f16_e32 v9, v9
	s_nop 1
	v_mfma_f32_16x16x16_f16 v[6:9], v[28:29], v[20:21], v[6:9]
	ds_read_u16 v10, v149 offset:5696
	ds_read_u16 v16, v149 offset:5872
	ds_read_u16 v28, v150 offset:5696
	ds_read_u16 v29, v151 offset:5696
	s_nop 3
	v_cvt_f16_f32_e32 v6, v6
	v_cvt_f16_f32_e32 v7, v7
	v_cvt_f16_f32_e32 v8, v8
	v_cvt_f16_f32_e32 v9, v9
	s_waitcnt lgkmcnt(0)
	v_perm_b32 v29, v29, v28, s33
	v_perm_b32 v28, v16, v10, s33
	v_cvt_f32_f16_e32 v6, v6
	v_cvt_f32_f16_e32 v7, v7
	v_cvt_f32_f16_e32 v8, v8
	v_cvt_f32_f16_e32 v9, v9
	;; [unrolled: 18-line block ×3, first 2 shown]
	v_cvt_f32_f16_e32 v10, v11
	v_cvt_f32_f16_sdwa v11, v11 dst_sel:DWORD dst_unused:UNUSED_PAD src0_sel:WORD_1
	v_mfma_f32_16x16x16_f16 v[6:9], v[28:29], v[12:13], v[6:9]
	ds_read_u16 v28, v149 offset:96
	ds_read_u16 v36, v149 offset:272
	;; [unrolled: 1-line block ×4, first 2 shown]
	s_nop 3
	v_cvt_f16_f32_e32 v8, v8
	v_cvt_f16_f32_e32 v9, v9
	s_waitcnt lgkmcnt(0)
	v_perm_b32 v29, v76, v29, s33
	v_perm_b32 v28, v36, v28, s33
	v_cvt_f32_f16_e32 v76, v27
	v_perm_b32 v16, v9, v8, s33
	v_cvt_f32_f16_e32 v8, v73
	v_cvt_f32_f16_sdwa v9, v73 dst_sel:DWORD dst_unused:UNUSED_PAD src0_sel:WORD_1
	s_nop 1
	v_mfma_f32_16x16x16_f16 v[8:11], v[28:29], v[18:19], v[8:11]
	ds_read_u16 v28, v149 offset:2912
	ds_read_u16 v36, v149 offset:3088
	ds_read_u16 v29, v150 offset:2912
	ds_read_u16 v73, v151 offset:2912
	s_nop 3
	v_cvt_f16_f32_e32 v8, v8
	v_cvt_f16_f32_e32 v9, v9
	v_cvt_f16_f32_e32 v10, v10
	v_cvt_f16_f32_e32 v11, v11
	s_waitcnt lgkmcnt(0)
	v_perm_b32 v29, v73, v29, s33
	v_perm_b32 v28, v36, v28, s33
	v_cvt_f32_f16_e32 v8, v8
	v_cvt_f32_f16_e32 v9, v9
	v_cvt_f32_f16_e32 v10, v10
	v_cvt_f32_f16_e32 v11, v11
	s_nop 1
	v_mfma_f32_16x16x16_f16 v[8:11], v[28:29], v[20:21], v[8:11]
	ds_read_u16 v28, v149 offset:5728
	ds_read_u16 v36, v149 offset:5904
	ds_read_u16 v29, v150 offset:5728
	ds_read_u16 v73, v151 offset:5728
	s_nop 3
	v_cvt_f16_f32_e32 v8, v8
	v_cvt_f16_f32_e32 v9, v9
	v_cvt_f16_f32_e32 v10, v10
	v_cvt_f16_f32_e32 v11, v11
	s_waitcnt lgkmcnt(0)
	v_perm_b32 v29, v73, v29, s33
	v_perm_b32 v28, v36, v28, s33
	v_cvt_f32_f16_e32 v8, v8
	v_cvt_f32_f16_e32 v9, v9
	v_cvt_f32_f16_e32 v10, v10
	v_cvt_f32_f16_e32 v11, v11
	;; [unrolled: 18-line block ×3, first 2 shown]
	s_nop 1
	v_mfma_f32_16x16x16_f16 v[8:11], v[28:29], v[12:13], v[8:11]
	s_nop 7
	v_cvt_f16_f32_e32 v10, v10
	v_cvt_f16_f32_e32 v11, v11
	v_perm_b32 v28, v11, v10, s33
	ds_read_u16 v10, v149 offset:128
	ds_read_u16 v29, v149 offset:304
	;; [unrolled: 1-line block ×4, first 2 shown]
	s_waitcnt lgkmcnt(2)
	v_perm_b32 v10, v29, v10, s33
	s_waitcnt lgkmcnt(0)
	v_perm_b32 v11, v36, v11, s33
	s_nop 1
	v_mfma_f32_16x16x16_f16 v[76:79], v[10:11], v[18:19], v[76:79]
	ds_read_u16 v19, v149 offset:2944
	ds_read_u16 v27, v149 offset:3120
	;; [unrolled: 1-line block ×4, first 2 shown]
	s_nop 3
	v_cvt_f16_f32_e32 v10, v76
	v_cvt_f16_f32_e32 v11, v77
	;; [unrolled: 1-line block ×4, first 2 shown]
	v_cvt_f32_f16_e32 v76, v10
	v_cvt_f32_f16_e32 v77, v11
	s_waitcnt lgkmcnt(0)
	v_perm_b32 v11, v36, v29, s33
	v_perm_b32 v10, v27, v19, s33
	v_cvt_f32_f16_e32 v78, v17
	v_cvt_f32_f16_e32 v79, v18
	ds_read_u16 v27, v149 offset:5760
	ds_read_u16 v29, v149 offset:5936
	;; [unrolled: 1-line block ×4, first 2 shown]
	v_mfma_f32_16x16x16_f16 v[18:21], v[10:11], v[20:21], v[76:79]
	s_nop 7
	v_cvt_f16_f32_e32 v10, v18
	v_cvt_f16_f32_e32 v11, v19
	v_cvt_f16_f32_e32 v17, v20
	v_cvt_f16_f32_e32 v21, v21
	v_cvt_f32_f16_e32 v18, v10
	v_cvt_f32_f16_e32 v19, v11
	s_waitcnt lgkmcnt(0)
	v_perm_b32 v11, v73, v36, s33
	v_perm_b32 v10, v29, v27, s33
	v_cvt_f32_f16_e32 v20, v17
	v_cvt_f32_f16_e32 v21, v21
	s_nop 1
	v_mfma_f32_16x16x16_f16 v[18:21], v[10:11], v[24:25], v[18:21]
	s_nop 7
	v_cvt_f16_f32_e32 v17, v18
	v_cvt_f16_f32_e32 v18, v19
	;; [unrolled: 1-line block ×4, first 2 shown]
	ds_read_u16 v10, v149 offset:8576
	ds_read_u16 v11, v149 offset:8752
	;; [unrolled: 1-line block ×4, first 2 shown]
	v_cvt_f32_f16_e32 v77, v18
	v_cvt_f32_f16_e32 v78, v19
	s_waitcnt lgkmcnt(2)
	v_perm_b32 v18, v11, v10, s33
	v_cvt_f32_f16_e32 v76, v17
	s_waitcnt lgkmcnt(0)
	v_perm_b32 v19, v24, v21, s33
	v_cvt_f32_f16_e32 v79, v20
	s_barrier
	s_nop 0
	v_mfma_f32_16x16x16_f16 v[10:13], v[18:19], v[12:13], v[76:79]
	s_nop 7
	v_cvt_f16_f32_e32 v12, v12
	v_cvt_f16_f32_e32 v13, v13
	v_perm_b32 v12, v13, v12, s33
	ds_bpermute_b32 v13, v26, v15
	s_waitcnt lgkmcnt(0)
	v_add_f32_e32 v13, v15, v13
	ds_bpermute_b32 v15, v23, v13
	s_waitcnt lgkmcnt(0)
	v_add_f32_e32 v23, v13, v15
	s_cbranch_scc1 .LBB9_110
; %bb.109:                              ;   in Loop: Header=BB9_12 Depth=1
	v_cvt_pk_f16_f32 v4, v4, v5
	global_load_dword v5, v37, s[72:73]
	v_cvt_pk_f16_f32 v3, v2, v3
	v_cvt_pk_f16_f32 v6, v6, v7
	;; [unrolled: 1-line block ×3, first 2 shown]
	v_max_f32_e32 v9, v22, v22
	v_cvt_pk_f16_f32 v8, v10, v11
	s_waitcnt vmcnt(0)
	v_max_f32_e32 v2, v5, v5
	v_max_f32_e32 v2, v9, v2
	v_sub_f32_e32 v9, v22, v2
	v_mul_f32_e32 v10, 0x3fb8aa3b, v9
	v_fma_f32 v11, v9, s42, -v10
	v_rndne_f32_e32 v13, v10
	v_fmac_f32_e32 v11, 0x32a5705f, v9
	v_sub_f32_e32 v10, v10, v13
	v_add_f32_e32 v10, v10, v11
	v_exp_f32_e32 v10, v10
	v_cvt_i32_f32_e32 v11, v13
	v_cmp_ngt_f32_e32 vcc, s53, v9
	v_ldexp_f32 v10, v10, v11
	s_nop 0
	v_cndmask_b32_e32 v10, 0, v10, vcc
	v_cmp_nlt_f32_e32 vcc, s97, v9
	s_nop 1
	v_cndmask_b32_e32 v10, v230, v10, vcc
	v_cmp_le_f32_e32 vcc, s84, v9
	s_nop 1
	v_cndmask_b32_e32 v9, 0, v10, vcc
	v_sub_f32_e32 v10, v5, v2
	v_cvt_f16_f32_e32 v5, v9
	v_cmp_ngt_f32_e32 vcc, s53, v10
	v_mul_u32_u24_e32 v11, 0x10001, v5
	v_pk_mul_f16 v5, v3, v11
	v_mul_f32_e32 v3, 0x3fb8aa3b, v10
	v_pk_mul_f16 v1, v1, v11
	v_pk_mul_f16 v4, v4, v11
	;; [unrolled: 1-line block ×9, first 2 shown]
	v_fma_f32 v11, v10, s42, -v3
	v_rndne_f32_e32 v13, v3
	v_fmac_f32_e32 v11, 0x32a5705f, v10
	v_sub_f32_e32 v3, v3, v13
	v_add_f32_e32 v3, v3, v11
	v_exp_f32_e32 v3, v3
	v_cvt_i32_f32_e32 v11, v13
	v_ldexp_f32 v3, v3, v11
	v_cndmask_b32_e32 v3, 0, v3, vcc
	v_cmp_nlt_f32_e32 vcc, s97, v10
	s_nop 1
	v_cndmask_b32_e32 v3, v230, v3, vcc
	v_fmac_f32_e32 v3, v23, v9
	v_mov_b64_e32 v[22:23], v[2:3]
	s_branch .LBB9_111
.LBB9_110:                              ;   in Loop: Header=BB9_12 Depth=1
	v_cvt_f16_f32_e32 v2, v2
	v_cvt_f16_f32_e32 v3, v3
	;; [unrolled: 1-line block ×10, first 2 shown]
	v_perm_b32 v4, v5, v4, s33
	v_perm_b32 v5, v3, v2, s33
	;; [unrolled: 1-line block ×5, first 2 shown]
.LBB9_111:                              ;   in Loop: Header=BB9_12 Depth=1
	v_readlane_b32 s54, v255, 0
	s_barrier
	s_mov_b64 s[38:39], exec
	v_readlane_b32 s40, v255, 12
	v_readlane_b32 s41, v255, 13
	s_and_b64 s[40:41], s[38:39], s[40:41]
	s_mov_b64 exec, s[40:41]
	s_cbranch_execz .LBB9_113
; %bb.112:                              ;   in Loop: Header=BB9_12 Depth=1
	global_store_dwordx2 v[52:53], v[22:23], off
.LBB9_113:                              ;   in Loop: Header=BB9_12 Depth=1
	s_or_b64 exec, exec, s[38:39]
	ds_write2_b32 v154, v5, v1 offset1:1
	ds_write2_b32 v154, v4, v14 offset0:8 offset1:9
	ds_write2_b32 v154, v6, v16 offset0:16 offset1:17
	;; [unrolled: 1-line block ×4, first 2 shown]
	v_mov_b32_e32 v1, 50
	s_waitcnt lgkmcnt(0)
	s_barrier
	s_mov_b64 s[40:41], exec
	v_readlane_b32 s38, v255, 35
	v_readlane_b32 s39, v255, 36
	s_and_b64 s[38:39], s[40:41], s[38:39]
	s_mov_b64 exec, s[38:39]
	s_cbranch_execz .LBB9_115
; %bb.114:                              ;   in Loop: Header=BB9_12 Depth=1
	v_add_u32_e32 v1, v164, v225
	ds_read_b32 v1, v1
	v_readlane_b32 s38, v255, 2
	s_waitcnt lgkmcnt(0)
	v_cvt_f32_f16_e32 v2, v1
	v_cvt_f32_f16_sdwa v3, v1 dst_sel:DWORD dst_unused:UNUSED_PAD src0_sel:WORD_1
	v_mad_u64_u32 v[4:5], s[38:39], v126, s38, v[32:33]
	v_readlane_b32 s38, v255, 18
	v_ashrrev_i32_e32 v5, 31, v4
	v_readlane_b32 s39, v255, 19
	v_pk_add_f32 v[2:3], v[2:3], 0 op_sel_hi:[1,0]
	v_mov_b32_e32 v1, 0
	v_lshl_add_u64 v[4:5], v[4:5], 3, s[38:39]
	global_store_dwordx2 v[4:5], v[2:3], off
.LBB9_115:                              ;   in Loop: Header=BB9_12 Depth=1
	s_or_b64 exec, exec, s[40:41]
	v_cmp_gt_i32_e32 vcc, 50, v1
	s_mov_b64 s[38:39], -1
	s_and_saveexec_b64 s[40:41], vcc
; %bb.116:                              ;   in Loop: Header=BB9_12 Depth=1
	v_cmp_eq_u32_e32 vcc, 0, v1
	s_orn2_b64 s[38:39], vcc, exec
; %bb.117:                              ;   in Loop: Header=BB9_12 Depth=1
	s_or_b64 exec, exec, s[40:41]
	s_and_saveexec_b64 s[40:41], s[38:39]
	s_cbranch_execz .LBB9_150
; %bb.118:                              ;   in Loop: Header=BB9_12 Depth=1
	v_mov_b32_e32 v1, 50
	s_mov_b64 s[58:59], exec
	v_readlane_b32 s38, v255, 37
	v_readlane_b32 s39, v255, 38
	s_and_b64 s[38:39], s[58:59], s[38:39]
	s_mov_b64 exec, s[38:39]
	s_cbranch_execz .LBB9_120
; %bb.119:                              ;   in Loop: Header=BB9_12 Depth=1
	v_add_u32_e32 v1, v164, v225
	ds_read_b32 v1, v1 offset:1408
	v_readlane_b32 s38, v255, 2
	s_waitcnt lgkmcnt(0)
	v_cvt_f32_f16_e32 v2, v1
	v_cvt_f32_f16_sdwa v3, v1 dst_sel:DWORD dst_unused:UNUSED_PAD src0_sel:WORD_1
	v_mad_u64_u32 v[4:5], s[38:39], v125, s38, v[32:33]
	v_readlane_b32 s38, v255, 18
	v_ashrrev_i32_e32 v5, 31, v4
	v_readlane_b32 s39, v255, 19
	v_pk_add_f32 v[2:3], v[2:3], 0 op_sel_hi:[1,0]
	v_mov_b32_e32 v1, 0
	v_lshl_add_u64 v[4:5], v[4:5], 3, s[38:39]
	global_store_dwordx2 v[4:5], v[2:3], off
.LBB9_120:                              ;   in Loop: Header=BB9_12 Depth=1
	s_or_b64 exec, exec, s[58:59]
	v_cmp_gt_i32_e32 vcc, 50, v1
	s_mov_b64 s[38:39], -1
	s_and_saveexec_b64 s[58:59], vcc
; %bb.121:                              ;   in Loop: Header=BB9_12 Depth=1
	v_cmp_eq_u32_e32 vcc, 0, v1
	s_orn2_b64 s[38:39], vcc, exec
; %bb.122:                              ;   in Loop: Header=BB9_12 Depth=1
	s_or_b64 exec, exec, s[58:59]
	s_and_b64 exec, exec, s[38:39]
	s_cbranch_execz .LBB9_150
; %bb.123:                              ;   in Loop: Header=BB9_12 Depth=1
	v_mov_b32_e32 v1, 50
	s_mov_b64 s[58:59], exec
	v_readlane_b32 s38, v255, 39
	v_readlane_b32 s39, v255, 40
	s_and_b64 s[38:39], s[58:59], s[38:39]
	s_mov_b64 exec, s[38:39]
	s_cbranch_execz .LBB9_125
; %bb.124:                              ;   in Loop: Header=BB9_12 Depth=1
	ds_read_b32 v1, v178
	v_readlane_b32 s38, v255, 2
	s_waitcnt lgkmcnt(0)
	v_cvt_f32_f16_e32 v2, v1
	v_cvt_f32_f16_sdwa v3, v1 dst_sel:DWORD dst_unused:UNUSED_PAD src0_sel:WORD_1
	v_mad_u64_u32 v[4:5], s[38:39], v124, s38, v[32:33]
	v_readlane_b32 s38, v255, 18
	v_ashrrev_i32_e32 v5, 31, v4
	v_readlane_b32 s39, v255, 19
	v_pk_add_f32 v[2:3], v[2:3], 0 op_sel_hi:[1,0]
	v_mov_b32_e32 v1, 0
	v_lshl_add_u64 v[4:5], v[4:5], 3, s[38:39]
	global_store_dwordx2 v[4:5], v[2:3], off
.LBB9_125:                              ;   in Loop: Header=BB9_12 Depth=1
	s_or_b64 exec, exec, s[58:59]
	v_cmp_gt_i32_e32 vcc, 50, v1
	s_mov_b64 s[38:39], -1
	s_and_saveexec_b64 s[58:59], vcc
; %bb.126:                              ;   in Loop: Header=BB9_12 Depth=1
	v_cmp_eq_u32_e32 vcc, 0, v1
	s_orn2_b64 s[38:39], vcc, exec
; %bb.127:                              ;   in Loop: Header=BB9_12 Depth=1
	s_or_b64 exec, exec, s[58:59]
	s_and_b64 exec, exec, s[38:39]
	s_cbranch_execz .LBB9_150
; %bb.128:                              ;   in Loop: Header=BB9_12 Depth=1
	v_mov_b32_e32 v1, 50
	s_mov_b64 s[58:59], exec
	v_readlane_b32 s38, v255, 41
	v_readlane_b32 s39, v255, 42
	s_and_b64 s[38:39], s[58:59], s[38:39]
	s_mov_b64 exec, s[38:39]
	s_cbranch_execz .LBB9_130
; %bb.129:                              ;   in Loop: Header=BB9_12 Depth=1
	v_add_u32_e32 v1, v164, v225
	ds_read_b32 v1, v1 offset:4224
	v_readlane_b32 s38, v255, 2
	s_waitcnt lgkmcnt(0)
	v_cvt_f32_f16_e32 v2, v1
	v_cvt_f32_f16_sdwa v3, v1 dst_sel:DWORD dst_unused:UNUSED_PAD src0_sel:WORD_1
	v_mad_u64_u32 v[4:5], s[38:39], v123, s38, v[32:33]
	v_readlane_b32 s38, v255, 18
	v_ashrrev_i32_e32 v5, 31, v4
	v_readlane_b32 s39, v255, 19
	v_pk_add_f32 v[2:3], v[2:3], 0 op_sel_hi:[1,0]
	v_mov_b32_e32 v1, 0
	v_lshl_add_u64 v[4:5], v[4:5], 3, s[38:39]
	global_store_dwordx2 v[4:5], v[2:3], off
.LBB9_130:                              ;   in Loop: Header=BB9_12 Depth=1
	s_or_b64 exec, exec, s[58:59]
	v_cmp_gt_i32_e32 vcc, 50, v1
	s_mov_b64 s[38:39], -1
	s_and_saveexec_b64 s[58:59], vcc
; %bb.131:                              ;   in Loop: Header=BB9_12 Depth=1
	v_cmp_eq_u32_e32 vcc, 0, v1
	s_orn2_b64 s[38:39], vcc, exec
; %bb.132:                              ;   in Loop: Header=BB9_12 Depth=1
	s_or_b64 exec, exec, s[58:59]
	s_and_b64 exec, exec, s[38:39]
	s_cbranch_execz .LBB9_150
; %bb.133:                              ;   in Loop: Header=BB9_12 Depth=1
	v_mov_b32_e32 v1, 50
	s_mov_b64 s[58:59], exec
	v_readlane_b32 s38, v255, 43
	v_readlane_b32 s39, v255, 44
	s_and_b64 s[38:39], s[58:59], s[38:39]
	s_mov_b64 exec, s[38:39]
	s_cbranch_execz .LBB9_135
; %bb.134:                              ;   in Loop: Header=BB9_12 Depth=1
	scratch_load_dword v1, off, off offset:16 ; 4-byte Folded Reload
	v_readlane_b32 s38, v255, 2
	s_waitcnt vmcnt(0)
	ds_read_b32 v1, v1
	v_mad_u64_u32 v[4:5], s[38:39], v122, s38, v[32:33]
	v_readlane_b32 s38, v255, 18
	v_ashrrev_i32_e32 v5, 31, v4
	s_waitcnt lgkmcnt(0)
	v_cvt_f32_f16_e32 v2, v1
	v_cvt_f32_f16_sdwa v3, v1 dst_sel:DWORD dst_unused:UNUSED_PAD src0_sel:WORD_1
	v_readlane_b32 s39, v255, 19
	v_mov_b32_e32 v1, 0
	v_pk_add_f32 v[2:3], v[2:3], 0 op_sel_hi:[1,0]
	v_lshl_add_u64 v[4:5], v[4:5], 3, s[38:39]
	global_store_dwordx2 v[4:5], v[2:3], off
.LBB9_135:                              ;   in Loop: Header=BB9_12 Depth=1
	s_or_b64 exec, exec, s[58:59]
	v_cmp_gt_i32_e32 vcc, 50, v1
	s_mov_b64 s[38:39], -1
	s_and_saveexec_b64 s[58:59], vcc
; %bb.136:                              ;   in Loop: Header=BB9_12 Depth=1
	v_cmp_eq_u32_e32 vcc, 0, v1
	s_orn2_b64 s[38:39], vcc, exec
; %bb.137:                              ;   in Loop: Header=BB9_12 Depth=1
	s_or_b64 exec, exec, s[58:59]
	s_and_b64 exec, exec, s[38:39]
	s_cbranch_execz .LBB9_150
; %bb.138:                              ;   in Loop: Header=BB9_12 Depth=1
	v_mov_b32_e32 v1, 50
	s_mov_b64 s[58:59], exec
	v_readlane_b32 s38, v255, 45
	v_readlane_b32 s39, v255, 46
	s_and_b64 s[38:39], s[58:59], s[38:39]
	s_mov_b64 exec, s[38:39]
	s_cbranch_execz .LBB9_140
; %bb.139:                              ;   in Loop: Header=BB9_12 Depth=1
	v_add_u32_e32 v1, v164, v225
	ds_read_b32 v1, v1 offset:7040
	v_readlane_b32 s38, v255, 2
	s_waitcnt lgkmcnt(0)
	v_cvt_f32_f16_e32 v2, v1
	v_cvt_f32_f16_sdwa v3, v1 dst_sel:DWORD dst_unused:UNUSED_PAD src0_sel:WORD_1
	v_mad_u64_u32 v[4:5], s[38:39], v121, s38, v[32:33]
	v_readlane_b32 s38, v255, 18
	v_ashrrev_i32_e32 v5, 31, v4
	v_readlane_b32 s39, v255, 19
	v_pk_add_f32 v[2:3], v[2:3], 0 op_sel_hi:[1,0]
	v_mov_b32_e32 v1, 0
	v_lshl_add_u64 v[4:5], v[4:5], 3, s[38:39]
	global_store_dwordx2 v[4:5], v[2:3], off
.LBB9_140:                              ;   in Loop: Header=BB9_12 Depth=1
	s_or_b64 exec, exec, s[58:59]
	v_cmp_gt_i32_e32 vcc, 50, v1
	s_mov_b64 s[38:39], -1
	s_and_saveexec_b64 s[58:59], vcc
; %bb.141:                              ;   in Loop: Header=BB9_12 Depth=1
	v_cmp_eq_u32_e32 vcc, 0, v1
	s_orn2_b64 s[38:39], vcc, exec
; %bb.142:                              ;   in Loop: Header=BB9_12 Depth=1
	s_or_b64 exec, exec, s[58:59]
	s_and_b64 exec, exec, s[38:39]
	s_cbranch_execz .LBB9_150
; %bb.143:                              ;   in Loop: Header=BB9_12 Depth=1
	v_mov_b32_e32 v1, 50
	s_mov_b64 s[58:59], exec
	v_readlane_b32 s38, v255, 47
	v_readlane_b32 s39, v255, 48
	s_and_b64 s[38:39], s[58:59], s[38:39]
	s_mov_b64 exec, s[38:39]
	s_cbranch_execz .LBB9_145
; %bb.144:                              ;   in Loop: Header=BB9_12 Depth=1
	scratch_load_dword v1, off, off offset:28 ; 4-byte Folded Reload
	v_readlane_b32 s38, v255, 2
	s_waitcnt vmcnt(0)
	ds_read_b32 v1, v1
	v_mad_u64_u32 v[4:5], s[38:39], v120, s38, v[32:33]
	v_readlane_b32 s38, v255, 18
	v_ashrrev_i32_e32 v5, 31, v4
	s_waitcnt lgkmcnt(0)
	v_cvt_f32_f16_e32 v2, v1
	v_cvt_f32_f16_sdwa v3, v1 dst_sel:DWORD dst_unused:UNUSED_PAD src0_sel:WORD_1
	v_readlane_b32 s39, v255, 19
	v_mov_b32_e32 v1, 0
	v_pk_add_f32 v[2:3], v[2:3], 0 op_sel_hi:[1,0]
	v_lshl_add_u64 v[4:5], v[4:5], 3, s[38:39]
	global_store_dwordx2 v[4:5], v[2:3], off
.LBB9_145:                              ;   in Loop: Header=BB9_12 Depth=1
	s_or_b64 exec, exec, s[58:59]
	v_cmp_gt_i32_e32 vcc, 50, v1
	s_mov_b64 s[38:39], -1
	s_and_saveexec_b64 s[58:59], vcc
; %bb.146:                              ;   in Loop: Header=BB9_12 Depth=1
	v_cmp_eq_u32_e32 vcc, 0, v1
	s_orn2_b64 s[38:39], vcc, exec
; %bb.147:                              ;   in Loop: Header=BB9_12 Depth=1
	s_or_b64 exec, exec, s[58:59]
	s_and_b64 exec, exec, s[38:39]
	s_cbranch_execz .LBB9_150
; %bb.148:                              ;   in Loop: Header=BB9_12 Depth=1
	v_readlane_b32 s38, v255, 49
	v_readlane_b32 s39, v255, 50
	s_and_b64 exec, exec, s[38:39]
	s_cbranch_execz .LBB9_150
; %bb.149:                              ;   in Loop: Header=BB9_12 Depth=1
	v_add_u32_e32 v1, v164, v225
	ds_read_b32 v1, v1 offset:9856
	v_readlane_b32 s38, v255, 2
	s_waitcnt lgkmcnt(0)
	v_cvt_f32_f16_e32 v2, v1
	v_cvt_f32_f16_sdwa v3, v1 dst_sel:DWORD dst_unused:UNUSED_PAD src0_sel:WORD_1
	v_mad_u64_u32 v[4:5], s[38:39], v118, s38, v[32:33]
	v_readlane_b32 s38, v255, 18
	v_ashrrev_i32_e32 v5, 31, v4
	v_readlane_b32 s39, v255, 19
	v_pk_add_f32 v[2:3], v[2:3], 0 op_sel_hi:[1,0]
	s_nop 0
	v_lshl_add_u64 v[4:5], v[4:5], 3, s[38:39]
	global_store_dwordx2 v[4:5], v[2:3], off
.LBB9_150:                              ;   in Loop: Header=BB9_12 Depth=1
	s_or_b64 exec, exec, s[40:41]
	v_mov_b32_e32 v1, 50
	s_mov_b64 s[40:41], exec
	v_readlane_b32 s38, v255, 33
	v_readlane_b32 s39, v255, 34
	s_and_b64 s[38:39], s[40:41], s[38:39]
	s_mov_b64 exec, s[38:39]
	s_cbranch_execz .LBB9_152
; %bb.151:                              ;   in Loop: Header=BB9_12 Depth=1
	v_add_u32_e32 v1, v49, v213
	ds_read_b32 v1, v1 offset:128
	v_readlane_b32 s38, v255, 2
	s_waitcnt lgkmcnt(0)
	v_cvt_f32_f16_e32 v4, v1
	v_cvt_f32_f16_sdwa v5, v1 dst_sel:DWORD dst_unused:UNUSED_PAD src0_sel:WORD_1
	v_mul_lo_u32 v2, v119, s38
	v_ashrrev_i32_e32 v3, 31, v2
	v_readlane_b32 s38, v255, 18
	v_lshl_add_u64 v[2:3], v[2:3], 0, v[30:31]
	v_readlane_b32 s39, v255, 19
	v_pk_add_f32 v[4:5], v[4:5], 0 op_sel_hi:[1,0]
	v_mov_b32_e32 v1, 0
	v_lshl_add_u64 v[2:3], v[2:3], 3, s[38:39]
	global_store_dwordx2 v[2:3], v[4:5], off offset:256
.LBB9_152:                              ;   in Loop: Header=BB9_12 Depth=1
	s_or_b64 exec, exec, s[40:41]
	v_cmp_gt_i32_e32 vcc, 50, v1
	s_mov_b64 s[38:39], -1
	s_and_saveexec_b64 s[40:41], vcc
; %bb.153:                              ;   in Loop: Header=BB9_12 Depth=1
	v_cmp_eq_u32_e32 vcc, 0, v1
	s_orn2_b64 s[38:39], vcc, exec
; %bb.154:                              ;   in Loop: Header=BB9_12 Depth=1
	s_or_b64 exec, exec, s[40:41]
	s_mov_b64 s[58:59], 0
	s_mov_b64 s[40:41], 0
                                        ; implicit-def: $vgpr2_vgpr3
	s_and_saveexec_b64 s[60:61], s[38:39]
	s_cbranch_execz .LBB9_158
; %bb.155:                              ;   in Loop: Header=BB9_12 Depth=1
                                        ; implicit-def: $vgpr2_vgpr3
	s_mov_b64 s[38:39], exec
	v_readlane_b32 s62, v255, 51
	v_readlane_b32 s63, v255, 52
	s_and_b64 s[62:63], s[38:39], s[62:63]
	s_xor_b64 s[38:39], s[62:63], s[38:39]
	s_mov_b64 exec, s[62:63]
	s_cbranch_execz .LBB9_157
; %bb.156:                              ;   in Loop: Header=BB9_12 Depth=1
	v_add_u32_e32 v1, v49, v213
	ds_read_b32 v1, v1 offset:5760
	s_mov_b64 s[40:41], exec
	s_waitcnt lgkmcnt(0)
	v_cvt_f32_f16_e32 v2, v1
	v_cvt_f32_f16_sdwa v3, v1 dst_sel:DWORD dst_unused:UNUSED_PAD src0_sel:WORD_1
	v_pk_add_f32 v[2:3], v[2:3], 0 op_sel_hi:[1,0]
.LBB9_157:                              ;   in Loop: Header=BB9_12 Depth=1
	s_or_b64 exec, exec, s[38:39]
	s_and_b64 s[40:41], s[40:41], exec
.LBB9_158:                              ;   in Loop: Header=BB9_12 Depth=1
	v_writelane_b32 v255, s40, 33
	s_nop 1
	v_writelane_b32 v255, s41, 34
	s_or_b64 exec, exec, s[60:61]
	s_and_b64 vcc, exec, s[58:59]
	s_cbranch_vccz .LBB9_82
.LBB9_159:                              ;   in Loop: Header=BB9_12 Depth=1
	v_readlane_b32 s38, v255, 31
	s_lshl_b32 s64, s38, 6
	v_add_u32_e32 v243, s64, v33
	v_cmp_gt_i32_e64 s[38:39], s96, v243
	v_cmp_le_i32_e32 vcc, s96, v243
	s_nop 0
	v_writelane_b32 v255, s38, 35
	s_nop 1
	v_writelane_b32 v255, s39, 36
	s_and_saveexec_b64 s[38:39], vcc
	s_xor_b64 s[38:39], exec, s[38:39]
; %bb.160:                              ;   in Loop: Header=BB9_12 Depth=1
	v_add_u32_e32 v1, v164, v225
	ds_write_b32 v1, v37
; %bb.161:                              ;   in Loop: Header=BB9_12 Depth=1
	s_andn2_saveexec_b64 s[38:39], s[38:39]
	s_cbranch_execz .LBB9_163
; %bb.162:                              ;   in Loop: Header=BB9_12 Depth=1
	v_mad_u64_u32 v[2:3], s[40:41], v243, s54, v[32:33]
	v_ashrrev_i32_e32 v3, 31, v2
	v_lshl_add_u64 v[2:3], v[2:3], 3, s[46:47]
	global_load_dwordx2 v[2:3], v[2:3], off
	s_waitcnt vmcnt(0)
	v_cvt_pk_f16_f32 v1, v2, v3
	v_pk_mul_f16 v1, v1, v182
	v_add_u32_e32 v2, v164, v225
	ds_write_b32 v2, v1
.LBB9_163:                              ;   in Loop: Header=BB9_12 Depth=1
	s_or_b64 exec, exec, s[38:39]
	v_add_u32_e32 v242, s64, v226
	v_cmp_gt_i32_e64 s[38:39], s96, v242
	v_cmp_le_i32_e32 vcc, s96, v242
	s_nop 0
	v_writelane_b32 v255, s38, 37
	s_nop 1
	v_writelane_b32 v255, s39, 38
	s_and_saveexec_b64 s[38:39], vcc
	s_xor_b64 s[38:39], exec, s[38:39]
; %bb.164:                              ;   in Loop: Header=BB9_12 Depth=1
	v_add_u32_e32 v1, v164, v225
	ds_write_b32 v1, v37 offset:1408
; %bb.165:                              ;   in Loop: Header=BB9_12 Depth=1
	s_andn2_saveexec_b64 s[38:39], s[38:39]
	s_cbranch_execz .LBB9_167
; %bb.166:                              ;   in Loop: Header=BB9_12 Depth=1
	v_mad_u64_u32 v[2:3], s[40:41], v242, s54, v[32:33]
	v_ashrrev_i32_e32 v3, 31, v2
	v_lshl_add_u64 v[2:3], v[2:3], 3, s[46:47]
	global_load_dwordx2 v[2:3], v[2:3], off
	s_waitcnt vmcnt(0)
	v_cvt_pk_f16_f32 v1, v2, v3
	v_pk_mul_f16 v1, v1, v182
	v_add_u32_e32 v2, v164, v225
	ds_write_b32 v2, v1 offset:1408
.LBB9_167:                              ;   in Loop: Header=BB9_12 Depth=1
	s_or_b64 exec, exec, s[38:39]
	v_add_u32_e32 v241, s64, v155
	v_cmp_gt_i32_e64 s[38:39], s96, v241
	v_cmp_le_i32_e32 vcc, s96, v241
	s_nop 0
	v_writelane_b32 v255, s38, 39
	s_nop 1
	v_writelane_b32 v255, s39, 40
	s_and_saveexec_b64 s[38:39], vcc
	s_xor_b64 s[38:39], exec, s[38:39]
; %bb.168:                              ;   in Loop: Header=BB9_12 Depth=1
	v_add_u32_e32 v1, v164, v225
	ds_write_b32 v1, v37 offset:2816
; %bb.169:                              ;   in Loop: Header=BB9_12 Depth=1
	s_andn2_saveexec_b64 s[38:39], s[38:39]
	s_cbranch_execz .LBB9_171
; %bb.170:                              ;   in Loop: Header=BB9_12 Depth=1
	v_mad_u64_u32 v[2:3], s[40:41], v241, s54, v[32:33]
	v_ashrrev_i32_e32 v3, 31, v2
	v_lshl_add_u64 v[2:3], v[2:3], 3, s[46:47]
	global_load_dwordx2 v[2:3], v[2:3], off
	s_waitcnt vmcnt(0)
	v_cvt_pk_f16_f32 v1, v2, v3
	v_pk_mul_f16 v1, v1, v182
	v_add_u32_e32 v2, v164, v225
	ds_write_b32 v2, v1 offset:2816
.LBB9_171:                              ;   in Loop: Header=BB9_12 Depth=1
	;; [unrolled: 27-line block ×7, first 2 shown]
	s_or_b64 exec, exec, s[38:39]
	v_add_u32_e32 v235, s64, v41
	v_cmp_gt_i32_e64 s[38:39], s96, v235
	v_cmp_le_i32_e32 vcc, s96, v235
	s_nop 0
	v_writelane_b32 v255, s38, 31
	s_nop 1
	v_writelane_b32 v255, s39, 32
	s_and_saveexec_b64 s[38:39], vcc
	s_xor_b64 s[38:39], exec, s[38:39]
; %bb.192:                              ;   in Loop: Header=BB9_12 Depth=1
	ds_write_b32 v159, v37 offset:128
; %bb.193:                              ;   in Loop: Header=BB9_12 Depth=1
	s_andn2_saveexec_b64 s[38:39], s[38:39]
	s_cbranch_execz .LBB9_195
; %bb.194:                              ;   in Loop: Header=BB9_12 Depth=1
	v_mul_lo_u32 v2, v235, s54
	v_ashrrev_i32_e32 v3, 31, v2
	v_lshl_add_u64 v[2:3], v[2:3], 0, v[30:31]
	v_lshl_add_u64 v[2:3], v[2:3], 3, s[46:47]
	global_load_dwordx2 v[2:3], v[2:3], off offset:256
	s_waitcnt vmcnt(0)
	v_cvt_pk_f16_f32 v1, v2, v3
	v_pk_mul_f16 v1, v1, v182
	v_add_u32_e32 v2, v49, v213
	ds_write_b32 v2, v1 offset:128
.LBB9_195:                              ;   in Loop: Header=BB9_12 Depth=1
	s_or_b64 exec, exec, s[38:39]
	v_add_u32_e32 v234, s64, v135
	v_cmp_gt_i32_e64 s[38:39], s96, v234
	v_cmp_le_i32_e32 vcc, s96, v234
	s_nop 0
	v_writelane_b32 v255, s38, 51
	s_nop 1
	v_writelane_b32 v255, s39, 52
	s_and_saveexec_b64 s[38:39], vcc
	s_xor_b64 s[38:39], exec, s[38:39]
; %bb.196:                              ;   in Loop: Header=BB9_12 Depth=1
	ds_write_b32 v160, v37 offset:128
; %bb.197:                              ;   in Loop: Header=BB9_12 Depth=1
	s_andn2_saveexec_b64 s[38:39], s[38:39]
	s_cbranch_execz .LBB9_199
; %bb.198:                              ;   in Loop: Header=BB9_12 Depth=1
	v_mul_lo_u32 v2, v234, s54
	v_ashrrev_i32_e32 v3, 31, v2
	v_lshl_add_u64 v[2:3], v[2:3], 0, v[30:31]
	v_lshl_add_u64 v[2:3], v[2:3], 3, s[46:47]
	global_load_dwordx2 v[2:3], v[2:3], off offset:256
	s_waitcnt vmcnt(0)
	v_cvt_pk_f16_f32 v1, v2, v3
	v_pk_mul_f16 v1, v1, v182
	v_add_u32_e32 v2, v49, v213
	ds_write_b32 v2, v1 offset:5760
.LBB9_199:                              ;   in Loop: Header=BB9_12 Depth=1
	s_or_b64 exec, exec, s[38:39]
	s_waitcnt lgkmcnt(0)
	s_barrier
	ds_read2_b64 v[6:9], v130 offset1:4
	ds_read2_b64 v[2:5], v130 offset0:8 offset1:12
	ds_read_b64 v[76:77], v130 offset:128
	v_readlane_b32 s38, v254, 54
	s_cmp_lt_i32 s38, 2
	v_cmp_ne_u64_e64 s[58:59], 0, v[74:75]
	s_waitcnt lgkmcnt(0)
	s_barrier
	s_cbranch_scc1 .LBB9_218
; %bb.200:                              ;   in Loop: Header=BB9_12 Depth=1
	v_add_u32_e32 v1, s64, v128
	v_mul_hi_u32 v10, s48, v1
	v_add_u32_e32 v10, v1, v10
	v_lshrrev_b32_e32 v10, s49, v10
	v_mul_lo_u32 v10, v10, s96
	v_sub_u32_e32 v1, v1, v10
	v_add_u32_e32 v10, s64, v183
	v_mul_hi_u32 v11, s48, v10
	v_add_u32_e32 v11, v10, v11
	v_lshrrev_b32_e32 v11, s49, v11
	v_mul_lo_u32 v11, v11, s96
	v_sub_u32_e32 v10, v10, v11
	;; [unrolled: 6-line block ×15, first 2 shown]
	v_add_u32_e32 v24, s64, v211
	v_mul_hi_u32 v25, s48, v24
	v_add_u32_e32 v25, v24, v25
	v_lshrrev_b32_e32 v25, s49, v25
	s_add_i32 s62, s38, -1
	v_mul_lo_u32 v25, v25, s96
	v_readlane_b32 s38, v255, 14
	v_sub_u32_e32 v24, v24, v25
	v_readlane_b32 s39, v255, 15
	s_mov_b32 s40, s38
	v_and_b32_e32 v25, 64, v232
	v_mad_i64_i32 v[80:81], s[38:39], s40, v1, v[74:75]
	v_mad_i64_i32 v[82:83], s[38:39], s40, v10, v[74:75]
	;; [unrolled: 1-line block ×16, first 2 shown]
	v_add_u32_e32 v25, 64, v25
	v_xor_b32_e32 v26, 32, v232
	v_readlane_b32 s38, v255, 20
	v_readlane_b32 s39, v255, 22
	v_cmp_lt_i32_e32 vcc, v26, v25
	s_add_u32 s38, s38, s39
	v_readlane_b32 s39, v255, 21
	v_readlane_b32 s40, v255, 23
	v_cndmask_b32_e32 v26, v232, v26, vcc
	s_addc_u32 s39, s39, s40
	v_lshlrev_b32_e32 v36, 2, v26
	v_xor_b32_e32 v26, 16, v232
	v_lshl_add_u64 v[112:113], v[58:59], 0, s[38:39]
	v_lshl_add_u64 v[114:115], v[64:65], 0, s[38:39]
	;; [unrolled: 1-line block ×3, first 2 shown]
	v_readlane_b32 s38, v255, 25
	v_readlane_b32 s39, v255, 27
	v_cmp_lt_i32_e32 vcc, v26, v25
	s_add_u32 s38, s38, s39
	v_readlane_b32 s39, v255, 26
	v_readlane_b32 s40, v255, 28
	v_cndmask_b32_e32 v25, v232, v26, vcc
	s_addc_u32 s39, s39, s40
	v_lshlrev_b32_e32 v245, 2, v25
	v_mov_b32_e32 v78, v72
	v_mov_b32_e32 v79, v72
	v_lshl_add_u64 v[118:119], v[68:69], 0, s[38:39]
	v_lshl_add_u64 v[120:121], v[70:71], 0, s[38:39]
	;; [unrolled: 1-line block ×3, first 2 shown]
	v_mov_b32_e32 v27, 0
	v_mov_b32_e32 v249, 0xfeffffff
	;; [unrolled: 1-line block ×3, first 2 shown]
	s_mov_b32 s54, s62
	v_mov_b32_e32 v127, 0
	v_mov_b32_e32 v248, 0
	;; [unrolled: 1-line block ×9, first 2 shown]
	v_cndmask_b32_e64 v1, 0, 1, s[58:59]
	v_cmp_ne_u32_e64 s[60:61], 1, v1
	s_andn2_b64 vcc, exec, s[58:59]
	s_cbranch_vccnz .LBB9_210
.LBB9_201:                              ;   in Loop: Header=BB9_12 Depth=1
	s_and_saveexec_b64 s[38:39], s[92:93]
	s_xor_b64 s[38:39], exec, s[38:39]
	s_cbranch_execz .LBB9_203
; %bb.202:                              ;   in Loop: Header=BB9_12 Depth=1
	ds_write_b16 v131, v37 offset:11264
	ds_write_b16 v184, v37 offset:11264
	;; [unrolled: 1-line block ×4, first 2 shown]
.LBB9_203:                              ;   in Loop: Header=BB9_12 Depth=1
	s_or_saveexec_b64 s[46:47], s[38:39]
	v_mov_b32_e32 v1, 0
	v_mov_b32_e32 v10, 0
	;; [unrolled: 1-line block ×4, first 2 shown]
	s_xor_b64 exec, exec, s[46:47]
	s_cbranch_execz .LBB9_205
; %bb.204:                              ;   in Loop: Header=BB9_12 Depth=1
	v_lshl_add_u64 v[10:11], v[80:81], 0, v[38:39]
	global_load_ushort v1, v[10:11], off
	v_lshl_add_u64 v[10:11], v[82:83], 0, v[38:39]
	global_load_ushort v12, v[10:11], off
	;; [unrolled: 2-line block ×4, first 2 shown]
	s_waitcnt vmcnt(3)
	ds_write_b16 v131, v1 offset:11264
	s_waitcnt vmcnt(2)
	ds_write_b16 v184, v12 offset:11264
	;; [unrolled: 2-line block ×4, first 2 shown]
	v_lshl_add_u64 v[10:11], v[88:89], 0, v[38:39]
	global_load_ushort v1, v[10:11], off
	v_lshl_add_u64 v[10:11], v[90:91], 0, v[38:39]
	v_lshl_add_u64 v[12:13], v[92:93], 0, v[38:39]
	global_load_ushort v10, v[10:11], off
	s_nop 0
	global_load_ushort v11, v[12:13], off
	v_lshl_add_u64 v[12:13], v[94:95], 0, v[38:39]
	global_load_ushort v12, v[12:13], off
.LBB9_205:                              ;   in Loop: Header=BB9_12 Depth=1
	s_or_b64 exec, exec, s[46:47]
	s_waitcnt vmcnt(3)
	ds_write_b16 v190, v1 offset:11264
	s_waitcnt vmcnt(2)
	ds_write_b16 v192, v10 offset:11264
	;; [unrolled: 2-line block ×4, first 2 shown]
	s_and_saveexec_b64 s[38:39], s[92:93]
	s_xor_b64 s[38:39], exec, s[38:39]
	s_cbranch_execz .LBB9_207
; %bb.206:                              ;   in Loop: Header=BB9_12 Depth=1
	ds_write_b16 v198, v37 offset:11264
	ds_write_b16 v200, v37 offset:11264
	;; [unrolled: 1-line block ×4, first 2 shown]
.LBB9_207:                              ;   in Loop: Header=BB9_12 Depth=1
	s_or_saveexec_b64 s[46:47], s[38:39]
	v_mov_b32_e32 v1, 0
	v_mov_b32_e32 v10, 0
	;; [unrolled: 1-line block ×4, first 2 shown]
	s_xor_b64 exec, exec, s[46:47]
	s_cbranch_execz .LBB9_209
; %bb.208:                              ;   in Loop: Header=BB9_12 Depth=1
	v_lshl_add_u64 v[10:11], v[96:97], 0, v[38:39]
	global_load_ushort v1, v[10:11], off
	v_lshl_add_u64 v[10:11], v[98:99], 0, v[38:39]
	global_load_ushort v12, v[10:11], off
	;; [unrolled: 2-line block ×4, first 2 shown]
	s_waitcnt vmcnt(3)
	ds_write_b16 v198, v1 offset:11264
	s_waitcnt vmcnt(2)
	ds_write_b16 v200, v12 offset:11264
	;; [unrolled: 2-line block ×4, first 2 shown]
	v_lshl_add_u64 v[10:11], v[104:105], 0, v[38:39]
	global_load_ushort v1, v[10:11], off
	v_lshl_add_u64 v[10:11], v[106:107], 0, v[38:39]
	v_lshl_add_u64 v[12:13], v[108:109], 0, v[38:39]
	global_load_ushort v10, v[10:11], off
	s_nop 0
	global_load_ushort v11, v[12:13], off
	v_lshl_add_u64 v[12:13], v[110:111], 0, v[38:39]
	global_load_ushort v12, v[12:13], off
.LBB9_209:                              ;   in Loop: Header=BB9_12 Depth=1
	s_or_b64 exec, exec, s[46:47]
	s_waitcnt vmcnt(3)
	ds_write_b16 v206, v1 offset:11264
	s_waitcnt vmcnt(2)
	ds_write_b16 v208, v10 offset:11264
	;; [unrolled: 2-line block ×4, first 2 shown]
.LBB9_210:                              ;   Parent Loop BB9_12 Depth=1
                                        ; =>  This Inner Loop Header: Depth=2
	scratch_store_dwordx4 off, v[174:177], off
	s_and_saveexec_b64 s[38:39], s[4:5]
	s_cbranch_execz .LBB9_212
; %bb.211:                              ;   in Loop: Header=BB9_210 Depth=2
	global_load_dwordx4 v[10:13], v[122:123], off
	s_waitcnt vmcnt(0)
	ds_write_b128 v139, v[10:13]
.LBB9_212:                              ;   in Loop: Header=BB9_210 Depth=2
	s_or_b64 exec, exec, s[38:39]
	v_lshl_add_u64 v[10:11], v[118:119], 0, v[60:61]
	v_mov_b32_e32 v1, s43
	v_cndmask_b32_e64 v11, v1, v11, s[6:7]
	v_cndmask_b32_e64 v10, v233, v10, s[6:7]
	v_lshl_add_u64 v[12:13], v[120:121], 0, v[60:61]
	v_cndmask_b32_e64 v15, v1, v13, s[8:9]
	v_cndmask_b32_e64 v14, v233, v12, s[8:9]
	flat_load_dwordx4 v[10:13], v[10:11]
	v_add_u32_e32 v1, 0x800, v138
	s_and_b64 vcc, exec, s[60:61]
	s_waitcnt vmcnt(0) lgkmcnt(0)
	ds_write_b128 v134, v[10:13]
	flat_load_dwordx4 v[10:13], v[14:15]
	s_waitcnt vmcnt(0) lgkmcnt(0)
	ds_write_b128 v137, v[10:13]
	s_waitcnt lgkmcnt(0)
	s_barrier
	ds_read2_b64 v[10:13], v138 offset1:4
	s_waitcnt lgkmcnt(0)
	v_mfma_f32_16x16x16_f16 v[14:17], v[10:11], v[6:7], 0
	ds_read_b64 v[170:171], v138 offset:8576
	v_mfma_f32_16x16x16_f16 v[10:13], v[12:13], v[8:9], v[14:17]
	s_nop 5
	ds_read2_b64 v[14:17], v138 offset0:8 offset1:12
	s_waitcnt lgkmcnt(0)
	v_mfma_f32_16x16x16_f16 v[10:13], v[14:15], v[2:3], v[10:13]
	ds_read_b64 v[14:15], v138 offset:128
	v_mfma_f32_16x16x16_f16 v[10:13], v[16:17], v[4:5], v[10:13]
	s_waitcnt lgkmcnt(0)
	v_mfma_f32_16x16x16_f16 v[10:13], v[14:15], v[76:77], v[10:13]
	ds_read2_b64 v[14:17], v1 offset0:96 offset1:100
	s_waitcnt lgkmcnt(0)
	v_mfma_f32_16x16x16_f16 v[18:21], v[14:15], v[6:7], 0
	v_mfma_f32_16x16x16_f16 v[14:17], v[16:17], v[8:9], v[18:21]
	s_nop 6
	ds_read2_b64 v[18:21], v1 offset0:104 offset1:108
	s_waitcnt lgkmcnt(0)
	v_mfma_f32_16x16x16_f16 v[14:17], v[18:19], v[2:3], v[14:17]
	ds_read_b64 v[18:19], v138 offset:2944
	v_add_u32_e32 v1, 0x1000, v138
	v_mfma_f32_16x16x16_f16 v[14:17], v[20:21], v[4:5], v[14:17]
	s_waitcnt lgkmcnt(0)
	v_mfma_f32_16x16x16_f16 v[14:17], v[18:19], v[76:77], v[14:17]
	ds_read2_b64 v[18:21], v1 offset0:192 offset1:196
	s_waitcnt lgkmcnt(0)
	v_mfma_f32_16x16x16_f16 v[22:25], v[18:19], v[6:7], 0
	v_mfma_f32_16x16x16_f16 v[18:21], v[20:21], v[8:9], v[22:25]
	s_nop 6
	ds_read2_b64 v[22:25], v1 offset0:200 offset1:204
	s_waitcnt lgkmcnt(0)
	v_mfma_f32_16x16x16_f16 v[18:21], v[22:23], v[2:3], v[18:21]
	ds_read_b64 v[22:23], v138 offset:5760
	v_add_u32_e32 v1, 0x2000, v138
	v_mfma_f32_16x16x16_f16 v[18:21], v[24:25], v[4:5], v[18:21]
	s_waitcnt lgkmcnt(0)
	v_mfma_f32_16x16x16_f16 v[18:21], v[22:23], v[76:77], v[18:21]
	ds_read2_b64 v[22:25], v1 offset0:32 offset1:36
	s_waitcnt lgkmcnt(0)
	v_mfma_f32_16x16x16_f16 v[250:253], v[22:23], v[6:7], 0
	v_mfma_f32_16x16x16_f16 v[22:25], v[24:25], v[8:9], v[250:253]
	s_nop 6
	ds_read2_b64 v[250:253], v1 offset0:40 offset1:44
	s_waitcnt lgkmcnt(0)
	v_mfma_f32_16x16x16_f16 v[22:25], v[250:251], v[2:3], v[22:25]
	s_barrier
	v_mfma_f32_16x16x16_f16 v[22:25], v[252:253], v[4:5], v[22:25]
	v_mfma_f32_16x16x16_f16 v[22:25], v[170:171], v[76:77], v[22:25]
	s_cbranch_vccnz .LBB9_214
; %bb.213:                              ;   in Loop: Header=BB9_210 Depth=2
	ds_read_b32 v1, v141 offset:11264
	v_mov_b32_e32 v73, v72
	s_waitcnt lgkmcnt(0)
	v_cvt_f32_f16_sdwa v171, v1 dst_sel:DWORD dst_unused:UNUSED_PAD src0_sel:WORD_1
	v_cvt_f32_f16_e32 v170, v1
	ds_read_b32 v1, v142 offset:11264
	v_pk_fma_f32 v[10:11], v[78:79], v[170:171], v[10:11]
	s_waitcnt lgkmcnt(0)
	v_cvt_f32_f16_sdwa v173, v1 dst_sel:DWORD dst_unused:UNUSED_PAD src0_sel:WORD_1
	v_cvt_f32_f16_e32 v172, v1
	v_add_u32_e32 v1, 0x2c00, v144
	ds_read2_b32 v[170:171], v1 offset1:1
	v_add_u32_e32 v1, 0x2c00, v146
	v_pk_fma_f32 v[12:13], v[72:73], v[172:173], v[12:13]
	s_waitcnt lgkmcnt(0)
	v_cvt_f32_f16_e32 v172, v170
	v_cvt_f32_f16_sdwa v173, v170 dst_sel:DWORD dst_unused:UNUSED_PAD src0_sel:WORD_1
	v_cvt_f32_f16_e32 v170, v171
	v_cvt_f32_f16_sdwa v171, v171 dst_sel:DWORD dst_unused:UNUSED_PAD src0_sel:WORD_1
	v_pk_fma_f32 v[14:15], v[78:79], v[172:173], v[14:15]
	v_pk_fma_f32 v[16:17], v[72:73], v[170:171], v[16:17]
	ds_read2_b32 v[170:171], v1 offset1:1
	v_add_u32_e32 v1, 0x2c00, v148
	s_waitcnt lgkmcnt(0)
	v_cvt_f32_f16_e32 v172, v170
	v_cvt_f32_f16_sdwa v173, v170 dst_sel:DWORD dst_unused:UNUSED_PAD src0_sel:WORD_1
	v_cvt_f32_f16_e32 v170, v171
	v_cvt_f32_f16_sdwa v171, v171 dst_sel:DWORD dst_unused:UNUSED_PAD src0_sel:WORD_1
	v_pk_fma_f32 v[18:19], v[78:79], v[172:173], v[18:19]
	v_pk_fma_f32 v[20:21], v[72:73], v[170:171], v[20:21]
	ds_read2_b32 v[170:171], v1 offset1:1
	s_waitcnt lgkmcnt(0)
	v_cvt_f32_f16_e32 v172, v170
	v_cvt_f32_f16_sdwa v173, v170 dst_sel:DWORD dst_unused:UNUSED_PAD src0_sel:WORD_1
	v_cvt_f32_f16_e32 v170, v171
	v_cvt_f32_f16_sdwa v171, v171 dst_sel:DWORD dst_unused:UNUSED_PAD src0_sel:WORD_1
	v_pk_fma_f32 v[22:23], v[78:79], v[172:173], v[22:23]
	v_pk_fma_f32 v[24:25], v[72:73], v[170:171], v[24:25]
.LBB9_214:                              ;   in Loop: Header=BB9_210 Depth=2
	v_add_f32_e32 v1, 0x40051340, v10
	v_max_f32_e32 v73, v249, v249
	v_max_f32_e32 v1, v73, v1
	v_cndmask_b32_e64 v1, v249, v1, s[10:11]
	v_add_f32_e32 v73, 0x40051340, v11
	v_max_f32_e32 v1, v1, v1
	v_max_f32_e32 v1, v1, v73
	v_cndmask_b32_e64 v1, v249, v1, s[10:11]
	;; [unrolled: 4-line block ×16, first 2 shown]
	ds_bpermute_b32 v73, v36, v1
	v_max_f32_e32 v1, v1, v1
	scratch_store_dwordx4 off, v[174:177], off
	s_waitcnt lgkmcnt(0)
	v_max_f32_e32 v73, v73, v73
	v_max_f32_e32 v1, v1, v73
	ds_bpermute_b32 v73, v245, v1
	s_and_saveexec_b64 s[38:39], s[4:5]
	s_cbranch_execz .LBB9_216
; %bb.215:                              ;   in Loop: Header=BB9_210 Depth=2
	global_load_dwordx4 v[250:253], v[112:113], off
	s_waitcnt vmcnt(0)
	ds_write_b128 v139, v[250:253]
.LBB9_216:                              ;   in Loop: Header=BB9_210 Depth=2
	s_or_b64 exec, exec, s[38:39]
	s_waitcnt lgkmcnt(0)
	v_max_f32_e32 v73, v73, v73
	v_max_f32_e32 v1, v1, v1
	;; [unrolled: 1-line block ×3, first 2 shown]
	v_sub_f32_e32 v1, v10, v73
	v_mul_f32_e32 v10, 0x3fb8aa3b, v1
	v_fma_f32 v170, v1, s42, -v10
	v_rndne_f32_e32 v171, v10
	v_fmac_f32_e32 v170, 0x32a5705f, v1
	v_sub_f32_e32 v10, v10, v171
	v_add_f32_e32 v10, v10, v170
	v_exp_f32_e32 v10, v10
	v_cvt_i32_f32_e32 v170, v171
	v_sub_f32_e32 v11, v11, v73
	v_cmp_ngt_f32_e32 vcc, s53, v1
	s_add_i32 s54, s54, -1
	v_ldexp_f32 v10, v10, v170
	v_mul_f32_e32 v170, 0x3fb8aa3b, v11
	v_fma_f32 v171, v11, s42, -v170
	v_rndne_f32_e32 v172, v170
	v_fmac_f32_e32 v171, 0x32a5705f, v11
	v_sub_f32_e32 v170, v170, v172
	v_add_f32_e32 v170, v170, v171
	v_exp_f32_e32 v170, v170
	v_cvt_i32_f32_e32 v171, v172
	v_cndmask_b32_e32 v10, 0, v10, vcc
	v_cmp_nlt_f32_e32 vcc, s97, v1
	v_lshl_add_u64 v[80:81], v[80:81], 0, s[56:57]
	v_ldexp_f32 v170, v170, v171
	v_cndmask_b32_e32 v1, v230, v10, vcc
	v_cmp_ngt_f32_e32 vcc, s53, v11
	v_cndmask_b32_e64 v10, 0, v1, s[10:11]
	v_lshl_add_u64 v[82:83], v[82:83], 0, s[56:57]
	v_cndmask_b32_e32 v170, 0, v170, vcc
	v_cmp_nlt_f32_e32 vcc, s97, v11
	v_lshl_add_u64 v[84:85], v[84:85], 0, s[56:57]
	v_lshl_add_u64 v[86:87], v[86:87], 0, s[56:57]
	v_cndmask_b32_e32 v11, v230, v170, vcc
	v_add_f32_e32 v170, v1, v11
	v_mov_b32_e32 v1, s55
	v_cndmask_b32_e64 v1, v1, v11, s[10:11]
	v_sub_f32_e32 v11, v12, v73
	v_mul_f32_e32 v12, 0x3fb8aa3b, v11
	v_fma_f32 v171, v11, s42, -v12
	v_rndne_f32_e32 v172, v12
	v_fmac_f32_e32 v171, 0x32a5705f, v11
	v_sub_f32_e32 v12, v12, v172
	v_add_f32_e32 v12, v12, v171
	v_exp_f32_e32 v12, v12
	v_cvt_i32_f32_e32 v171, v172
	v_cmp_ngt_f32_e32 vcc, s53, v11
	v_lshl_add_u64 v[88:89], v[88:89], 0, s[56:57]
	v_lshl_add_u64 v[90:91], v[90:91], 0, s[56:57]
	v_ldexp_f32 v12, v12, v171
	v_cndmask_b32_e32 v12, 0, v12, vcc
	v_cmp_nlt_f32_e32 vcc, s97, v11
	v_lshl_add_u64 v[92:93], v[92:93], 0, s[56:57]
	v_lshl_add_u64 v[94:95], v[94:95], 0, s[56:57]
	v_cndmask_b32_e32 v11, v230, v12, vcc
	v_mov_b32_e32 v12, s55
	v_add_f32_e32 v170, v170, v11
	v_cndmask_b32_e64 v12, v12, v11, s[10:11]
	v_sub_f32_e32 v11, v13, v73
	v_mul_f32_e32 v13, 0x3fb8aa3b, v11
	v_fma_f32 v171, v11, s42, -v13
	v_rndne_f32_e32 v172, v13
	v_fmac_f32_e32 v171, 0x32a5705f, v11
	v_sub_f32_e32 v13, v13, v172
	v_add_f32_e32 v13, v13, v171
	v_exp_f32_e32 v13, v13
	v_cvt_i32_f32_e32 v171, v172
	v_cmp_ngt_f32_e32 vcc, s53, v11
	v_lshl_add_u64 v[96:97], v[96:97], 0, s[56:57]
	v_lshl_add_u64 v[98:99], v[98:99], 0, s[56:57]
	v_ldexp_f32 v13, v13, v171
	v_cndmask_b32_e32 v13, 0, v13, vcc
	v_cmp_nlt_f32_e32 vcc, s97, v11
	v_lshl_add_u64 v[100:101], v[100:101], 0, s[56:57]
	v_lshl_add_u64 v[102:103], v[102:103], 0, s[56:57]
	v_cndmask_b32_e32 v171, v230, v13, vcc
	v_sub_f32_e32 v13, v14, v73
	v_mul_f32_e32 v14, 0x3fb8aa3b, v13
	v_add_f32_e32 v11, v170, v171
	v_fma_f32 v170, v13, s42, -v14
	v_rndne_f32_e32 v172, v14
	v_fmac_f32_e32 v170, 0x32a5705f, v13
	v_sub_f32_e32 v14, v14, v172
	v_add_f32_e32 v14, v14, v170
	v_exp_f32_e32 v14, v14
	v_cvt_i32_f32_e32 v170, v172
	v_cmp_ngt_f32_e32 vcc, s53, v13
	v_cndmask_b32_e64 v11, 0, v11, s[10:11]
	v_lshl_add_u64 v[104:105], v[104:105], 0, s[56:57]
	v_ldexp_f32 v14, v14, v170
	v_cndmask_b32_e32 v14, 0, v14, vcc
	v_cmp_nlt_f32_e32 vcc, s97, v13
	v_lshl_add_u64 v[106:107], v[106:107], 0, s[56:57]
	v_lshl_add_u64 v[108:109], v[108:109], 0, s[56:57]
	v_cndmask_b32_e32 v13, v230, v14, vcc
	v_add_f32_e32 v170, v13, v11
	v_mov_b32_e32 v14, s55
	v_cndmask_b32_e64 v14, v14, v13, s[12:13]
	v_cndmask_b32_e64 v13, v11, v170, s[12:13]
	v_sub_f32_e32 v11, v15, v73
	v_mul_f32_e32 v15, 0x3fb8aa3b, v11
	v_fma_f32 v170, v11, s42, -v15
	v_rndne_f32_e32 v172, v15
	v_fmac_f32_e32 v170, 0x32a5705f, v11
	v_sub_f32_e32 v15, v15, v172
	v_add_f32_e32 v15, v15, v170
	v_exp_f32_e32 v15, v15
	v_cvt_i32_f32_e32 v170, v172
	v_cmp_ngt_f32_e32 vcc, s53, v11
	v_lshl_add_u64 v[110:111], v[110:111], 0, s[56:57]
	v_lshl_add_u64 v[112:113], v[112:113], 0, s[36:37]
	v_ldexp_f32 v15, v15, v170
	v_cndmask_b32_e32 v15, 0, v15, vcc
	v_cmp_nlt_f32_e32 vcc, s97, v11
	v_mov_b32_e32 v11, s55
	v_lshl_add_u64 v[118:119], v[118:119], 0, s[44:45]
	v_cndmask_b32_e32 v15, v230, v15, vcc
	v_add_f32_e32 v170, v15, v13
	v_cndmask_b32_e64 v11, v11, v15, s[14:15]
	v_sub_f32_e32 v15, v16, v73
	v_mul_f32_e32 v16, 0x3fb8aa3b, v15
	v_cndmask_b32_e64 v13, v13, v170, s[14:15]
	v_fma_f32 v170, v15, s42, -v16
	v_rndne_f32_e32 v172, v16
	v_fmac_f32_e32 v170, 0x32a5705f, v15
	v_sub_f32_e32 v16, v16, v172
	v_add_f32_e32 v16, v16, v170
	v_exp_f32_e32 v16, v16
	v_cvt_i32_f32_e32 v170, v172
	v_cmp_ngt_f32_e32 vcc, s53, v15
	v_lshl_add_u64 v[120:121], v[120:121], 0, s[44:45]
	v_lshl_add_u64 v[122:123], v[122:123], 0, s[44:45]
	v_ldexp_f32 v16, v16, v170
	v_cndmask_b32_e32 v16, 0, v16, vcc
	v_cmp_nlt_f32_e32 vcc, s97, v15
	s_cmp_lg_u32 s54, 0
	s_nop 0
	v_cndmask_b32_e32 v15, v230, v16, vcc
	v_mov_b32_e32 v16, s55
	v_add_f32_e32 v170, v15, v13
	v_cndmask_b32_e64 v16, v16, v15, s[16:17]
	v_sub_f32_e32 v15, v17, v73
	v_mul_f32_e32 v17, 0x3fb8aa3b, v15
	v_cndmask_b32_e64 v13, v13, v170, s[16:17]
	v_fma_f32 v170, v15, s42, -v17
	v_rndne_f32_e32 v172, v17
	v_fmac_f32_e32 v170, 0x32a5705f, v15
	v_sub_f32_e32 v17, v17, v172
	v_add_f32_e32 v17, v17, v170
	v_exp_f32_e32 v17, v17
	v_cvt_i32_f32_e32 v170, v172
	v_cmp_ngt_f32_e32 vcc, s53, v15
	v_ldexp_f32 v17, v17, v170
	s_nop 0
	v_cndmask_b32_e32 v17, 0, v17, vcc
	v_cmp_nlt_f32_e32 vcc, s97, v15
	s_nop 1
	v_cndmask_b32_e32 v170, v230, v17, vcc
	v_add_f32_e32 v15, v170, v13
	v_cndmask_b32_e64 v13, v13, v15, s[18:19]
	v_sub_f32_e32 v15, v18, v73
	v_mul_f32_e32 v17, 0x3fb8aa3b, v15
	v_fma_f32 v18, v15, s42, -v17
	v_rndne_f32_e32 v172, v17
	v_fmac_f32_e32 v18, 0x32a5705f, v15
	v_sub_f32_e32 v17, v17, v172
	v_add_f32_e32 v17, v17, v18
	v_exp_f32_e32 v17, v17
	v_cvt_i32_f32_e32 v18, v172
	v_cmp_ngt_f32_e32 vcc, s53, v15
	v_ldexp_f32 v17, v17, v18
	s_nop 0
	v_cndmask_b32_e32 v17, 0, v17, vcc
	v_cmp_nlt_f32_e32 vcc, s97, v15
	v_mov_b32_e32 v18, s55
	s_nop 0
	v_cndmask_b32_e32 v15, v230, v17, vcc
	v_add_f32_e32 v17, v15, v13
	v_cndmask_b32_e64 v18, v18, v15, s[20:21]
	v_cndmask_b32_e64 v15, v13, v17, s[20:21]
	v_sub_f32_e32 v13, v19, v73
	v_mul_f32_e32 v17, 0x3fb8aa3b, v13
	v_fma_f32 v19, v13, s42, -v17
	v_rndne_f32_e32 v172, v17
	v_fmac_f32_e32 v19, 0x32a5705f, v13
	v_sub_f32_e32 v17, v17, v172
	v_add_f32_e32 v17, v17, v19
	v_exp_f32_e32 v17, v17
	v_cvt_i32_f32_e32 v19, v172
	v_cmp_ngt_f32_e32 vcc, s53, v13
	v_ldexp_f32 v17, v17, v19
	s_nop 0
	v_cndmask_b32_e32 v17, 0, v17, vcc
	v_cmp_nlt_f32_e32 vcc, s97, v13
	v_mov_b32_e32 v13, s55
	s_nop 0
	v_cndmask_b32_e32 v17, v230, v17, vcc
	v_add_f32_e32 v19, v17, v15
	v_cndmask_b32_e64 v13, v13, v17, s[22:23]
	v_sub_f32_e32 v17, v20, v73
	v_cndmask_b32_e64 v15, v15, v19, s[22:23]
	v_mul_f32_e32 v19, 0x3fb8aa3b, v17
	v_fma_f32 v20, v17, s42, -v19
	v_rndne_f32_e32 v172, v19
	v_fmac_f32_e32 v20, 0x32a5705f, v17
	v_sub_f32_e32 v19, v19, v172
	v_add_f32_e32 v19, v19, v20
	v_exp_f32_e32 v19, v19
	v_cvt_i32_f32_e32 v20, v172
	v_cmp_ngt_f32_e32 vcc, s53, v17
	v_ldexp_f32 v19, v19, v20
	s_nop 0
	v_cndmask_b32_e32 v19, 0, v19, vcc
	v_cmp_nlt_f32_e32 vcc, s97, v17
	v_mov_b32_e32 v20, s55
	s_nop 0
	v_cndmask_b32_e32 v17, v230, v19, vcc
	v_add_f32_e32 v19, v17, v15
	v_cndmask_b32_e64 v20, v20, v17, s[24:25]
	v_sub_f32_e32 v17, v21, v73
	v_cndmask_b32_e64 v15, v15, v19, s[24:25]
	v_mul_f32_e32 v19, 0x3fb8aa3b, v17
	v_fma_f32 v21, v17, s42, -v19
	v_rndne_f32_e32 v172, v19
	v_fmac_f32_e32 v21, 0x32a5705f, v17
	v_sub_f32_e32 v19, v19, v172
	v_add_f32_e32 v19, v19, v21
	v_exp_f32_e32 v19, v19
	v_cvt_i32_f32_e32 v21, v172
	v_cmp_ngt_f32_e32 vcc, s53, v17
	v_ldexp_f32 v19, v19, v21
	s_nop 0
	v_cndmask_b32_e32 v19, 0, v19, vcc
	v_cmp_nlt_f32_e32 vcc, s97, v17
	s_nop 1
	v_cndmask_b32_e32 v172, v230, v19, vcc
	v_add_f32_e32 v17, v172, v15
	v_cndmask_b32_e64 v15, v15, v17, s[26:27]
	v_sub_f32_e32 v17, v22, v73
	v_mul_f32_e32 v19, 0x3fb8aa3b, v17
	v_fma_f32 v21, v17, s42, -v19
	v_rndne_f32_e32 v22, v19
	v_fmac_f32_e32 v21, 0x32a5705f, v17
	v_sub_f32_e32 v19, v19, v22
	v_add_f32_e32 v19, v19, v21
	v_exp_f32_e32 v19, v19
	v_cvt_i32_f32_e32 v21, v22
	v_cmp_ngt_f32_e32 vcc, s53, v17
	v_mov_b32_e32 v22, s55
	v_ldexp_f32 v19, v19, v21
	v_cndmask_b32_e32 v19, 0, v19, vcc
	v_cmp_nlt_f32_e32 vcc, s97, v17
	s_nop 1
	v_cndmask_b32_e32 v17, v230, v19, vcc
	v_add_f32_e32 v19, v17, v15
	v_cndmask_b32_e64 v22, v22, v17, s[0:1]
	v_cndmask_b32_e64 v17, v15, v19, s[0:1]
	v_sub_f32_e32 v15, v23, v73
	v_mul_f32_e32 v19, 0x3fb8aa3b, v15
	v_fma_f32 v21, v15, s42, -v19
	v_rndne_f32_e32 v23, v19
	v_fmac_f32_e32 v21, 0x32a5705f, v15
	v_sub_f32_e32 v19, v19, v23
	v_add_f32_e32 v19, v19, v21
	v_exp_f32_e32 v19, v19
	v_cvt_i32_f32_e32 v21, v23
	v_cmp_ngt_f32_e32 vcc, s53, v15
	v_ldexp_f32 v19, v19, v21
	s_nop 0
	v_cndmask_b32_e32 v19, 0, v19, vcc
	v_cmp_nlt_f32_e32 vcc, s97, v15
	v_mov_b32_e32 v15, s55
	s_nop 0
	v_cndmask_b32_e32 v19, v230, v19, vcc
	v_add_f32_e32 v21, v19, v17
	v_cndmask_b32_e64 v15, v15, v19, s[28:29]
	v_sub_f32_e32 v19, v24, v73
	v_cndmask_b32_e64 v17, v17, v21, s[28:29]
	v_mul_f32_e32 v21, 0x3fb8aa3b, v19
	v_fma_f32 v23, v19, s42, -v21
	v_rndne_f32_e32 v24, v21
	v_fmac_f32_e32 v23, 0x32a5705f, v19
	v_sub_f32_e32 v21, v21, v24
	v_add_f32_e32 v21, v21, v23
	v_exp_f32_e32 v21, v21
	v_cvt_i32_f32_e32 v23, v24
	v_cmp_ngt_f32_e32 vcc, s53, v19
	v_mov_b32_e32 v24, s55
	v_ldexp_f32 v21, v21, v23
	v_cndmask_b32_e32 v21, 0, v21, vcc
	v_cmp_nlt_f32_e32 vcc, s97, v19
	s_nop 1
	v_cndmask_b32_e32 v19, v230, v21, vcc
	v_add_f32_e32 v21, v19, v17
	v_cndmask_b32_e64 v24, v24, v19, s[30:31]
	v_sub_f32_e32 v19, v25, v73
	v_cndmask_b32_e64 v17, v17, v21, s[30:31]
	v_mul_f32_e32 v21, 0x3fb8aa3b, v19
	v_fma_f32 v23, v19, s42, -v21
	v_rndne_f32_e32 v25, v21
	v_fmac_f32_e32 v23, 0x32a5705f, v19
	v_sub_f32_e32 v21, v21, v25
	v_add_f32_e32 v21, v21, v23
	v_exp_f32_e32 v21, v21
	v_cvt_i32_f32_e32 v23, v25
	v_cmp_ngt_f32_e32 vcc, s53, v19
	v_ldexp_f32 v21, v21, v23
	s_nop 0
	v_cndmask_b32_e32 v21, 0, v21, vcc
	v_cmp_nlt_f32_e32 vcc, s97, v19
	s_nop 1
	v_cndmask_b32_e32 v173, v230, v21, vcc
	v_add_f32_e32 v19, v173, v17
	v_cndmask_b32_e64 v244, v17, v19, s[34:35]
	v_sub_f32_e32 v17, v249, v73
	v_mul_f32_e32 v19, 0x3fb8aa3b, v17
	v_fma_f32 v21, v17, s42, -v19
	v_rndne_f32_e32 v23, v19
	v_fmac_f32_e32 v21, 0x32a5705f, v17
	v_sub_f32_e32 v19, v19, v23
	v_add_f32_e32 v19, v19, v21
	v_exp_f32_e32 v19, v19
	v_cvt_i32_f32_e32 v21, v23
	v_cmp_ngt_f32_e32 vcc, s53, v17
	v_ldexp_f32 v19, v19, v21
	s_nop 0
	v_cndmask_b32_e32 v19, 0, v19, vcc
	v_cmp_nlt_f32_e32 vcc, s97, v17
	s_nop 1
	v_cndmask_b32_e32 v19, v230, v19, vcc
	v_cmp_le_f32_e32 vcc, s84, v17
	s_nop 1
	v_cndmask_b32_e32 v17, 0, v19, vcc
	v_fmac_f32_e32 v244, v26, v17
	v_cvt_f16_f32_e32 v17, v17
	v_mul_u32_u24_e32 v26, 0x10001, v17
	v_pk_mul_f16 v251, v248, v26
	v_pk_mul_f16 v248, v27, v26
	v_mov_b32_e32 v27, s55
	v_pk_mul_f16 v250, v247, v26
	v_pk_mul_f16 v17, v127, v26
	;; [unrolled: 1-line block ×8, first 2 shown]
	v_cndmask_b32_e64 v249, v27, v173, s[34:35]
	v_cndmask_b32_e64 v126, v27, v172, s[26:27]
	;; [unrolled: 1-line block ×4, first 2 shown]
	v_lshl_add_u64 v[26:27], v[114:115], 0, v[60:61]
	v_mov_b32_e32 v127, s43
	v_cndmask_b32_e64 v27, v127, v27, s[6:7]
	v_cndmask_b32_e64 v26, v233, v26, s[6:7]
	flat_load_dwordx4 v[26:29], v[26:27]
	v_cvt_f32_f16_e32 v170, v251
	v_cvt_f32_f16_sdwa v171, v251 dst_sel:DWORD dst_unused:UNUSED_PAD src0_sel:WORD_1
	v_cvt_f32_f16_e32 v172, v250
	v_cvt_f32_f16_sdwa v173, v250 dst_sel:DWORD dst_unused:UNUSED_PAD src0_sel:WORD_1
	v_lshl_add_u64 v[114:115], v[114:115], 0, s[36:37]
	s_waitcnt vmcnt(0) lgkmcnt(0)
	ds_write_b128 v134, v[26:29]
	v_lshl_add_u64 v[26:27], v[116:117], 0, v[60:61]
	v_cndmask_b32_e64 v27, v127, v27, s[8:9]
	v_cndmask_b32_e64 v26, v233, v26, s[8:9]
	flat_load_dwordx4 v[26:29], v[26:27]
	v_lshl_add_u64 v[116:117], v[116:117], 0, s[36:37]
	s_waitcnt vmcnt(0) lgkmcnt(0)
	ds_write_b128 v137, v[26:29]
	s_waitcnt lgkmcnt(0)
	s_barrier
	ds_read_u16 v26, v149 offset:176
	ds_read_u16 v27, v150
	ds_read_u16 v250, v150 offset:32
	ds_read_u16 v28, v151
	ds_read_u16 v251, v151 offset:32
	v_cvt_pk_f16_f32 v29, v12, v125
	s_waitcnt lgkmcnt(1)
	v_perm_b32 v27, v28, v27, s33
	ds_read_u16 v28, v149
	ds_read_u16 v252, v149 offset:32
	s_waitcnt lgkmcnt(1)
	v_perm_b32 v26, v26, v28, s33
	v_cvt_pk_f16_f32 v28, v10, v1
	s_nop 1
	v_mfma_f32_16x16x16_f16 v[170:173], v[26:27], v[28:29], v[170:173]
	ds_read_u16 v125, v149 offset:2816
	ds_read_u16 v127, v149 offset:2992
	;; [unrolled: 1-line block ×4, first 2 shown]
	s_nop 3
	v_cvt_f16_f32_e32 v26, v173
	v_cvt_f16_f32_e32 v1, v170
	;; [unrolled: 1-line block ×4, first 2 shown]
	v_cvt_f32_f16_e32 v173, v26
	s_waitcnt lgkmcnt(0)
	v_perm_b32 v27, v253, v27, s33
	v_perm_b32 v26, v127, v125, s33
	v_cvt_f32_f16_e32 v170, v1
	v_cvt_f32_f16_e32 v171, v10
	;; [unrolled: 1-line block ×3, first 2 shown]
	v_cvt_pk_f16_f32 v125, v16, v124
	v_cvt_pk_f16_f32 v124, v14, v11
	;; [unrolled: 1-line block ×4, first 2 shown]
	v_mfma_f32_16x16x16_f16 v[170:173], v[26:27], v[124:125], v[170:173]
	ds_read_u16 v14, v149 offset:5632
	ds_read_u16 v16, v149 offset:5808
	;; [unrolled: 1-line block ×4, first 2 shown]
	s_nop 3
	v_cvt_f16_f32_e32 v10, v171
	v_cvt_f16_f32_e32 v11, v172
	;; [unrolled: 1-line block ×4, first 2 shown]
	v_cvt_f32_f16_e32 v171, v10
	v_cvt_f32_f16_e32 v172, v11
	s_waitcnt lgkmcnt(0)
	v_perm_b32 v11, v27, v26, s33
	v_perm_b32 v10, v16, v14, s33
	v_cvt_f32_f16_e32 v170, v1
	v_cvt_f32_f16_e32 v173, v12
	ds_read_u16 v14, v149 offset:8448
	ds_read_u16 v16, v149 offset:8624
	;; [unrolled: 1-line block ×4, first 2 shown]
	v_mfma_f32_16x16x16_f16 v[10:13], v[10:11], v[126:127], v[170:173]
	v_cvt_pk_f16_f32 v27, v24, v249
	s_waitcnt lgkmcnt(0)
	s_nop 0
	v_perm_b32 v171, v20, v18, s33
	v_perm_b32 v170, v16, v14, s33
	s_nop 2
	v_cvt_f16_f32_e32 v1, v10
	v_cvt_f16_f32_e32 v11, v11
	;; [unrolled: 1-line block ×4, first 2 shown]
	v_cvt_f32_f16_e32 v10, v1
	ds_read_u16 v1, v149 offset:208
	v_cvt_f32_f16_e32 v11, v11
	v_cvt_f32_f16_e32 v12, v12
	v_cvt_f32_f16_e32 v13, v13
	v_cvt_pk_f16_f32 v26, v22, v15
	v_cvt_f32_f16_e32 v14, v248
	v_cvt_f32_f16_sdwa v15, v248 dst_sel:DWORD dst_unused:UNUSED_PAD src0_sel:WORD_1
	v_mfma_f32_16x16x16_f16 v[10:13], v[170:171], v[26:27], v[10:13]
	v_perm_b32 v171, v251, v250, s33
	s_waitcnt lgkmcnt(0)
	v_perm_b32 v170, v1, v252, s33
	v_cvt_f32_f16_e32 v16, v17
	v_cvt_f32_f16_sdwa v17, v17 dst_sel:DWORD dst_unused:UNUSED_PAD src0_sel:WORD_1
	ds_read_u16 v18, v149 offset:2848
	ds_read_u16 v20, v149 offset:3024
	;; [unrolled: 1-line block ×4, first 2 shown]
	v_mfma_f32_16x16x16_f16 v[14:17], v[170:171], v[28:29], v[14:17]
	s_waitcnt lgkmcnt(2)
	v_perm_b32 v170, v20, v18, s33
	s_waitcnt lgkmcnt(0)
	v_perm_b32 v171, v24, v22, s33
	ds_read_u16 v18, v149 offset:5664
	ds_read_u16 v20, v149 offset:5840
	;; [unrolled: 1-line block ×4, first 2 shown]
	v_cvt_f16_f32_e32 v1, v14
	v_cvt_f16_f32_e32 v15, v15
	;; [unrolled: 1-line block ×4, first 2 shown]
	v_cvt_f32_f16_e32 v14, v1
	v_cvt_f32_f16_e32 v15, v15
	;; [unrolled: 1-line block ×5, first 2 shown]
	v_cvt_f32_f16_sdwa v173, v19 dst_sel:DWORD dst_unused:UNUSED_PAD src0_sel:WORD_1
	v_mfma_f32_16x16x16_f16 v[14:17], v[170:171], v[124:125], v[14:17]
	s_waitcnt lgkmcnt(0)
	v_perm_b32 v171, v24, v22, s33
	v_perm_b32 v170, v20, v18, s33
	ds_read_u16 v18, v149 offset:8480
	ds_read_u16 v20, v149 offset:8656
	ds_read_u16 v22, v150 offset:8480
	ds_read_u16 v24, v151 offset:8480
	s_nop 0
	v_cvt_f16_f32_e32 v1, v14
	v_cvt_f16_f32_e32 v15, v15
	;; [unrolled: 1-line block ×4, first 2 shown]
	v_cvt_f32_f16_e32 v14, v1
	v_cvt_f32_f16_e32 v15, v15
	;; [unrolled: 1-line block ×4, first 2 shown]
	s_nop 1
	v_mfma_f32_16x16x16_f16 v[14:17], v[170:171], v[126:127], v[14:17]
	s_waitcnt lgkmcnt(0)
	v_perm_b32 v171, v24, v22, s33
	v_perm_b32 v170, v20, v18, s33
	s_nop 4
	v_cvt_f16_f32_e32 v1, v14
	v_cvt_f16_f32_e32 v15, v15
	;; [unrolled: 1-line block ×4, first 2 shown]
	v_cvt_f32_f16_e32 v14, v1
	ds_read_u16 v1, v149 offset:64
	ds_read_u16 v18, v149 offset:240
	ds_read_u16 v20, v150 offset:64
	ds_read_u16 v22, v151 offset:64
	v_cvt_f32_f16_e32 v15, v15
	v_cvt_f32_f16_e32 v16, v16
	;; [unrolled: 1-line block ×3, first 2 shown]
	s_waitcnt lgkmcnt(2)
	v_perm_b32 v18, v18, v1, s33
	s_waitcnt lgkmcnt(0)
	v_perm_b32 v19, v22, v20, s33
	v_mfma_f32_16x16x16_f16 v[14:17], v[170:171], v[26:27], v[14:17]
	v_cvt_f32_f16_e32 v170, v21
	v_cvt_f32_f16_sdwa v171, v21 dst_sel:DWORD dst_unused:UNUSED_PAD src0_sel:WORD_1
	s_nop 1
	v_mfma_f32_16x16x16_f16 v[18:21], v[18:19], v[28:29], v[170:173]
	ds_read_u16 v22, v149 offset:2880
	ds_read_u16 v24, v149 offset:3056
	s_nop 0
	ds_read_u16 v170, v150 offset:2880
	ds_read_u16 v171, v151 offset:2880
	v_cvt_f32_f16_e32 v172, v23
	v_cvt_f32_f16_sdwa v173, v23 dst_sel:DWORD dst_unused:UNUSED_PAD src0_sel:WORD_1
	s_nop 0
	v_cvt_f16_f32_e32 v1, v18
	v_cvt_f16_f32_e32 v19, v19
	v_cvt_f16_f32_e32 v20, v20
	v_cvt_f16_f32_e32 v21, v21
	s_waitcnt lgkmcnt(0)
	v_perm_b32 v171, v171, v170, s33
	v_perm_b32 v170, v24, v22, s33
	v_cvt_f32_f16_e32 v18, v1
	v_cvt_f32_f16_e32 v19, v19
	;; [unrolled: 1-line block ×4, first 2 shown]
	s_nop 1
	v_mfma_f32_16x16x16_f16 v[18:21], v[170:171], v[124:125], v[18:21]
	ds_read_u16 v22, v149 offset:5696
	ds_read_u16 v24, v149 offset:5872
	;; [unrolled: 1-line block ×4, first 2 shown]
	s_nop 3
	v_cvt_f16_f32_e32 v1, v18
	v_cvt_f16_f32_e32 v19, v19
	;; [unrolled: 1-line block ×4, first 2 shown]
	s_waitcnt lgkmcnt(0)
	v_perm_b32 v171, v171, v170, s33
	v_perm_b32 v170, v24, v22, s33
	v_cvt_f32_f16_e32 v18, v1
	v_cvt_f32_f16_e32 v19, v19
	;; [unrolled: 1-line block ×4, first 2 shown]
	s_nop 1
	v_mfma_f32_16x16x16_f16 v[18:21], v[170:171], v[126:127], v[18:21]
	ds_read_u16 v22, v149 offset:8512
	ds_read_u16 v24, v149 offset:8688
	;; [unrolled: 1-line block ×4, first 2 shown]
	s_nop 3
	v_cvt_f16_f32_e32 v1, v18
	v_cvt_f16_f32_e32 v19, v19
	v_cvt_f16_f32_e32 v20, v20
	v_cvt_f16_f32_e32 v21, v21
	v_cvt_f32_f16_e32 v18, v1
	s_waitcnt lgkmcnt(0)
	v_perm_b32 v171, v171, v170, s33
	v_perm_b32 v170, v24, v22, s33
	ds_read_u16 v1, v149 offset:96
	ds_read_u16 v22, v149 offset:272
	;; [unrolled: 1-line block ×4, first 2 shown]
	v_cvt_f32_f16_e32 v19, v19
	v_cvt_f32_f16_e32 v20, v20
	;; [unrolled: 1-line block ×3, first 2 shown]
	s_waitcnt lgkmcnt(2)
	v_perm_b32 v22, v22, v1, s33
	s_waitcnt lgkmcnt(0)
	v_perm_b32 v23, v248, v24, s33
	v_mfma_f32_16x16x16_f16 v[18:21], v[170:171], v[26:27], v[18:21]
	v_cvt_f32_f16_e32 v170, v25
	v_cvt_f32_f16_sdwa v171, v25 dst_sel:DWORD dst_unused:UNUSED_PAD src0_sel:WORD_1
	s_nop 1
	v_mfma_f32_16x16x16_f16 v[22:25], v[22:23], v[28:29], v[170:173]
	s_nop 2
	ds_read_u16 v170, v149 offset:2912
	ds_read_u16 v172, v149 offset:3088
	ds_read_u16 v171, v150 offset:2912
	ds_read_u16 v173, v151 offset:2912
	s_nop 0
	v_cvt_f16_f32_e32 v1, v22
	v_cvt_f16_f32_e32 v23, v23
	;; [unrolled: 1-line block ×4, first 2 shown]
	s_waitcnt lgkmcnt(0)
	v_perm_b32 v171, v173, v171, s33
	v_perm_b32 v170, v172, v170, s33
	v_cvt_f32_f16_e32 v22, v1
	v_cvt_f32_f16_e32 v23, v23
	;; [unrolled: 1-line block ×4, first 2 shown]
	s_nop 1
	v_mfma_f32_16x16x16_f16 v[22:25], v[170:171], v[124:125], v[22:25]
	ds_read_u16 v170, v149 offset:5728
	ds_read_u16 v172, v149 offset:5904
	;; [unrolled: 1-line block ×4, first 2 shown]
	s_nop 3
	v_cvt_f16_f32_e32 v1, v22
	v_cvt_f16_f32_e32 v23, v23
	;; [unrolled: 1-line block ×4, first 2 shown]
	s_waitcnt lgkmcnt(0)
	v_perm_b32 v171, v173, v171, s33
	v_perm_b32 v170, v172, v170, s33
	v_cvt_f32_f16_e32 v22, v1
	v_cvt_f32_f16_e32 v23, v23
	;; [unrolled: 1-line block ×4, first 2 shown]
	s_nop 1
	v_mfma_f32_16x16x16_f16 v[22:25], v[170:171], v[126:127], v[22:25]
	ds_read_u16 v170, v149 offset:8544
	ds_read_u16 v172, v149 offset:8720
	ds_read_u16 v171, v150 offset:8544
	ds_read_u16 v173, v151 offset:8544
	s_nop 3
	v_cvt_f16_f32_e32 v1, v22
	v_cvt_f16_f32_e32 v23, v23
	v_cvt_f16_f32_e32 v24, v24
	v_cvt_f16_f32_e32 v25, v25
	v_cvt_f32_f16_e32 v22, v1
	s_waitcnt lgkmcnt(0)
	v_perm_b32 v171, v173, v171, s33
	v_perm_b32 v170, v172, v170, s33
	ds_read_u16 v1, v149 offset:128
	ds_read_u16 v248, v149 offset:304
	;; [unrolled: 1-line block ×4, first 2 shown]
	v_cvt_f32_f16_e32 v23, v23
	v_cvt_f32_f16_e32 v24, v24
	;; [unrolled: 1-line block ×4, first 2 shown]
	v_cvt_f32_f16_sdwa v173, v246 dst_sel:DWORD dst_unused:UNUSED_PAD src0_sel:WORD_1
	v_mfma_f32_16x16x16_f16 v[22:25], v[170:171], v[26:27], v[22:25]
	v_cvt_f32_f16_e32 v170, v247
	v_cvt_f32_f16_sdwa v171, v247 dst_sel:DWORD dst_unused:UNUSED_PAD src0_sel:WORD_1
	s_waitcnt lgkmcnt(0)
	v_perm_b32 v247, v250, v249, s33
	v_perm_b32 v246, v248, v1, s33
	s_nop 1
	v_mfma_f32_16x16x16_f16 v[170:173], v[246:247], v[28:29], v[170:173]
	ds_read_u16 v246, v149 offset:2944
	ds_read_u16 v247, v149 offset:3120
	;; [unrolled: 1-line block ×4, first 2 shown]
	s_nop 3
	v_cvt_f16_f32_e32 v28, v171
	v_cvt_f16_f32_e32 v29, v172
	;; [unrolled: 1-line block ×4, first 2 shown]
	v_cvt_f32_f16_e32 v171, v28
	v_cvt_f32_f16_e32 v172, v29
	s_waitcnt lgkmcnt(0)
	v_perm_b32 v29, v249, v248, s33
	v_perm_b32 v28, v247, v246, s33
	v_cvt_f32_f16_e32 v170, v1
	v_cvt_f32_f16_e32 v173, v173
	s_nop 1
	v_mfma_f32_16x16x16_f16 v[170:173], v[28:29], v[124:125], v[170:173]
	ds_read_u16 v125, v149 offset:5760
	ds_read_u16 v246, v149 offset:5936
	;; [unrolled: 1-line block ×4, first 2 shown]
	s_nop 3
	v_cvt_f16_f32_e32 v28, v171
	v_cvt_f16_f32_e32 v29, v172
	v_cvt_f16_f32_e32 v1, v170
	v_cvt_f16_f32_e32 v124, v173
	v_cvt_f32_f16_e32 v171, v28
	v_cvt_f32_f16_e32 v172, v29
	s_waitcnt lgkmcnt(0)
	v_perm_b32 v29, v248, v247, s33
	v_perm_b32 v28, v246, v125, s33
	v_cvt_f32_f16_e32 v170, v1
	v_cvt_f32_f16_e32 v173, v124
	v_cvt_pk_f16_f32 v248, v10, v11
	v_cvt_pk_f16_f32 v247, v12, v13
	v_mfma_f32_16x16x16_f16 v[124:127], v[28:29], v[126:127], v[170:173]
	s_nop 7
	v_cvt_f16_f32_e32 v29, v124
	v_cvt_f16_f32_e32 v124, v125
	;; [unrolled: 1-line block ×4, first 2 shown]
	ds_read_u16 v1, v149 offset:8576
	ds_read_u16 v28, v149 offset:8752
	;; [unrolled: 1-line block ×4, first 2 shown]
	v_cvt_f32_f16_e32 v170, v29
	v_cvt_f32_f16_e32 v171, v124
	s_waitcnt lgkmcnt(2)
	v_perm_b32 v28, v28, v1, s33
	v_cvt_f32_f16_e32 v172, v125
	s_waitcnt lgkmcnt(0)
	v_perm_b32 v29, v246, v127, s33
	v_cvt_f32_f16_e32 v173, v126
	v_cvt_pk_f16_f32 v127, v16, v17
	v_cvt_pk_f16_f32 v246, v18, v19
	v_mfma_f32_16x16x16_f16 v[170:173], v[28:29], v[26:27], v[170:173]
	v_cvt_pk_f16_f32 v27, v14, v15
	v_cvt_pk_f16_f32 v126, v20, v21
	;; [unrolled: 1-line block ×4, first 2 shown]
	s_nop 3
	v_cvt_pk_f16_f32 v29, v170, v171
	v_cvt_pk_f16_f32 v28, v172, v173
	s_barrier
	s_cbranch_scc0 .LBB9_219
; %bb.217:                              ;   in Loop: Header=BB9_210 Depth=2
	v_mov_b32_e32 v26, v244
	v_mov_b32_e32 v249, v73
	v_cndmask_b32_e64 v1, 0, 1, s[58:59]
	v_cmp_ne_u32_e64 s[60:61], 1, v1
	s_andn2_b64 vcc, exec, s[58:59]
	s_cbranch_vccz .LBB9_201
	s_branch .LBB9_210
.LBB9_218:                              ;   in Loop: Header=BB9_12 Depth=1
	v_mov_b32_e32 v73, 0xfeffffff
	s_mov_b32 s54, 0
	v_mov_b32_e32 v244, 0
	v_mov_b32_e32 v28, 0
	;; [unrolled: 1-line block ×11, first 2 shown]
	s_branch .LBB9_220
.LBB9_219:                              ;   in Loop: Header=BB9_12 Depth=1
	s_lshl_b32 s54, s62, 6
.LBB9_220:                              ;   in Loop: Header=BB9_12 Depth=1
	v_readlane_b32 s38, v254, 4
	v_cmp_eq_u64_e32 vcc, 0, v[74:75]
	s_sub_i32 s40, s38, s54
	v_cmp_ne_u64_e64 s[62:63], 0, v[74:75]
	v_readlane_b32 s39, v254, 5
	s_cbranch_vccnz .LBB9_238
; %bb.221:                              ;   in Loop: Header=BB9_12 Depth=1
	v_cmp_le_i32_e32 vcc, s40, v34
	s_and_saveexec_b64 s[38:39], vcc
	s_xor_b64 s[38:39], exec, s[38:39]
	s_cbranch_execz .LBB9_223
; %bb.222:                              ;   in Loop: Header=BB9_12 Depth=1
	ds_write_b16 v131, v37 offset:11264
	ds_write_b16 v184, v37 offset:11264
.LBB9_223:                              ;   in Loop: Header=BB9_12 Depth=1
	s_or_saveexec_b64 s[46:47], s[38:39]
	s_lshl_b64 s[38:39], s[54:55], 1
	v_lshl_add_u64 v[10:11], v[74:75], 0, s[38:39]
	v_lshlrev_b32_e32 v36, 1, v34
	v_lshl_add_u64 v[10:11], v[10:11], 0, v[36:37]
	v_mov_b32_e32 v1, 0
	v_mov_b32_e32 v12, 0
	s_xor_b64 exec, exec, s[46:47]
	s_cbranch_execz .LBB9_225
; %bb.224:                              ;   in Loop: Header=BB9_12 Depth=1
	v_add_u32_e32 v1, s64, v128
	v_mul_hi_u32 v12, s48, v1
	v_add_u32_e32 v12, v1, v12
	v_lshrrev_b32_e32 v12, s49, v12
	v_mul_lo_u32 v12, v12, s96
	v_readlane_b32 s38, v254, 52
	v_sub_u32_e32 v1, v1, v12
	v_readlane_b32 s39, v254, 53
	s_mov_b32 s58, s38
	v_mad_i64_i32 v[12:13], s[38:39], v1, s58, 0
	v_lshl_add_u64 v[12:13], v[12:13], 1, v[10:11]
	global_load_ushort v1, v[12:13], off
	v_add_u32_e32 v12, s64, v183
	v_mul_hi_u32 v13, s48, v12
	v_add_u32_e32 v13, v12, v13
	v_lshrrev_b32_e32 v13, s49, v13
	v_mul_lo_u32 v13, v13, s96
	v_sub_u32_e32 v12, v12, v13
	v_mad_i64_i32 v[12:13], s[38:39], v12, s58, 0
	v_lshl_add_u64 v[12:13], v[12:13], 1, v[10:11]
	global_load_ushort v12, v[12:13], off
	s_waitcnt vmcnt(1)
	ds_write_b16 v131, v1 offset:11264
	s_waitcnt vmcnt(0)
	ds_write_b16 v184, v12 offset:11264
	v_add_u32_e32 v1, s64, v185
	v_mul_hi_u32 v12, s48, v1
	v_add_u32_e32 v12, v1, v12
	v_lshrrev_b32_e32 v12, s49, v12
	v_mul_lo_u32 v12, v12, s96
	v_sub_u32_e32 v1, v1, v12
	v_mad_i64_i32 v[12:13], s[38:39], v1, s58, 0
	v_lshl_add_u64 v[12:13], v[12:13], 1, v[10:11]
	global_load_ushort v1, v[12:13], off
	v_add_u32_e32 v12, s64, v187
	v_mul_hi_u32 v13, s48, v12
	v_add_u32_e32 v13, v12, v13
	v_lshrrev_b32_e32 v13, s49, v13
	v_mul_lo_u32 v13, v13, s96
	v_sub_u32_e32 v12, v12, v13
	v_mad_i64_i32 v[12:13], s[38:39], v12, s58, 0
	v_lshl_add_u64 v[12:13], v[12:13], 1, v[10:11]
	global_load_ushort v12, v[12:13], off
.LBB9_225:                              ;   in Loop: Header=BB9_12 Depth=1
	s_or_b64 exec, exec, s[46:47]
	s_waitcnt vmcnt(1)
	ds_write_b16 v186, v1 offset:11264
	s_waitcnt vmcnt(0)
	ds_write_b16 v188, v12 offset:11264
	s_and_saveexec_b64 s[38:39], vcc
	s_xor_b64 s[38:39], exec, s[38:39]
	s_cbranch_execz .LBB9_227
; %bb.226:                              ;   in Loop: Header=BB9_12 Depth=1
	ds_write_b16 v190, v37 offset:11264
	ds_write_b16 v192, v37 offset:11264
.LBB9_227:                              ;   in Loop: Header=BB9_12 Depth=1
	s_or_saveexec_b64 s[46:47], s[38:39]
	v_mov_b32_e32 v1, 0
	v_mov_b32_e32 v12, 0
	s_xor_b64 exec, exec, s[46:47]
	s_cbranch_execz .LBB9_229
; %bb.228:                              ;   in Loop: Header=BB9_12 Depth=1
	v_add_u32_e32 v1, s64, v189
	v_mul_hi_u32 v12, s48, v1
	v_add_u32_e32 v12, v1, v12
	v_lshrrev_b32_e32 v12, s49, v12
	v_mul_lo_u32 v12, v12, s96
	v_readlane_b32 s38, v254, 52
	v_sub_u32_e32 v1, v1, v12
	v_readlane_b32 s39, v254, 53
	s_mov_b32 s58, s38
	v_mad_i64_i32 v[12:13], s[38:39], v1, s58, 0
	v_lshl_add_u64 v[12:13], v[12:13], 1, v[10:11]
	global_load_ushort v1, v[12:13], off
	v_add_u32_e32 v12, s64, v191
	v_mul_hi_u32 v13, s48, v12
	v_add_u32_e32 v13, v12, v13
	v_lshrrev_b32_e32 v13, s49, v13
	v_mul_lo_u32 v13, v13, s96
	v_sub_u32_e32 v12, v12, v13
	v_mad_i64_i32 v[12:13], s[38:39], v12, s58, 0
	v_lshl_add_u64 v[12:13], v[12:13], 1, v[10:11]
	global_load_ushort v12, v[12:13], off
	s_waitcnt vmcnt(1)
	ds_write_b16 v190, v1 offset:11264
	s_waitcnt vmcnt(0)
	ds_write_b16 v192, v12 offset:11264
	v_add_u32_e32 v1, s64, v193
	v_mul_hi_u32 v12, s48, v1
	v_add_u32_e32 v12, v1, v12
	v_lshrrev_b32_e32 v12, s49, v12
	v_mul_lo_u32 v12, v12, s96
	v_sub_u32_e32 v1, v1, v12
	v_mad_i64_i32 v[12:13], s[38:39], v1, s58, 0
	v_lshl_add_u64 v[12:13], v[12:13], 1, v[10:11]
	global_load_ushort v1, v[12:13], off
	v_add_u32_e32 v12, s64, v195
	v_mul_hi_u32 v13, s48, v12
	v_add_u32_e32 v13, v12, v13
	v_lshrrev_b32_e32 v13, s49, v13
	v_mul_lo_u32 v13, v13, s96
	v_sub_u32_e32 v12, v12, v13
	v_mad_i64_i32 v[12:13], s[38:39], v12, s58, 0
	v_lshl_add_u64 v[12:13], v[12:13], 1, v[10:11]
	global_load_ushort v12, v[12:13], off
.LBB9_229:                              ;   in Loop: Header=BB9_12 Depth=1
	s_or_b64 exec, exec, s[46:47]
	s_waitcnt vmcnt(1)
	ds_write_b16 v194, v1 offset:11264
	s_waitcnt vmcnt(0)
	ds_write_b16 v196, v12 offset:11264
	s_and_saveexec_b64 s[38:39], vcc
	s_xor_b64 s[38:39], exec, s[38:39]
	s_cbranch_execz .LBB9_231
; %bb.230:                              ;   in Loop: Header=BB9_12 Depth=1
	ds_write_b16 v198, v37 offset:11264
	ds_write_b16 v200, v37 offset:11264
.LBB9_231:                              ;   in Loop: Header=BB9_12 Depth=1
	s_or_saveexec_b64 s[46:47], s[38:39]
	v_mov_b32_e32 v1, 0
	v_mov_b32_e32 v12, 0
	s_xor_b64 exec, exec, s[46:47]
	s_cbranch_execz .LBB9_233
; %bb.232:                              ;   in Loop: Header=BB9_12 Depth=1
	v_add_u32_e32 v1, s64, v197
	v_mul_hi_u32 v12, s48, v1
	v_add_u32_e32 v12, v1, v12
	v_lshrrev_b32_e32 v12, s49, v12
	v_mul_lo_u32 v12, v12, s96
	v_readlane_b32 s38, v254, 52
	v_sub_u32_e32 v1, v1, v12
	v_readlane_b32 s39, v254, 53
	s_mov_b32 s58, s38
	v_mad_i64_i32 v[12:13], s[38:39], v1, s58, 0
	v_lshl_add_u64 v[12:13], v[12:13], 1, v[10:11]
	global_load_ushort v1, v[12:13], off
	v_add_u32_e32 v12, s64, v199
	v_mul_hi_u32 v13, s48, v12
	v_add_u32_e32 v13, v12, v13
	v_lshrrev_b32_e32 v13, s49, v13
	v_mul_lo_u32 v13, v13, s96
	v_sub_u32_e32 v12, v12, v13
	v_mad_i64_i32 v[12:13], s[38:39], v12, s58, 0
	v_lshl_add_u64 v[12:13], v[12:13], 1, v[10:11]
	global_load_ushort v12, v[12:13], off
	s_waitcnt vmcnt(1)
	ds_write_b16 v198, v1 offset:11264
	s_waitcnt vmcnt(0)
	ds_write_b16 v200, v12 offset:11264
	v_add_u32_e32 v1, s64, v201
	v_mul_hi_u32 v12, s48, v1
	v_add_u32_e32 v12, v1, v12
	v_lshrrev_b32_e32 v12, s49, v12
	v_mul_lo_u32 v12, v12, s96
	v_sub_u32_e32 v1, v1, v12
	v_mad_i64_i32 v[12:13], s[38:39], v1, s58, 0
	v_lshl_add_u64 v[12:13], v[12:13], 1, v[10:11]
	global_load_ushort v1, v[12:13], off
	v_add_u32_e32 v12, s64, v203
	v_mul_hi_u32 v13, s48, v12
	v_add_u32_e32 v13, v12, v13
	v_lshrrev_b32_e32 v13, s49, v13
	v_mul_lo_u32 v13, v13, s96
	v_sub_u32_e32 v12, v12, v13
	v_mad_i64_i32 v[12:13], s[38:39], v12, s58, 0
	v_lshl_add_u64 v[12:13], v[12:13], 1, v[10:11]
	global_load_ushort v12, v[12:13], off
.LBB9_233:                              ;   in Loop: Header=BB9_12 Depth=1
	s_or_b64 exec, exec, s[46:47]
	s_waitcnt vmcnt(1)
	ds_write_b16 v202, v1 offset:11264
	s_waitcnt vmcnt(0)
	ds_write_b16 v204, v12 offset:11264
	s_and_saveexec_b64 s[38:39], vcc
	s_xor_b64 s[38:39], exec, s[38:39]
	s_cbranch_execz .LBB9_235
; %bb.234:                              ;   in Loop: Header=BB9_12 Depth=1
	ds_write_b16 v206, v37 offset:11264
	ds_write_b16 v208, v37 offset:11264
                                        ; implicit-def: $vgpr10_vgpr11
.LBB9_235:                              ;   in Loop: Header=BB9_12 Depth=1
	s_or_saveexec_b64 s[46:47], s[38:39]
	v_mov_b32_e32 v1, 0
	v_mov_b32_e32 v12, 0
	s_xor_b64 exec, exec, s[46:47]
	s_cbranch_execz .LBB9_237
; %bb.236:                              ;   in Loop: Header=BB9_12 Depth=1
	v_add_u32_e32 v1, s64, v205
	v_mul_hi_u32 v12, s48, v1
	v_add_u32_e32 v12, v1, v12
	v_lshrrev_b32_e32 v12, s49, v12
	v_mul_lo_u32 v12, v12, s96
	v_readlane_b32 s38, v254, 52
	v_sub_u32_e32 v1, v1, v12
	v_readlane_b32 s39, v254, 53
	s_mov_b32 s58, s38
	v_mad_i64_i32 v[12:13], s[38:39], v1, s58, 0
	v_lshl_add_u64 v[12:13], v[12:13], 1, v[10:11]
	global_load_ushort v1, v[12:13], off
	v_add_u32_e32 v12, s64, v207
	v_mul_hi_u32 v13, s48, v12
	v_add_u32_e32 v13, v12, v13
	v_lshrrev_b32_e32 v13, s49, v13
	v_mul_lo_u32 v13, v13, s96
	v_sub_u32_e32 v12, v12, v13
	v_mad_i64_i32 v[12:13], s[38:39], v12, s58, 0
	v_lshl_add_u64 v[12:13], v[12:13], 1, v[10:11]
	global_load_ushort v12, v[12:13], off
	s_waitcnt vmcnt(1)
	ds_write_b16 v206, v1 offset:11264
	s_waitcnt vmcnt(0)
	ds_write_b16 v208, v12 offset:11264
	v_add_u32_e32 v1, s64, v209
	v_mul_hi_u32 v12, s48, v1
	v_add_u32_e32 v12, v1, v12
	v_lshrrev_b32_e32 v12, s49, v12
	v_mul_lo_u32 v12, v12, s96
	v_sub_u32_e32 v1, v1, v12
	v_mad_i64_i32 v[12:13], s[38:39], v1, s58, 0
	v_lshl_add_u64 v[12:13], v[12:13], 1, v[10:11]
	global_load_ushort v1, v[12:13], off
	v_add_u32_e32 v12, s64, v211
	v_mul_hi_u32 v13, s48, v12
	v_add_u32_e32 v13, v12, v13
	v_lshrrev_b32_e32 v13, s49, v13
	v_mul_lo_u32 v13, v13, s96
	v_sub_u32_e32 v12, v12, v13
	v_mad_i64_i32 v[12:13], s[38:39], v12, s58, 0
	v_lshl_add_u64 v[10:11], v[12:13], 1, v[10:11]
	global_load_ushort v12, v[10:11], off
.LBB9_237:                              ;   in Loop: Header=BB9_12 Depth=1
	s_or_b64 exec, exec, s[46:47]
	s_waitcnt vmcnt(1)
	ds_write_b16 v210, v1 offset:11264
	s_waitcnt vmcnt(0)
	ds_write_b16 v212, v12 offset:11264
.LBB9_238:                              ;   in Loop: Header=BB9_12 Depth=1
	s_mul_i32 s38, s54, s99
	s_mul_hi_u32 s39, s54, s98
	s_add_i32 s39, s39, s38
	s_mul_i32 s38, s54, s98
	s_lshl_b64 s[38:39], s[38:39], 2
	s_add_u32 s46, s52, s38
	s_addc_u32 s47, s50, s39
	scratch_store_dwordx4 off, v[174:177], off
	s_and_saveexec_b64 s[58:59], s[4:5]
	s_cbranch_execz .LBB9_240
; %bb.239:                              ;   in Loop: Header=BB9_12 Depth=1
	v_lshl_add_u64 v[10:11], v[46:47], 2, s[46:47]
	v_lshlrev_b32_e32 v36, 2, v48
	v_lshl_add_u64 v[10:11], v[10:11], 0, v[36:37]
	v_lshl_add_u64 v[10:11], v[10:11], 0, s[56:57]
	v_mov_b32_e32 v1, s43
	v_cmp_gt_i32_e32 vcc, s40, v132
	s_nop 1
	v_cndmask_b32_e32 v11, v1, v11, vcc
	v_cndmask_b32_e32 v10, v233, v10, vcc
	flat_load_dwordx4 v[10:13], v[10:11]
	s_waitcnt vmcnt(0) lgkmcnt(0)
	ds_write_b128 v139, v[10:13]
.LBB9_240:                              ;   in Loop: Header=BB9_12 Depth=1
	s_or_b64 exec, exec, s[58:59]
	v_lshl_add_u64 v[10:11], v[42:43], 2, s[46:47]
	v_lshlrev_b32_e32 v36, 2, v40
	v_lshl_add_u64 v[10:11], v[10:11], 0, v[36:37]
	v_mov_b32_e32 v1, s43
	v_cmp_gt_i32_e64 s[60:61], s40, v41
	v_lshl_add_u64 v[14:15], v[44:45], 2, s[46:47]
	v_lshl_add_u64 v[14:15], v[14:15], 0, v[36:37]
	v_cndmask_b32_e64 v11, v1, v11, s[60:61]
	v_cndmask_b32_e64 v10, v233, v10, s[60:61]
	flat_load_dwordx4 v[10:13], v[10:11]
	v_cmp_gt_i32_e64 s[58:59], s40, v135
	v_add_u32_e32 v26, 0x1000, v138
	v_add_u32_e32 v74, 0x2000, v138
	v_cndmask_b32_e64 v15, v1, v15, s[58:59]
	v_cndmask_b32_e64 v14, v233, v14, s[58:59]
	v_add_u32_e32 v1, 0x800, v138
	s_andn2_b64 vcc, exec, s[62:63]
	s_waitcnt vmcnt(0) lgkmcnt(0)
	ds_write_b128 v134, v[10:13]
	flat_load_dwordx4 v[10:13], v[14:15]
	s_waitcnt vmcnt(0) lgkmcnt(0)
	ds_write_b128 v137, v[10:13]
	s_waitcnt lgkmcnt(0)
	s_barrier
	ds_read2_b64 v[10:13], v138 offset1:4
	ds_read2_b64 v[18:21], v1 offset0:96 offset1:100
	ds_read2_b64 v[78:81], v26 offset0:192 offset1:196
	;; [unrolled: 1-line block ×3, first 2 shown]
	s_waitcnt lgkmcnt(3)
	v_mfma_f32_16x16x16_f16 v[14:17], v[10:11], v[6:7], 0
	s_waitcnt lgkmcnt(2)
	v_mfma_f32_16x16x16_f16 v[22:25], v[18:19], v[6:7], 0
	;; [unrolled: 2-line block ×4, first 2 shown]
	v_mfma_f32_16x16x16_f16 v[10:13], v[12:13], v[8:9], v[14:17]
	v_mfma_f32_16x16x16_f16 v[14:17], v[20:21], v[8:9], v[22:25]
	;; [unrolled: 1-line block ×3, first 2 shown]
	s_nop 1
	ds_read2_b64 v[22:25], v138 offset0:8 offset1:12
	ds_read2_b64 v[78:81], v1 offset0:104 offset1:108
	v_mfma_f32_16x16x16_f16 v[6:9], v[88:89], v[8:9], v[90:93]
	ds_read2_b64 v[82:85], v26 offset0:200 offset1:204
	ds_read2_b64 v[86:89], v74 offset0:40 offset1:44
	s_waitcnt lgkmcnt(3)
	v_mfma_f32_16x16x16_f16 v[10:13], v[22:23], v[2:3], v[10:13]
	s_waitcnt lgkmcnt(2)
	v_mfma_f32_16x16x16_f16 v[14:17], v[78:79], v[2:3], v[14:17]
	;; [unrolled: 2-line block ×4, first 2 shown]
	ds_read_b64 v[2:3], v138 offset:128
	v_mfma_f32_16x16x16_f16 v[10:13], v[24:25], v[4:5], v[10:13]
	v_mfma_f32_16x16x16_f16 v[22:25], v[88:89], v[4:5], v[6:9]
	s_nop 4
	ds_read_b64 v[6:7], v138 offset:2944
	ds_read_b64 v[74:75], v138 offset:5760
	;; [unrolled: 1-line block ×3, first 2 shown]
	s_waitcnt lgkmcnt(0)
	s_barrier
	v_mfma_f32_16x16x16_f16 v[14:17], v[80:81], v[4:5], v[14:17]
	v_mfma_f32_16x16x16_f16 v[18:21], v[84:85], v[4:5], v[18:21]
	;; [unrolled: 1-line block ×6, first 2 shown]
	s_cbranch_vccnz .LBB9_242
; %bb.241:                              ;   in Loop: Header=BB9_12 Depth=1
	ds_read_b32 v1, v141 offset:11264
	s_waitcnt lgkmcnt(0)
	s_nop 0
	v_cvt_f32_f16_sdwa v19, v1 dst_sel:DWORD dst_unused:UNUSED_PAD src0_sel:WORD_1
	v_cvt_f32_f16_e32 v18, v1
	ds_read_b32 v1, v142 offset:11264
	v_pk_fma_f32 v[2:3], v[72:73], v[18:19], v[2:3] op_sel_hi:[0,1,1]
	s_waitcnt lgkmcnt(0)
	v_cvt_f32_f16_sdwa v21, v1 dst_sel:DWORD dst_unused:UNUSED_PAD src0_sel:WORD_1
	v_cvt_f32_f16_e32 v20, v1
	v_add_u32_e32 v1, 0x2c00, v144
	ds_read2_b32 v[18:19], v1 offset1:1
	v_add_u32_e32 v1, 0x2c00, v146
	v_pk_fma_f32 v[4:5], v[72:73], v[20:21], v[4:5] op_sel_hi:[0,1,1]
	s_waitcnt lgkmcnt(0)
	v_cvt_f32_f16_e32 v20, v18
	v_cvt_f32_f16_sdwa v21, v18 dst_sel:DWORD dst_unused:UNUSED_PAD src0_sel:WORD_1
	v_cvt_f32_f16_e32 v18, v19
	v_cvt_f32_f16_sdwa v19, v19 dst_sel:DWORD dst_unused:UNUSED_PAD src0_sel:WORD_1
	v_pk_fma_f32 v[6:7], v[72:73], v[20:21], v[6:7] op_sel_hi:[0,1,1]
	v_pk_fma_f32 v[8:9], v[72:73], v[18:19], v[8:9] op_sel_hi:[0,1,1]
	ds_read2_b32 v[18:19], v1 offset1:1
	v_add_u32_e32 v1, 0x2c00, v148
	s_waitcnt lgkmcnt(0)
	v_cvt_f32_f16_e32 v20, v18
	v_cvt_f32_f16_sdwa v21, v18 dst_sel:DWORD dst_unused:UNUSED_PAD src0_sel:WORD_1
	v_cvt_f32_f16_e32 v18, v19
	v_cvt_f32_f16_sdwa v19, v19 dst_sel:DWORD dst_unused:UNUSED_PAD src0_sel:WORD_1
	v_pk_fma_f32 v[10:11], v[72:73], v[20:21], v[10:11] op_sel_hi:[0,1,1]
	v_pk_fma_f32 v[12:13], v[72:73], v[18:19], v[12:13] op_sel_hi:[0,1,1]
	ds_read2_b32 v[18:19], v1 offset1:1
	s_waitcnt lgkmcnt(0)
	v_cvt_f32_f16_e32 v20, v18
	v_cvt_f32_f16_sdwa v21, v18 dst_sel:DWORD dst_unused:UNUSED_PAD src0_sel:WORD_1
	v_cvt_f32_f16_e32 v18, v19
	v_cvt_f32_f16_sdwa v19, v19 dst_sel:DWORD dst_unused:UNUSED_PAD src0_sel:WORD_1
	v_pk_fma_f32 v[14:15], v[72:73], v[20:21], v[14:15] op_sel_hi:[0,1,1]
	v_pk_fma_f32 v[16:17], v[72:73], v[18:19], v[16:17] op_sel_hi:[0,1,1]
.LBB9_242:                              ;   in Loop: Header=BB9_12 Depth=1
	s_nop 3
	v_add_f32_e32 v1, 0x40051340, v2
	v_max_f32_e32 v18, v73, v73
	v_max_f32_e32 v1, v18, v1
	v_cmp_gt_u32_e64 s[90:91], s40, v140
	v_add_f32_e32 v18, 0x40051340, v3
	v_cmp_gt_u32_e64 s[88:89], s40, v217
	v_cndmask_b32_e64 v1, v73, v1, s[90:91]
	v_max_f32_e32 v19, v1, v1
	v_max_f32_e32 v18, v19, v18
	v_cndmask_b32_e64 v1, v1, v18, s[88:89]
	v_add_f32_e32 v18, 0x40051340, v4
	v_max_f32_e32 v19, v1, v1
	v_max_f32_e32 v18, v19, v18
	v_cmp_gt_u32_e64 s[86:87], s40, v218
	v_cmp_gt_u32_e32 vcc, s40, v158
	v_cmp_gt_u32_e64 s[84:85], s40, v143
	v_cndmask_b32_e64 v1, v1, v18, s[86:87]
	v_add_f32_e32 v18, 0x40051340, v5
	v_max_f32_e32 v19, v1, v1
	v_max_f32_e32 v18, v19, v18
	v_cndmask_b32_e32 v1, v1, v18, vcc
	v_add_f32_e32 v18, 0x40051340, v6
	v_max_f32_e32 v19, v1, v1
	v_max_f32_e32 v18, v19, v18
	v_cndmask_b32_e64 v1, v1, v18, s[84:85]
	v_add_f32_e32 v18, 0x40051340, v7
	v_max_f32_e32 v19, v1, v1
	v_max_f32_e32 v18, v19, v18
	v_cmp_gt_u32_e64 s[82:83], s40, v219
	v_cmp_gt_u32_e64 s[80:81], s40, v214
	v_cmp_gt_u32_e64 s[62:63], s40, v220
	v_cndmask_b32_e64 v1, v1, v18, s[82:83]
	v_add_f32_e32 v18, 0x40051340, v8
	v_max_f32_e32 v19, v1, v1
	v_max_f32_e32 v18, v19, v18
	v_cndmask_b32_e64 v1, v1, v18, s[80:81]
	v_add_f32_e32 v18, 0x40051340, v9
	v_max_f32_e32 v19, v1, v1
	v_max_f32_e32 v18, v19, v18
	v_cndmask_b32_e64 v1, v1, v18, s[62:63]
	v_add_f32_e32 v18, 0x40051340, v10
	v_max_f32_e32 v19, v1, v1
	v_max_f32_e32 v18, v19, v18
	v_cmp_gt_u32_e64 s[78:79], s40, v145
	v_cmp_gt_u32_e64 s[76:77], s40, v221
	v_cmp_gt_u32_e64 s[74:75], s40, v215
	v_cndmask_b32_e64 v1, v1, v18, s[78:79]
	v_add_f32_e32 v18, 0x40051340, v11
	v_max_f32_e32 v19, v1, v1
	v_max_f32_e32 v18, v19, v18
	v_cndmask_b32_e64 v1, v1, v18, s[76:77]
	;; [unrolled: 15-line block ×3, first 2 shown]
	v_add_f32_e32 v18, 0x40051340, v15
	v_max_f32_e32 v19, v1, v1
	v_max_f32_e32 v18, v19, v18
	v_cndmask_b32_e64 v1, v1, v18, s[70:71]
	v_add_f32_e32 v18, 0x40051340, v16
	v_max_f32_e32 v19, v1, v1
	v_max_f32_e32 v18, v19, v18
	v_cmp_gt_u32_e64 s[68:69], s40, v216
	v_cmp_gt_u32_e64 s[66:67], s40, v224
	s_mul_i32 s38, s54, s3
	v_cndmask_b32_e64 v1, v1, v18, s[68:69]
	v_add_f32_e32 v18, 0x40051340, v17
	v_max_f32_e32 v19, v1, v1
	v_max_f32_e32 v18, v19, v18
	v_cndmask_b32_e64 v1, v1, v18, s[66:67]
	v_and_b32_e32 v18, 64, v232
	v_add_u32_e32 v18, 64, v18
	v_xor_b32_e32 v19, 32, v232
	v_cmp_lt_i32_e64 s[94:95], v19, v18
	s_mul_hi_u32 s39, s54, s2
	s_add_i32 s39, s39, s38
	v_cndmask_b32_e64 v19, v232, v19, s[94:95]
	v_lshlrev_b32_e32 v26, 2, v19
	ds_bpermute_b32 v19, v26, v1
	v_max_f32_e32 v1, v1, v1
	s_mul_i32 s38, s54, s2
	s_lshl_b64 s[38:39], s[38:39], 2
	s_add_u32 s46, s51, s38
	s_waitcnt lgkmcnt(0)
	v_max_f32_e32 v19, v19, v19
	v_max_f32_e32 v1, v1, v19
	v_xor_b32_e32 v19, 16, v232
	v_cmp_lt_i32_e64 s[94:95], v19, v18
	v_readlane_b32 s38, v255, 24
	s_addc_u32 s47, s38, s39
	v_cndmask_b32_e64 v18, v232, v19, s[94:95]
	v_lshlrev_b32_e32 v23, 2, v18
	ds_bpermute_b32 v18, v23, v1
	scratch_store_dwordx4 off, v[174:177], off
	s_and_saveexec_b64 s[38:39], s[4:5]
	s_cbranch_execz .LBB9_244
; %bb.243:                              ;   in Loop: Header=BB9_12 Depth=1
	v_lshl_add_u64 v[20:21], v[50:51], 2, s[46:47]
	v_lshlrev_b32_e32 v24, 2, v48
	v_mov_b32_e32 v25, v37
	v_lshl_add_u64 v[20:21], v[20:21], 0, v[24:25]
	v_lshl_add_u64 v[20:21], v[20:21], 0, s[56:57]
	v_mov_b32_e32 v19, s43
	v_cmp_gt_i32_e64 s[94:95], s40, v132
	s_nop 1
	v_cndmask_b32_e64 v21, v19, v21, s[94:95]
	v_cndmask_b32_e64 v20, v233, v20, s[94:95]
	flat_load_dwordx4 v[74:77], v[20:21]
	s_waitcnt vmcnt(0) lgkmcnt(0)
	ds_write_b128 v139, v[74:77]
.LBB9_244:                              ;   in Loop: Header=BB9_12 Depth=1
	s_or_b64 exec, exec, s[38:39]
	s_waitcnt lgkmcnt(0)
	v_max_f32_e32 v18, v18, v18
	v_max_f32_e32 v1, v1, v1
	;; [unrolled: 1-line block ×3, first 2 shown]
	v_sub_f32_e32 v1, v2, v22
	v_mul_f32_e32 v2, 0x3fb8aa3b, v1
	v_fma_f32 v18, v1, s42, -v2
	v_rndne_f32_e32 v19, v2
	v_fmac_f32_e32 v18, 0x32a5705f, v1
	v_sub_f32_e32 v2, v2, v19
	v_add_f32_e32 v2, v2, v18
	v_exp_f32_e32 v2, v2
	v_cvt_i32_f32_e32 v18, v19
	v_cmp_ngt_f32_e64 s[94:95], s53, v1
	v_sub_f32_e32 v4, v4, v22
	v_sub_f32_e32 v5, v5, v22
	v_ldexp_f32 v2, v2, v18
	v_cndmask_b32_e64 v2, 0, v2, s[94:95]
	v_cmp_nlt_f32_e64 s[94:95], s97, v1
	v_readlane_b32 s38, v255, 29
	v_readlane_b32 s39, v255, 30
	v_cndmask_b32_e64 v1, v230, v2, s[94:95]
	v_cndmask_b32_e64 v2, 0, v1, s[90:91]
	v_sub_f32_e32 v1, v3, v22
	v_mul_f32_e32 v3, 0x3fb8aa3b, v1
	v_fma_f32 v18, v1, s42, -v3
	v_rndne_f32_e32 v19, v3
	v_fmac_f32_e32 v18, 0x32a5705f, v1
	v_sub_f32_e32 v3, v3, v19
	v_add_f32_e32 v3, v3, v18
	v_exp_f32_e32 v3, v3
	v_cvt_i32_f32_e32 v18, v19
	v_cmp_ngt_f32_e64 s[90:91], s53, v1
	s_cmp_eq_u64 s[38:39], 0
	v_readlane_b32 s54, v255, 0
	v_ldexp_f32 v3, v3, v18
	v_cndmask_b32_e64 v3, 0, v3, s[90:91]
	v_cmp_nlt_f32_e64 s[90:91], s97, v1
	v_mov_b32_e32 v1, s55
	s_nop 0
	v_cndmask_b32_e64 v3, v230, v3, s[90:91]
	v_add_f32_e32 v18, v3, v2
	v_cndmask_b32_e64 v1, v1, v3, s[88:89]
	v_cndmask_b32_e64 v3, v2, v18, s[88:89]
	v_mul_f32_e32 v18, 0x3fb8aa3b, v4
	v_fma_f32 v19, v4, s42, -v18
	v_rndne_f32_e32 v20, v18
	v_fmac_f32_e32 v19, 0x32a5705f, v4
	v_sub_f32_e32 v18, v18, v20
	v_add_f32_e32 v18, v18, v19
	v_exp_f32_e32 v18, v18
	v_cvt_i32_f32_e32 v19, v20
	v_cmp_ngt_f32_e64 s[88:89], s53, v4
	v_ldexp_f32 v18, v18, v19
	s_nop 0
	v_cndmask_b32_e64 v18, 0, v18, s[88:89]
	v_cmp_nlt_f32_e64 s[88:89], s97, v4
	v_mov_b32_e32 v4, s55
	s_nop 0
	v_cndmask_b32_e64 v18, v230, v18, s[88:89]
	v_add_f32_e32 v19, v3, v18
	v_cndmask_b32_e64 v4, v4, v18, s[86:87]
	v_mul_f32_e32 v18, 0x3fb8aa3b, v5
	v_cndmask_b32_e64 v3, v3, v19, s[86:87]
	v_fma_f32 v19, v5, s42, -v18
	v_rndne_f32_e32 v20, v18
	v_fmac_f32_e32 v19, 0x32a5705f, v5
	v_sub_f32_e32 v18, v18, v20
	v_add_f32_e32 v18, v18, v19
	v_exp_f32_e32 v18, v18
	v_cvt_i32_f32_e32 v19, v20
	v_cmp_ngt_f32_e64 s[86:87], s53, v5
	v_ldexp_f32 v18, v18, v19
	s_nop 0
	v_cndmask_b32_e64 v18, 0, v18, s[86:87]
	v_cmp_nlt_f32_e64 s[86:87], s97, v5
	s_nop 1
	v_cndmask_b32_e64 v18, v230, v18, s[86:87]
	v_add_f32_e32 v5, v3, v18
	v_cndmask_b32_e32 v3, v3, v5, vcc
	v_sub_f32_e32 v5, v6, v22
	v_mul_f32_e32 v6, 0x3fb8aa3b, v5
	v_fma_f32 v19, v5, s42, -v6
	v_rndne_f32_e32 v20, v6
	v_fmac_f32_e32 v19, 0x32a5705f, v5
	v_sub_f32_e32 v6, v6, v20
	v_add_f32_e32 v6, v6, v19
	v_exp_f32_e32 v6, v6
	v_cvt_i32_f32_e32 v19, v20
	v_cmp_ngt_f32_e64 s[86:87], s53, v5
	v_ldexp_f32 v6, v6, v19
	s_nop 0
	v_cndmask_b32_e64 v6, 0, v6, s[86:87]
	v_cmp_nlt_f32_e64 s[86:87], s97, v5
	s_nop 1
	v_cndmask_b32_e64 v5, v230, v6, s[86:87]
	v_add_f32_e32 v19, v5, v3
	v_mov_b32_e32 v6, s55
	v_cndmask_b32_e64 v6, v6, v5, s[84:85]
	v_cndmask_b32_e64 v5, v3, v19, s[84:85]
	v_sub_f32_e32 v3, v7, v22
	v_mul_f32_e32 v7, 0x3fb8aa3b, v3
	v_fma_f32 v19, v3, s42, -v7
	v_rndne_f32_e32 v20, v7
	v_fmac_f32_e32 v19, 0x32a5705f, v3
	v_sub_f32_e32 v7, v7, v20
	v_add_f32_e32 v7, v7, v19
	v_exp_f32_e32 v7, v7
	v_cvt_i32_f32_e32 v19, v20
	v_cmp_ngt_f32_e64 s[84:85], s53, v3
	v_ldexp_f32 v7, v7, v19
	s_nop 0
	v_cndmask_b32_e64 v7, 0, v7, s[84:85]
	v_cmp_nlt_f32_e64 s[84:85], s97, v3
	v_mov_b32_e32 v3, s55
	s_nop 0
	v_cndmask_b32_e64 v7, v230, v7, s[84:85]
	v_add_f32_e32 v19, v7, v5
	v_cndmask_b32_e64 v3, v3, v7, s[82:83]
	v_sub_f32_e32 v7, v8, v22
	v_mul_f32_e32 v8, 0x3fb8aa3b, v7
	v_cndmask_b32_e64 v5, v5, v19, s[82:83]
	v_fma_f32 v19, v7, s42, -v8
	v_rndne_f32_e32 v20, v8
	v_fmac_f32_e32 v19, 0x32a5705f, v7
	v_sub_f32_e32 v8, v8, v20
	v_add_f32_e32 v8, v8, v19
	v_exp_f32_e32 v8, v8
	v_cvt_i32_f32_e32 v19, v20
	v_cmp_ngt_f32_e64 s[82:83], s53, v7
	s_mov_b32 s84, 0xc1a00000
	v_ldexp_f32 v8, v8, v19
	v_cndmask_b32_e64 v8, 0, v8, s[82:83]
	v_cmp_nlt_f32_e64 s[82:83], s97, v7
	s_nop 1
	v_cndmask_b32_e64 v7, v230, v8, s[82:83]
	v_mov_b32_e32 v8, s55
	v_add_f32_e32 v19, v7, v5
	v_cndmask_b32_e64 v8, v8, v7, s[80:81]
	v_sub_f32_e32 v7, v9, v22
	v_mul_f32_e32 v9, 0x3fb8aa3b, v7
	v_cndmask_b32_e64 v5, v5, v19, s[80:81]
	v_fma_f32 v19, v7, s42, -v9
	v_rndne_f32_e32 v20, v9
	v_fmac_f32_e32 v19, 0x32a5705f, v7
	v_sub_f32_e32 v9, v9, v20
	v_add_f32_e32 v9, v9, v19
	v_exp_f32_e32 v9, v9
	v_cvt_i32_f32_e32 v19, v20
	v_cmp_ngt_f32_e64 s[80:81], s53, v7
	v_ldexp_f32 v9, v9, v19
	s_nop 0
	v_cndmask_b32_e64 v9, 0, v9, s[80:81]
	v_cmp_nlt_f32_e64 s[80:81], s97, v7
	s_nop 1
	v_cndmask_b32_e64 v20, v230, v9, s[80:81]
	v_add_f32_e32 v7, v20, v5
	v_cndmask_b32_e64 v5, v5, v7, s[62:63]
	v_sub_f32_e32 v7, v10, v22
	v_mul_f32_e32 v9, 0x3fb8aa3b, v7
	v_fma_f32 v10, v7, s42, -v9
	v_rndne_f32_e32 v19, v9
	v_fmac_f32_e32 v10, 0x32a5705f, v7
	v_sub_f32_e32 v9, v9, v19
	v_add_f32_e32 v9, v9, v10
	v_exp_f32_e32 v9, v9
	v_cvt_i32_f32_e32 v10, v19
	v_cmp_ngt_f32_e64 s[80:81], s53, v7
	v_ldexp_f32 v9, v9, v10
	s_nop 0
	v_cndmask_b32_e64 v9, 0, v9, s[80:81]
	v_cmp_nlt_f32_e64 s[80:81], s97, v7
	v_mov_b32_e32 v10, s55
	s_nop 0
	v_cndmask_b32_e64 v7, v230, v9, s[80:81]
	v_add_f32_e32 v9, v7, v5
	v_cndmask_b32_e64 v10, v10, v7, s[78:79]
	v_cndmask_b32_e64 v7, v5, v9, s[78:79]
	v_sub_f32_e32 v5, v11, v22
	v_mul_f32_e32 v9, 0x3fb8aa3b, v5
	v_fma_f32 v11, v5, s42, -v9
	v_rndne_f32_e32 v19, v9
	v_fmac_f32_e32 v11, 0x32a5705f, v5
	v_sub_f32_e32 v9, v9, v19
	v_add_f32_e32 v9, v9, v11
	v_exp_f32_e32 v9, v9
	v_cvt_i32_f32_e32 v11, v19
	v_cmp_ngt_f32_e64 s[78:79], s53, v5
	v_ldexp_f32 v9, v9, v11
	s_nop 0
	v_cndmask_b32_e64 v9, 0, v9, s[78:79]
	v_cmp_nlt_f32_e64 s[78:79], s97, v5
	v_mov_b32_e32 v5, s55
	s_nop 0
	v_cndmask_b32_e64 v9, v230, v9, s[78:79]
	v_add_f32_e32 v11, v9, v7
	v_cndmask_b32_e64 v5, v5, v9, s[76:77]
	v_sub_f32_e32 v9, v12, v22
	v_cndmask_b32_e64 v7, v7, v11, s[76:77]
	v_mul_f32_e32 v11, 0x3fb8aa3b, v9
	v_fma_f32 v12, v9, s42, -v11
	v_rndne_f32_e32 v19, v11
	v_fmac_f32_e32 v12, 0x32a5705f, v9
	v_sub_f32_e32 v11, v11, v19
	v_add_f32_e32 v11, v11, v12
	v_exp_f32_e32 v11, v11
	v_cvt_i32_f32_e32 v12, v19
	v_cmp_ngt_f32_e64 s[76:77], s53, v9
	v_ldexp_f32 v11, v11, v12
	s_nop 0
	v_cndmask_b32_e64 v11, 0, v11, s[76:77]
	v_cmp_nlt_f32_e64 s[76:77], s97, v9
	v_mov_b32_e32 v12, s55
	s_nop 0
	v_cndmask_b32_e64 v9, v230, v11, s[76:77]
	v_add_f32_e32 v11, v9, v7
	v_cndmask_b32_e64 v12, v12, v9, s[74:75]
	v_sub_f32_e32 v9, v13, v22
	v_cndmask_b32_e64 v7, v7, v11, s[74:75]
	v_mul_f32_e32 v11, 0x3fb8aa3b, v9
	v_fma_f32 v13, v9, s42, -v11
	v_rndne_f32_e32 v19, v11
	v_fmac_f32_e32 v13, 0x32a5705f, v9
	v_sub_f32_e32 v11, v11, v19
	v_add_f32_e32 v11, v11, v13
	v_exp_f32_e32 v11, v11
	v_cvt_i32_f32_e32 v13, v19
	v_cmp_ngt_f32_e64 s[74:75], s53, v9
	v_ldexp_f32 v11, v11, v13
	s_nop 0
	v_cndmask_b32_e64 v11, 0, v11, s[74:75]
	v_cmp_nlt_f32_e64 s[74:75], s97, v9
	s_nop 1
	v_cndmask_b32_e64 v21, v230, v11, s[74:75]
	v_add_f32_e32 v9, v21, v7
	v_cndmask_b32_e64 v7, v7, v9, s[64:65]
	v_sub_f32_e32 v9, v14, v22
	v_mul_f32_e32 v11, 0x3fb8aa3b, v9
	v_fma_f32 v13, v9, s42, -v11
	v_rndne_f32_e32 v14, v11
	v_fmac_f32_e32 v13, 0x32a5705f, v9
	v_sub_f32_e32 v11, v11, v14
	v_add_f32_e32 v11, v11, v13
	v_exp_f32_e32 v11, v11
	v_cvt_i32_f32_e32 v13, v14
	v_cmp_ngt_f32_e64 s[74:75], s53, v9
	v_mov_b32_e32 v14, s55
	v_ldexp_f32 v11, v11, v13
	v_cndmask_b32_e64 v11, 0, v11, s[74:75]
	v_cmp_nlt_f32_e64 s[74:75], s97, v9
	s_nop 1
	v_cndmask_b32_e64 v9, v230, v11, s[74:75]
	v_add_f32_e32 v11, v9, v7
	v_cndmask_b32_e64 v14, v14, v9, s[72:73]
	v_cndmask_b32_e64 v9, v7, v11, s[72:73]
	v_sub_f32_e32 v7, v15, v22
	v_mul_f32_e32 v11, 0x3fb8aa3b, v7
	v_fma_f32 v13, v7, s42, -v11
	v_rndne_f32_e32 v15, v11
	v_fmac_f32_e32 v13, 0x32a5705f, v7
	v_sub_f32_e32 v11, v11, v15
	v_add_f32_e32 v11, v11, v13
	v_exp_f32_e32 v11, v11
	v_cvt_i32_f32_e32 v13, v15
	v_cmp_ngt_f32_e64 s[72:73], s53, v7
	v_ldexp_f32 v11, v11, v13
	s_nop 0
	v_cndmask_b32_e64 v11, 0, v11, s[72:73]
	v_cmp_nlt_f32_e64 s[72:73], s97, v7
	v_mov_b32_e32 v7, s55
	s_nop 0
	v_cndmask_b32_e64 v11, v230, v11, s[72:73]
	v_add_f32_e32 v13, v11, v9
	v_cndmask_b32_e64 v7, v7, v11, s[70:71]
	v_sub_f32_e32 v11, v16, v22
	v_cndmask_b32_e64 v9, v9, v13, s[70:71]
	v_mul_f32_e32 v13, 0x3fb8aa3b, v11
	v_fma_f32 v15, v11, s42, -v13
	v_rndne_f32_e32 v16, v13
	v_fmac_f32_e32 v15, 0x32a5705f, v11
	v_sub_f32_e32 v13, v13, v16
	v_add_f32_e32 v13, v13, v15
	v_exp_f32_e32 v13, v13
	v_cvt_i32_f32_e32 v15, v16
	v_cmp_ngt_f32_e64 s[70:71], s53, v11
	v_mov_b32_e32 v16, s55
	v_ldexp_f32 v13, v13, v15
	v_cndmask_b32_e64 v13, 0, v13, s[70:71]
	v_cmp_nlt_f32_e64 s[70:71], s97, v11
	s_nop 1
	v_cndmask_b32_e64 v11, v230, v13, s[70:71]
	v_add_f32_e32 v13, v11, v9
	v_cndmask_b32_e64 v16, v16, v11, s[68:69]
	v_sub_f32_e32 v11, v17, v22
	v_cndmask_b32_e64 v9, v9, v13, s[68:69]
	v_mul_f32_e32 v13, 0x3fb8aa3b, v11
	v_fma_f32 v15, v11, s42, -v13
	v_rndne_f32_e32 v17, v13
	v_fmac_f32_e32 v15, 0x32a5705f, v11
	v_sub_f32_e32 v13, v13, v17
	v_add_f32_e32 v13, v13, v15
	v_exp_f32_e32 v13, v13
	v_cvt_i32_f32_e32 v15, v17
	v_cmp_ngt_f32_e64 s[68:69], s53, v11
	v_ldexp_f32 v13, v13, v15
	s_nop 0
	v_cndmask_b32_e64 v13, 0, v13, s[68:69]
	v_cmp_nlt_f32_e64 s[68:69], s97, v11
	s_nop 1
	v_cndmask_b32_e64 v19, v230, v13, s[68:69]
	v_add_f32_e32 v11, v19, v9
	v_cndmask_b32_e64 v15, v9, v11, s[66:67]
	v_sub_f32_e32 v9, v73, v22
	v_mul_f32_e32 v11, 0x3fb8aa3b, v9
	v_fma_f32 v13, v9, s42, -v11
	v_rndne_f32_e32 v17, v11
	v_fmac_f32_e32 v13, 0x32a5705f, v9
	v_sub_f32_e32 v11, v11, v17
	v_add_f32_e32 v11, v11, v13
	v_exp_f32_e32 v11, v11
	v_cvt_i32_f32_e32 v13, v17
	v_cmp_ngt_f32_e64 s[68:69], s53, v9
	v_ldexp_f32 v11, v11, v13
	s_nop 0
	v_cndmask_b32_e64 v11, 0, v11, s[68:69]
	v_cmp_nlt_f32_e64 s[68:69], s97, v9
	s_nop 1
	v_cndmask_b32_e64 v11, v230, v11, s[68:69]
	v_cmp_le_f32_e64 s[68:69], s84, v9
	s_nop 1
	v_cndmask_b32_e64 v9, 0, v11, s[68:69]
	v_fmac_f32_e32 v15, v244, v9
	v_cvt_f16_f32_e32 v9, v9
	v_mul_u32_u24_e32 v13, 0x10001, v9
	v_pk_mul_f16 v77, v248, v13
	v_pk_mul_f16 v76, v247, v13
	;; [unrolled: 1-line block ×10, first 2 shown]
	v_mov_b32_e32 v13, s55
	v_cndmask_b32_e64 v13, v13, v19, s[66:67]
	v_mov_b32_e32 v19, s55
	v_cndmask_b32_e64 v24, v19, v21, s[64:65]
	v_cndmask_b32_e64 v25, v19, v20, s[62:63]
	v_cndmask_b32_e32 v28, v19, v18, vcc
	v_lshl_add_u64 v[18:19], v[56:57], 2, s[46:47]
	v_lshl_add_u64 v[18:19], v[18:19], 0, v[36:37]
	v_mov_b32_e32 v29, s43
	v_cndmask_b32_e64 v19, v29, v19, s[60:61]
	v_cndmask_b32_e64 v18, v233, v18, s[60:61]
	flat_load_dwordx4 v[18:21], v[18:19]
	v_cvt_f32_f16_e32 v78, v77
	v_cvt_f32_f16_sdwa v79, v77 dst_sel:DWORD dst_unused:UNUSED_PAD src0_sel:WORD_1
	v_cvt_f32_f16_e32 v80, v76
	v_cvt_f32_f16_sdwa v81, v76 dst_sel:DWORD dst_unused:UNUSED_PAD src0_sel:WORD_1
	v_cvt_pk_f16_f32 v13, v16, v13
	s_waitcnt vmcnt(0) lgkmcnt(0)
	ds_write_b128 v134, v[18:21]
	v_lshl_add_u64 v[18:19], v[54:55], 2, s[46:47]
	v_lshl_add_u64 v[18:19], v[18:19], 0, v[36:37]
	v_cndmask_b32_e64 v19, v29, v19, s[58:59]
	v_cndmask_b32_e64 v18, v233, v18, s[58:59]
	flat_load_dwordx4 v[18:21], v[18:19]
	s_waitcnt vmcnt(0) lgkmcnt(0)
	ds_write_b128 v137, v[18:21]
	s_waitcnt lgkmcnt(0)
	s_barrier
	ds_read_u16 v18, v149 offset:176
	ds_read_u16 v19, v150
	ds_read_u16 v36, v150 offset:32
	ds_read_u16 v20, v151
	ds_read_u16 v82, v151 offset:32
	s_waitcnt lgkmcnt(1)
	v_perm_b32 v21, v20, v19, s33
	ds_read_u16 v19, v149
	ds_read_u16 v83, v149 offset:32
	s_waitcnt lgkmcnt(1)
	v_perm_b32 v20, v18, v19, s33
	v_cvt_pk_f16_f32 v19, v4, v28
	v_cvt_pk_f16_f32 v18, v2, v1
	s_nop 1
	v_mfma_f32_16x16x16_f16 v[76:79], v[20:21], v[18:19], v[78:81]
	ds_read_u16 v21, v149 offset:2816
	ds_read_u16 v28, v149 offset:2992
	;; [unrolled: 1-line block ×4, first 2 shown]
	s_waitcnt lgkmcnt(2)
	v_perm_b32 v28, v28, v21, s33
	s_nop 1
	v_cvt_f16_f32_e32 v1, v76
	v_cvt_f16_f32_e32 v2, v77
	;; [unrolled: 1-line block ×4, first 2 shown]
	s_waitcnt lgkmcnt(0)
	v_perm_b32 v29, v80, v29, s33
	v_cvt_f32_f16_e32 v76, v1
	v_cvt_f32_f16_e32 v77, v2
	v_cvt_f32_f16_e32 v78, v4
	v_cvt_f32_f16_e32 v79, v20
	v_cvt_pk_f16_f32 v21, v8, v25
	v_cvt_pk_f16_f32 v20, v6, v3
	s_nop 1
	v_mfma_f32_16x16x16_f16 v[76:79], v[28:29], v[20:21], v[76:79]
	ds_read_u16 v6, v149 offset:5632
	ds_read_u16 v8, v149 offset:5808
	;; [unrolled: 1-line block ×4, first 2 shown]
	s_nop 3
	v_cvt_f16_f32_e32 v2, v77
	v_cvt_f16_f32_e32 v3, v78
	;; [unrolled: 1-line block ×4, first 2 shown]
	v_cvt_f32_f16_e32 v77, v2
	v_cvt_f32_f16_e32 v78, v3
	s_waitcnt lgkmcnt(0)
	v_perm_b32 v3, v28, v25, s33
	v_perm_b32 v2, v8, v6, s33
	v_cvt_f32_f16_e32 v76, v1
	v_cvt_f32_f16_e32 v79, v4
	v_cvt_pk_f16_f32 v25, v12, v24
	v_cvt_pk_f16_f32 v24, v10, v5
	ds_read_u16 v6, v149 offset:8448
	ds_read_u16 v8, v149 offset:8624
	;; [unrolled: 1-line block ×4, first 2 shown]
	v_mfma_f32_16x16x16_f16 v[2:5], v[2:3], v[24:25], v[76:79]
	s_waitcnt lgkmcnt(2)
	v_perm_b32 v28, v8, v6, s33
	ds_read_u16 v8, v149 offset:208
	s_waitcnt lgkmcnt(1)
	v_perm_b32 v29, v12, v10, s33
	v_cvt_pk_f16_f32 v12, v14, v7
	s_nop 1
	v_cvt_f16_f32_e32 v1, v2
	v_cvt_f16_f32_e32 v3, v3
	;; [unrolled: 1-line block ×4, first 2 shown]
	v_cvt_f32_f16_e32 v2, v1
	v_cvt_f32_f16_e32 v3, v3
	;; [unrolled: 1-line block ×5, first 2 shown]
	v_cvt_f32_f16_sdwa v7, v74 dst_sel:DWORD dst_unused:UNUSED_PAD src0_sel:WORD_1
	v_mfma_f32_16x16x16_f16 v[2:5], v[28:29], v[12:13], v[2:5]
	v_perm_b32 v29, v82, v36, s33
	s_waitcnt lgkmcnt(0)
	v_perm_b32 v28, v8, v83, s33
	ds_read_u16 v8, v149 offset:2848
	ds_read_u16 v10, v149 offset:3024
	ds_read_u16 v14, v150 offset:2848
	ds_read_u16 v16, v151 offset:2848
	s_nop 0
	v_cvt_f16_f32_e32 v1, v4
	v_cvt_f16_f32_e32 v4, v5
	v_cvt_f32_f16_sdwa v5, v75 dst_sel:DWORD dst_unused:UNUSED_PAD src0_sel:WORD_1
	v_cvt_f32_f16_e32 v74, v17
	v_perm_b32 v1, v4, v1, s33
	v_cvt_f32_f16_e32 v4, v75
	v_cvt_f32_f16_sdwa v75, v17 dst_sel:DWORD dst_unused:UNUSED_PAD src0_sel:WORD_1
	s_nop 0
	v_mfma_f32_16x16x16_f16 v[4:7], v[28:29], v[18:19], v[4:7]
	s_waitcnt lgkmcnt(0)
	v_perm_b32 v29, v16, v14, s33
	v_perm_b32 v28, v10, v8, s33
	ds_read_u16 v8, v149 offset:5664
	ds_read_u16 v10, v149 offset:5840
	;; [unrolled: 1-line block ×4, first 2 shown]
	s_nop 0
	v_cvt_f16_f32_e32 v4, v4
	v_cvt_f16_f32_e32 v5, v5
	;; [unrolled: 1-line block ×4, first 2 shown]
	v_cvt_f32_f16_e32 v4, v4
	v_cvt_f32_f16_e32 v5, v5
	;; [unrolled: 1-line block ×4, first 2 shown]
	s_nop 1
	v_mfma_f32_16x16x16_f16 v[4:7], v[28:29], v[20:21], v[4:7]
	s_waitcnt lgkmcnt(0)
	v_perm_b32 v29, v16, v14, s33
	v_perm_b32 v28, v10, v8, s33
	ds_read_u16 v8, v149 offset:8480
	ds_read_u16 v10, v149 offset:8656
	;; [unrolled: 1-line block ×4, first 2 shown]
	s_nop 0
	v_cvt_f16_f32_e32 v4, v4
	v_cvt_f16_f32_e32 v5, v5
	;; [unrolled: 1-line block ×4, first 2 shown]
	v_cvt_f32_f16_e32 v4, v4
	v_cvt_f32_f16_e32 v5, v5
	;; [unrolled: 1-line block ×4, first 2 shown]
	s_nop 1
	v_mfma_f32_16x16x16_f16 v[4:7], v[28:29], v[24:25], v[4:7]
	s_waitcnt lgkmcnt(0)
	v_perm_b32 v29, v16, v14, s33
	v_perm_b32 v28, v10, v8, s33
	v_cvt_f32_f16_e32 v8, v9
	v_cvt_f32_f16_sdwa v9, v9 dst_sel:DWORD dst_unused:UNUSED_PAD src0_sel:WORD_1
	s_nop 2
	v_cvt_f16_f32_e32 v4, v4
	v_cvt_f16_f32_e32 v5, v5
	;; [unrolled: 1-line block ×4, first 2 shown]
	v_cvt_f32_f16_e32 v4, v4
	v_cvt_f32_f16_e32 v5, v5
	;; [unrolled: 1-line block ×4, first 2 shown]
	s_nop 1
	v_mfma_f32_16x16x16_f16 v[4:7], v[28:29], v[12:13], v[4:7]
	ds_read_u16 v10, v149 offset:64
	ds_read_u16 v16, v149 offset:240
	ds_read_u16 v28, v150 offset:64
	ds_read_u16 v29, v151 offset:64
	s_nop 3
	v_cvt_f16_f32_e32 v6, v6
	v_cvt_f16_f32_e32 v7, v7
	s_waitcnt lgkmcnt(0)
	v_perm_b32 v29, v29, v28, s33
	v_perm_b32 v28, v16, v10, s33
	v_perm_b32 v14, v7, v6, s33
	v_cvt_f32_f16_e32 v6, v73
	v_cvt_f32_f16_sdwa v7, v73 dst_sel:DWORD dst_unused:UNUSED_PAD src0_sel:WORD_1
	s_nop 1
	v_mfma_f32_16x16x16_f16 v[6:9], v[28:29], v[18:19], v[6:9]
	ds_read_u16 v10, v149 offset:2880
	ds_read_u16 v16, v149 offset:3056
	ds_read_u16 v28, v150 offset:2880
	ds_read_u16 v29, v151 offset:2880
	s_nop 3
	v_cvt_f16_f32_e32 v6, v6
	v_cvt_f16_f32_e32 v7, v7
	v_cvt_f16_f32_e32 v8, v8
	v_cvt_f16_f32_e32 v9, v9
	s_waitcnt lgkmcnt(0)
	v_perm_b32 v29, v29, v28, s33
	v_perm_b32 v28, v16, v10, s33
	v_cvt_f32_f16_e32 v6, v6
	v_cvt_f32_f16_e32 v7, v7
	v_cvt_f32_f16_e32 v8, v8
	v_cvt_f32_f16_e32 v9, v9
	s_nop 1
	v_mfma_f32_16x16x16_f16 v[6:9], v[28:29], v[20:21], v[6:9]
	ds_read_u16 v10, v149 offset:5696
	ds_read_u16 v16, v149 offset:5872
	ds_read_u16 v28, v150 offset:5696
	ds_read_u16 v29, v151 offset:5696
	s_nop 3
	v_cvt_f16_f32_e32 v6, v6
	v_cvt_f16_f32_e32 v7, v7
	v_cvt_f16_f32_e32 v8, v8
	v_cvt_f16_f32_e32 v9, v9
	s_waitcnt lgkmcnt(0)
	v_perm_b32 v29, v29, v28, s33
	v_perm_b32 v28, v16, v10, s33
	v_cvt_f32_f16_e32 v6, v6
	v_cvt_f32_f16_e32 v7, v7
	v_cvt_f32_f16_e32 v8, v8
	v_cvt_f32_f16_e32 v9, v9
	;; [unrolled: 18-line block ×3, first 2 shown]
	v_cvt_f32_f16_e32 v10, v11
	v_cvt_f32_f16_sdwa v11, v11 dst_sel:DWORD dst_unused:UNUSED_PAD src0_sel:WORD_1
	v_mfma_f32_16x16x16_f16 v[6:9], v[28:29], v[12:13], v[6:9]
	ds_read_u16 v28, v149 offset:96
	ds_read_u16 v36, v149 offset:272
	;; [unrolled: 1-line block ×4, first 2 shown]
	s_nop 3
	v_cvt_f16_f32_e32 v8, v8
	v_cvt_f16_f32_e32 v9, v9
	s_waitcnt lgkmcnt(0)
	v_perm_b32 v29, v73, v29, s33
	v_perm_b32 v28, v36, v28, s33
	v_cvt_f32_f16_sdwa v73, v27 dst_sel:DWORD dst_unused:UNUSED_PAD src0_sel:WORD_1
	v_perm_b32 v16, v9, v8, s33
	v_cvt_f32_f16_e32 v8, v72
	v_cvt_f32_f16_sdwa v9, v72 dst_sel:DWORD dst_unused:UNUSED_PAD src0_sel:WORD_1
	s_nop 1
	v_mfma_f32_16x16x16_f16 v[8:11], v[28:29], v[18:19], v[8:11]
	ds_read_u16 v28, v149 offset:2912
	ds_read_u16 v36, v149 offset:3088
	ds_read_u16 v29, v150 offset:2912
	ds_read_u16 v72, v151 offset:2912
	s_nop 3
	v_cvt_f16_f32_e32 v8, v8
	v_cvt_f16_f32_e32 v9, v9
	v_cvt_f16_f32_e32 v10, v10
	v_cvt_f16_f32_e32 v11, v11
	s_waitcnt lgkmcnt(0)
	v_perm_b32 v29, v72, v29, s33
	v_perm_b32 v28, v36, v28, s33
	v_cvt_f32_f16_e32 v8, v8
	v_cvt_f32_f16_e32 v9, v9
	v_cvt_f32_f16_e32 v10, v10
	v_cvt_f32_f16_e32 v11, v11
	s_nop 1
	v_mfma_f32_16x16x16_f16 v[8:11], v[28:29], v[20:21], v[8:11]
	ds_read_u16 v28, v149 offset:5728
	ds_read_u16 v36, v149 offset:5904
	ds_read_u16 v29, v150 offset:5728
	ds_read_u16 v72, v151 offset:5728
	s_nop 3
	v_cvt_f16_f32_e32 v8, v8
	v_cvt_f16_f32_e32 v9, v9
	v_cvt_f16_f32_e32 v10, v10
	v_cvt_f16_f32_e32 v11, v11
	s_waitcnt lgkmcnt(0)
	v_perm_b32 v29, v72, v29, s33
	v_perm_b32 v28, v36, v28, s33
	v_cvt_f32_f16_e32 v8, v8
	v_cvt_f32_f16_e32 v9, v9
	v_cvt_f32_f16_e32 v10, v10
	v_cvt_f32_f16_e32 v11, v11
	;; [unrolled: 18-line block ×3, first 2 shown]
	v_cvt_f32_f16_e32 v72, v27
	s_nop 0
	v_mfma_f32_16x16x16_f16 v[8:11], v[28:29], v[12:13], v[8:11]
	s_nop 7
	v_cvt_f16_f32_e32 v10, v10
	v_cvt_f16_f32_e32 v11, v11
	v_perm_b32 v28, v11, v10, s33
	ds_read_u16 v10, v149 offset:128
	ds_read_u16 v29, v149 offset:304
	;; [unrolled: 1-line block ×4, first 2 shown]
	s_waitcnt lgkmcnt(2)
	v_perm_b32 v10, v29, v10, s33
	s_waitcnt lgkmcnt(0)
	v_perm_b32 v11, v36, v11, s33
	s_nop 1
	v_mfma_f32_16x16x16_f16 v[72:75], v[10:11], v[18:19], v[72:75]
	ds_read_u16 v19, v149 offset:2944
	ds_read_u16 v27, v149 offset:3120
	;; [unrolled: 1-line block ×4, first 2 shown]
	s_nop 3
	v_cvt_f16_f32_e32 v10, v72
	v_cvt_f16_f32_e32 v11, v73
	;; [unrolled: 1-line block ×4, first 2 shown]
	v_cvt_f32_f16_e32 v72, v10
	v_cvt_f32_f16_e32 v73, v11
	s_waitcnt lgkmcnt(0)
	v_perm_b32 v11, v36, v29, s33
	v_perm_b32 v10, v27, v19, s33
	v_cvt_f32_f16_e32 v74, v17
	v_cvt_f32_f16_e32 v75, v18
	s_nop 1
	v_mfma_f32_16x16x16_f16 v[18:21], v[10:11], v[20:21], v[72:75]
	ds_read_u16 v27, v149 offset:5760
	ds_read_u16 v29, v149 offset:5936
	;; [unrolled: 1-line block ×4, first 2 shown]
	s_nop 3
	v_cvt_f16_f32_e32 v10, v18
	v_cvt_f16_f32_e32 v11, v19
	;; [unrolled: 1-line block ×4, first 2 shown]
	v_cvt_f32_f16_e32 v18, v10
	v_cvt_f32_f16_e32 v19, v11
	s_waitcnt lgkmcnt(0)
	v_perm_b32 v11, v72, v36, s33
	v_perm_b32 v10, v29, v27, s33
	v_cvt_f32_f16_e32 v20, v17
	v_cvt_f32_f16_e32 v21, v21
	s_nop 1
	v_mfma_f32_16x16x16_f16 v[18:21], v[10:11], v[24:25], v[18:21]
	s_nop 7
	v_cvt_f16_f32_e32 v17, v18
	v_cvt_f16_f32_e32 v18, v19
	;; [unrolled: 1-line block ×4, first 2 shown]
	ds_read_u16 v10, v149 offset:8576
	ds_read_u16 v11, v149 offset:8752
	;; [unrolled: 1-line block ×4, first 2 shown]
	v_cvt_f32_f16_e32 v73, v18
	v_cvt_f32_f16_e32 v74, v19
	s_waitcnt lgkmcnt(2)
	v_perm_b32 v18, v11, v10, s33
	v_cvt_f32_f16_e32 v72, v17
	s_waitcnt lgkmcnt(0)
	v_perm_b32 v19, v24, v21, s33
	v_cvt_f32_f16_e32 v75, v20
	s_barrier
	s_nop 0
	v_mfma_f32_16x16x16_f16 v[10:13], v[18:19], v[12:13], v[72:75]
	s_nop 7
	v_cvt_f16_f32_e32 v12, v12
	v_cvt_f16_f32_e32 v13, v13
	v_perm_b32 v12, v13, v12, s33
	ds_bpermute_b32 v13, v26, v15
	s_waitcnt lgkmcnt(0)
	v_add_f32_e32 v13, v15, v13
	ds_bpermute_b32 v15, v23, v13
	s_waitcnt lgkmcnt(0)
	v_add_f32_e32 v23, v13, v15
	s_cbranch_scc1 .LBB9_246
; %bb.245:                              ;   in Loop: Header=BB9_12 Depth=1
	v_cvt_pk_f16_f32 v4, v4, v5
	global_load_dword v5, v37, s[38:39]
	v_cvt_pk_f16_f32 v3, v2, v3
	v_cvt_pk_f16_f32 v6, v6, v7
	;; [unrolled: 1-line block ×3, first 2 shown]
	v_max_f32_e32 v9, v22, v22
	v_cvt_pk_f16_f32 v8, v10, v11
	s_waitcnt vmcnt(0)
	v_max_f32_e32 v2, v5, v5
	v_max_f32_e32 v2, v9, v2
	v_sub_f32_e32 v9, v22, v2
	v_mul_f32_e32 v10, 0x3fb8aa3b, v9
	v_fma_f32 v11, v9, s42, -v10
	v_rndne_f32_e32 v13, v10
	v_fmac_f32_e32 v11, 0x32a5705f, v9
	v_sub_f32_e32 v10, v10, v13
	v_add_f32_e32 v10, v10, v11
	v_exp_f32_e32 v10, v10
	v_cvt_i32_f32_e32 v11, v13
	v_cmp_ngt_f32_e32 vcc, s53, v9
	v_ldexp_f32 v10, v10, v11
	s_nop 0
	v_cndmask_b32_e32 v10, 0, v10, vcc
	v_cmp_nlt_f32_e32 vcc, s97, v9
	s_nop 1
	v_cndmask_b32_e32 v10, v230, v10, vcc
	v_cmp_le_f32_e32 vcc, s84, v9
	s_nop 1
	v_cndmask_b32_e32 v9, 0, v10, vcc
	v_sub_f32_e32 v10, v5, v2
	v_cvt_f16_f32_e32 v5, v9
	v_cmp_ngt_f32_e32 vcc, s53, v10
	v_mul_u32_u24_e32 v11, 0x10001, v5
	v_pk_mul_f16 v5, v3, v11
	v_mul_f32_e32 v3, 0x3fb8aa3b, v10
	v_pk_mul_f16 v1, v1, v11
	v_pk_mul_f16 v4, v4, v11
	;; [unrolled: 1-line block ×9, first 2 shown]
	v_fma_f32 v11, v10, s42, -v3
	v_rndne_f32_e32 v13, v3
	v_fmac_f32_e32 v11, 0x32a5705f, v10
	v_sub_f32_e32 v3, v3, v13
	v_add_f32_e32 v3, v3, v11
	v_exp_f32_e32 v3, v3
	v_cvt_i32_f32_e32 v11, v13
	v_ldexp_f32 v3, v3, v11
	v_cndmask_b32_e32 v3, 0, v3, vcc
	v_cmp_nlt_f32_e32 vcc, s97, v10
	s_nop 1
	v_cndmask_b32_e32 v3, v230, v3, vcc
	v_fmac_f32_e32 v3, v23, v9
	v_mov_b64_e32 v[22:23], v[2:3]
	s_branch .LBB9_247
.LBB9_246:                              ;   in Loop: Header=BB9_12 Depth=1
	v_cvt_f16_f32_e32 v2, v2
	v_cvt_f16_f32_e32 v3, v3
	;; [unrolled: 1-line block ×10, first 2 shown]
	v_perm_b32 v4, v5, v4, s33
	v_perm_b32 v5, v3, v2, s33
	;; [unrolled: 1-line block ×5, first 2 shown]
.LBB9_247:                              ;   in Loop: Header=BB9_12 Depth=1
	v_readlane_b32 s50, v255, 16
	v_readlane_b32 s51, v255, 17
	s_mov_b64 s[38:39], exec
	v_readlane_b32 s40, v255, 12
	v_readlane_b32 s41, v255, 13
	s_and_b64 s[40:41], s[38:39], s[40:41]
	s_mov_b64 exec, s[40:41]
; %bb.248:                              ;   in Loop: Header=BB9_12 Depth=1
	ds_write2_b32 v181, v22, v23 offset0:40 offset1:41
; %bb.249:                              ;   in Loop: Header=BB9_12 Depth=1
	s_or_b64 exec, exec, s[38:39]
	s_waitcnt lgkmcnt(0)
	s_barrier
	ds_write2_b32 v153, v5, v1 offset1:1
	ds_write2_b32 v153, v4, v14 offset0:8 offset1:9
	ds_write2_b32 v153, v6, v16 offset0:16 offset1:17
	;; [unrolled: 1-line block ×4, first 2 shown]
	v_mov_b32_e32 v1, 50
	s_waitcnt lgkmcnt(0)
	s_barrier
	s_mov_b64 s[38:39], exec
	v_readlane_b32 s40, v255, 35
	v_readlane_b32 s41, v255, 36
	s_and_b64 s[40:41], s[38:39], s[40:41]
	s_mov_b64 exec, s[40:41]
	s_cbranch_execz .LBB9_251
; %bb.250:                              ;   in Loop: Header=BB9_12 Depth=1
	ds_read_b32 v1, v165 offset:164
	ds_read_b32 v4, v166
	v_readlane_b32 s40, v255, 2
	s_waitcnt lgkmcnt(0)
	v_cvt_f32_f16_sdwa v5, v4 dst_sel:DWORD dst_unused:UNUSED_PAD src0_sel:WORD_1
	v_cvt_f32_f16_e32 v4, v4
	v_mad_u64_u32 v[2:3], s[40:41], v243, s40, v[32:33]
	v_readlane_b32 s40, v255, 18
	v_ashrrev_i32_e32 v3, 31, v2
	v_readlane_b32 s41, v255, 19
	v_pk_add_f32 v[4:5], v[4:5], 0 op_sel_hi:[1,0]
	s_nop 0
	v_lshl_add_u64 v[2:3], v[2:3], 3, s[40:41]
	v_div_scale_f32 v6, s[40:41], v1, v1, v5
	v_rcp_f32_e32 v7, v6
	s_nop 0
	v_fma_f32 v8, -v6, v7, 1.0
	v_fmac_f32_e32 v7, v8, v7
	v_div_scale_f32 v8, vcc, v5, v1, v5
	v_mul_f32_e32 v9, v8, v7
	v_fma_f32 v10, -v6, v9, v8
	v_fmac_f32_e32 v9, v10, v7
	v_fma_f32 v6, -v6, v9, v8
	v_div_fmas_f32 v6, v6, v7, v9
	v_div_fixup_f32 v5, v6, v1, v5
	v_div_scale_f32 v6, s[40:41], v1, v1, v4
	v_rcp_f32_e32 v7, v6
	s_nop 0
	v_fma_f32 v8, -v6, v7, 1.0
	v_fmac_f32_e32 v7, v8, v7
	v_div_scale_f32 v8, vcc, v4, v1, v4
	v_mul_f32_e32 v9, v8, v7
	v_fma_f32 v10, -v6, v9, v8
	v_fmac_f32_e32 v9, v10, v7
	v_fma_f32 v6, -v6, v9, v8
	v_div_fmas_f32 v6, v6, v7, v9
	v_div_fixup_f32 v4, v6, v1, v4
	v_mov_b32_e32 v1, 0
	global_store_dwordx2 v[2:3], v[4:5], off
.LBB9_251:                              ;   in Loop: Header=BB9_12 Depth=1
	s_or_b64 exec, exec, s[38:39]
	v_cmp_gt_i32_e32 vcc, 50, v1
	s_mov_b64 s[46:47], -1
	s_and_saveexec_b64 s[38:39], vcc
; %bb.252:                              ;   in Loop: Header=BB9_12 Depth=1
	v_cmp_eq_u32_e32 vcc, 0, v1
	s_orn2_b64 s[46:47], vcc, exec
; %bb.253:                              ;   in Loop: Header=BB9_12 Depth=1
	s_or_b64 exec, exec, s[38:39]
	s_and_saveexec_b64 s[38:39], s[46:47]
	s_cbranch_execz .LBB9_286
; %bb.254:                              ;   in Loop: Header=BB9_12 Depth=1
	v_mov_b32_e32 v1, 50
	s_mov_b64 s[46:47], exec
	v_readlane_b32 s40, v255, 37
	v_readlane_b32 s41, v255, 38
	s_and_b64 s[40:41], s[46:47], s[40:41]
	s_mov_b64 exec, s[40:41]
	s_cbranch_execz .LBB9_256
; %bb.255:                              ;   in Loop: Header=BB9_12 Depth=1
	ds_read_b32 v1, v167 offset:164
	ds_read_b32 v4, v168
	v_readlane_b32 s40, v255, 2
	s_waitcnt lgkmcnt(0)
	v_cvt_f32_f16_sdwa v5, v4 dst_sel:DWORD dst_unused:UNUSED_PAD src0_sel:WORD_1
	v_cvt_f32_f16_e32 v4, v4
	v_mad_u64_u32 v[2:3], s[40:41], v242, s40, v[32:33]
	v_readlane_b32 s40, v255, 18
	v_ashrrev_i32_e32 v3, 31, v2
	v_readlane_b32 s41, v255, 19
	v_pk_add_f32 v[4:5], v[4:5], 0 op_sel_hi:[1,0]
	s_nop 0
	v_lshl_add_u64 v[2:3], v[2:3], 3, s[40:41]
	v_div_scale_f32 v6, s[40:41], v1, v1, v5
	v_rcp_f32_e32 v7, v6
	s_nop 0
	v_fma_f32 v8, -v6, v7, 1.0
	v_fmac_f32_e32 v7, v8, v7
	v_div_scale_f32 v8, vcc, v5, v1, v5
	v_mul_f32_e32 v9, v8, v7
	v_fma_f32 v10, -v6, v9, v8
	v_fmac_f32_e32 v9, v10, v7
	v_fma_f32 v6, -v6, v9, v8
	v_div_fmas_f32 v6, v6, v7, v9
	v_div_fixup_f32 v5, v6, v1, v5
	v_div_scale_f32 v6, s[40:41], v1, v1, v4
	v_rcp_f32_e32 v7, v6
	s_nop 0
	v_fma_f32 v8, -v6, v7, 1.0
	v_fmac_f32_e32 v7, v8, v7
	v_div_scale_f32 v8, vcc, v4, v1, v4
	v_mul_f32_e32 v9, v8, v7
	v_fma_f32 v10, -v6, v9, v8
	v_fmac_f32_e32 v9, v10, v7
	v_fma_f32 v6, -v6, v9, v8
	v_div_fmas_f32 v6, v6, v7, v9
	v_div_fixup_f32 v4, v6, v1, v4
	v_mov_b32_e32 v1, 0
	global_store_dwordx2 v[2:3], v[4:5], off
.LBB9_256:                              ;   in Loop: Header=BB9_12 Depth=1
	s_or_b64 exec, exec, s[46:47]
	v_cmp_gt_i32_e32 vcc, 50, v1
	s_mov_b64 s[46:47], -1
	s_and_saveexec_b64 s[58:59], vcc
; %bb.257:                              ;   in Loop: Header=BB9_12 Depth=1
	v_cmp_eq_u32_e32 vcc, 0, v1
	s_orn2_b64 s[46:47], vcc, exec
; %bb.258:                              ;   in Loop: Header=BB9_12 Depth=1
	s_or_b64 exec, exec, s[58:59]
	s_and_b64 exec, exec, s[46:47]
	s_cbranch_execz .LBB9_286
; %bb.259:                              ;   in Loop: Header=BB9_12 Depth=1
	v_mov_b32_e32 v1, 50
	s_mov_b64 s[46:47], exec
	v_readlane_b32 s40, v255, 39
	v_readlane_b32 s41, v255, 40
	s_and_b64 s[40:41], s[46:47], s[40:41]
	s_mov_b64 exec, s[40:41]
	s_cbranch_execz .LBB9_261
; %bb.260:                              ;   in Loop: Header=BB9_12 Depth=1
	ds_read_b32 v1, v161 offset:164
	ds_read_b32 v4, v169
	v_readlane_b32 s40, v255, 2
	s_waitcnt lgkmcnt(0)
	v_cvt_f32_f16_sdwa v5, v4 dst_sel:DWORD dst_unused:UNUSED_PAD src0_sel:WORD_1
	v_cvt_f32_f16_e32 v4, v4
	v_mad_u64_u32 v[2:3], s[40:41], v241, s40, v[32:33]
	v_readlane_b32 s40, v255, 18
	v_ashrrev_i32_e32 v3, 31, v2
	v_readlane_b32 s41, v255, 19
	v_pk_add_f32 v[4:5], v[4:5], 0 op_sel_hi:[1,0]
	s_nop 0
	v_lshl_add_u64 v[2:3], v[2:3], 3, s[40:41]
	v_div_scale_f32 v6, s[40:41], v1, v1, v5
	v_rcp_f32_e32 v7, v6
	s_nop 0
	v_fma_f32 v8, -v6, v7, 1.0
	v_fmac_f32_e32 v7, v8, v7
	v_div_scale_f32 v8, vcc, v5, v1, v5
	v_mul_f32_e32 v9, v8, v7
	v_fma_f32 v10, -v6, v9, v8
	v_fmac_f32_e32 v9, v10, v7
	v_fma_f32 v6, -v6, v9, v8
	v_div_fmas_f32 v6, v6, v7, v9
	v_div_fixup_f32 v5, v6, v1, v5
	v_div_scale_f32 v6, s[40:41], v1, v1, v4
	v_rcp_f32_e32 v7, v6
	s_nop 0
	v_fma_f32 v8, -v6, v7, 1.0
	v_fmac_f32_e32 v7, v8, v7
	v_div_scale_f32 v8, vcc, v4, v1, v4
	v_mul_f32_e32 v9, v8, v7
	v_fma_f32 v10, -v6, v9, v8
	v_fmac_f32_e32 v9, v10, v7
	v_fma_f32 v6, -v6, v9, v8
	v_div_fmas_f32 v6, v6, v7, v9
	v_div_fixup_f32 v4, v6, v1, v4
	v_mov_b32_e32 v1, 0
	global_store_dwordx2 v[2:3], v[4:5], off
.LBB9_261:                              ;   in Loop: Header=BB9_12 Depth=1
	s_or_b64 exec, exec, s[46:47]
	v_cmp_gt_i32_e32 vcc, 50, v1
	s_mov_b64 s[46:47], -1
	s_and_saveexec_b64 s[58:59], vcc
; %bb.262:                              ;   in Loop: Header=BB9_12 Depth=1
	v_cmp_eq_u32_e32 vcc, 0, v1
	s_orn2_b64 s[46:47], vcc, exec
; %bb.263:                              ;   in Loop: Header=BB9_12 Depth=1
	s_or_b64 exec, exec, s[58:59]
	s_and_b64 exec, exec, s[46:47]
	;; [unrolled: 60-line block ×3, first 2 shown]
	s_cbranch_execz .LBB9_286
; %bb.269:                              ;   in Loop: Header=BB9_12 Depth=1
	v_mov_b32_e32 v1, 50
	s_mov_b64 s[46:47], exec
	v_readlane_b32 s40, v255, 43
	v_readlane_b32 s41, v255, 44
	s_and_b64 s[40:41], s[46:47], s[40:41]
	s_mov_b64 exec, s[40:41]
	s_cbranch_execz .LBB9_271
; %bb.270:                              ;   in Loop: Header=BB9_12 Depth=1
	scratch_load_dword v2, off, off offset:20 ; 4-byte Folded Reload
	ds_read_b32 v1, v162 offset:164
	v_readlane_b32 s40, v255, 2
	s_waitcnt vmcnt(0)
	ds_read_b32 v4, v2
	v_mad_u64_u32 v[2:3], s[40:41], v239, s40, v[32:33]
	v_readlane_b32 s40, v255, 18
	v_ashrrev_i32_e32 v3, 31, v2
	s_waitcnt lgkmcnt(0)
	v_cvt_f32_f16_sdwa v5, v4 dst_sel:DWORD dst_unused:UNUSED_PAD src0_sel:WORD_1
	v_cvt_f32_f16_e32 v4, v4
	v_readlane_b32 s41, v255, 19
	v_pk_add_f32 v[4:5], v[4:5], 0 op_sel_hi:[1,0]
	s_nop 0
	v_lshl_add_u64 v[2:3], v[2:3], 3, s[40:41]
	v_div_scale_f32 v6, s[40:41], v1, v1, v5
	v_rcp_f32_e32 v7, v6
	s_nop 0
	v_fma_f32 v8, -v6, v7, 1.0
	v_fmac_f32_e32 v7, v8, v7
	v_div_scale_f32 v8, vcc, v5, v1, v5
	v_mul_f32_e32 v9, v8, v7
	v_fma_f32 v10, -v6, v9, v8
	v_fmac_f32_e32 v9, v10, v7
	v_fma_f32 v6, -v6, v9, v8
	v_div_fmas_f32 v6, v6, v7, v9
	v_div_fixup_f32 v5, v6, v1, v5
	v_div_scale_f32 v6, s[40:41], v1, v1, v4
	v_rcp_f32_e32 v7, v6
	s_nop 0
	v_fma_f32 v8, -v6, v7, 1.0
	v_fmac_f32_e32 v7, v8, v7
	v_div_scale_f32 v8, vcc, v4, v1, v4
	v_mul_f32_e32 v9, v8, v7
	v_fma_f32 v10, -v6, v9, v8
	v_fmac_f32_e32 v9, v10, v7
	v_fma_f32 v6, -v6, v9, v8
	v_div_fmas_f32 v6, v6, v7, v9
	v_div_fixup_f32 v4, v6, v1, v4
	v_mov_b32_e32 v1, 0
	global_store_dwordx2 v[2:3], v[4:5], off
.LBB9_271:                              ;   in Loop: Header=BB9_12 Depth=1
	s_or_b64 exec, exec, s[46:47]
	v_cmp_gt_i32_e32 vcc, 50, v1
	s_mov_b64 s[46:47], -1
	s_and_saveexec_b64 s[58:59], vcc
; %bb.272:                              ;   in Loop: Header=BB9_12 Depth=1
	v_cmp_eq_u32_e32 vcc, 0, v1
	s_orn2_b64 s[46:47], vcc, exec
; %bb.273:                              ;   in Loop: Header=BB9_12 Depth=1
	s_or_b64 exec, exec, s[58:59]
	s_and_b64 exec, exec, s[46:47]
	s_cbranch_execz .LBB9_286
; %bb.274:                              ;   in Loop: Header=BB9_12 Depth=1
	v_mov_b32_e32 v1, 50
	s_mov_b64 s[46:47], exec
	v_readlane_b32 s40, v255, 45
	v_readlane_b32 s41, v255, 46
	s_and_b64 s[40:41], s[46:47], s[40:41]
	s_mov_b64 exec, s[40:41]
	s_cbranch_execz .LBB9_276
; %bb.275:                              ;   in Loop: Header=BB9_12 Depth=1
	scratch_load_dword v2, off, off offset:24 ; 4-byte Folded Reload
	v_add_u32_e32 v1, 0x1b80, v165
	ds_read_b32 v1, v1 offset:164
	v_readlane_b32 s40, v255, 2
	s_waitcnt vmcnt(0)
	ds_read_b32 v4, v2
	v_mad_u64_u32 v[2:3], s[40:41], v238, s40, v[32:33]
	v_readlane_b32 s40, v255, 18
	v_ashrrev_i32_e32 v3, 31, v2
	s_waitcnt lgkmcnt(0)
	v_cvt_f32_f16_sdwa v5, v4 dst_sel:DWORD dst_unused:UNUSED_PAD src0_sel:WORD_1
	v_cvt_f32_f16_e32 v4, v4
	v_readlane_b32 s41, v255, 19
	v_pk_add_f32 v[4:5], v[4:5], 0 op_sel_hi:[1,0]
	s_nop 0
	v_lshl_add_u64 v[2:3], v[2:3], 3, s[40:41]
	v_div_scale_f32 v6, s[40:41], v1, v1, v5
	v_rcp_f32_e32 v7, v6
	s_nop 0
	v_fma_f32 v8, -v6, v7, 1.0
	v_fmac_f32_e32 v7, v8, v7
	v_div_scale_f32 v8, vcc, v5, v1, v5
	v_mul_f32_e32 v9, v8, v7
	v_fma_f32 v10, -v6, v9, v8
	v_fmac_f32_e32 v9, v10, v7
	v_fma_f32 v6, -v6, v9, v8
	v_div_fmas_f32 v6, v6, v7, v9
	v_div_fixup_f32 v5, v6, v1, v5
	v_div_scale_f32 v6, s[40:41], v1, v1, v4
	v_rcp_f32_e32 v7, v6
	s_nop 0
	v_fma_f32 v8, -v6, v7, 1.0
	v_fmac_f32_e32 v7, v8, v7
	v_div_scale_f32 v8, vcc, v4, v1, v4
	v_mul_f32_e32 v9, v8, v7
	v_fma_f32 v10, -v6, v9, v8
	v_fmac_f32_e32 v9, v10, v7
	v_fma_f32 v6, -v6, v9, v8
	v_div_fmas_f32 v6, v6, v7, v9
	v_div_fixup_f32 v4, v6, v1, v4
	v_mov_b32_e32 v1, 0
	global_store_dwordx2 v[2:3], v[4:5], off
.LBB9_276:                              ;   in Loop: Header=BB9_12 Depth=1
	s_or_b64 exec, exec, s[46:47]
	v_cmp_gt_i32_e32 vcc, 50, v1
	s_mov_b64 s[46:47], -1
	s_and_saveexec_b64 s[58:59], vcc
; %bb.277:                              ;   in Loop: Header=BB9_12 Depth=1
	v_cmp_eq_u32_e32 vcc, 0, v1
	s_orn2_b64 s[46:47], vcc, exec
; %bb.278:                              ;   in Loop: Header=BB9_12 Depth=1
	s_or_b64 exec, exec, s[58:59]
	s_and_b64 exec, exec, s[46:47]
	s_cbranch_execz .LBB9_286
; %bb.279:                              ;   in Loop: Header=BB9_12 Depth=1
	v_mov_b32_e32 v1, 50
	s_mov_b64 s[46:47], exec
	v_readlane_b32 s40, v255, 47
	v_readlane_b32 s41, v255, 48
	s_and_b64 s[40:41], s[46:47], s[40:41]
	s_mov_b64 exec, s[40:41]
	s_cbranch_execz .LBB9_281
; %bb.280:                              ;   in Loop: Header=BB9_12 Depth=1
	scratch_load_dword v2, off, off offset:32 ; 4-byte Folded Reload
	ds_read_b32 v1, v163 offset:164
	v_readlane_b32 s40, v255, 2
	s_waitcnt vmcnt(0)
	ds_read_b32 v4, v2
	v_mad_u64_u32 v[2:3], s[40:41], v237, s40, v[32:33]
	v_readlane_b32 s40, v255, 18
	v_ashrrev_i32_e32 v3, 31, v2
	s_waitcnt lgkmcnt(0)
	v_cvt_f32_f16_sdwa v5, v4 dst_sel:DWORD dst_unused:UNUSED_PAD src0_sel:WORD_1
	v_cvt_f32_f16_e32 v4, v4
	v_readlane_b32 s41, v255, 19
	v_pk_add_f32 v[4:5], v[4:5], 0 op_sel_hi:[1,0]
	s_nop 0
	v_lshl_add_u64 v[2:3], v[2:3], 3, s[40:41]
	v_div_scale_f32 v6, s[40:41], v1, v1, v5
	v_rcp_f32_e32 v7, v6
	s_nop 0
	v_fma_f32 v8, -v6, v7, 1.0
	v_fmac_f32_e32 v7, v8, v7
	v_div_scale_f32 v8, vcc, v5, v1, v5
	v_mul_f32_e32 v9, v8, v7
	v_fma_f32 v10, -v6, v9, v8
	v_fmac_f32_e32 v9, v10, v7
	v_fma_f32 v6, -v6, v9, v8
	v_div_fmas_f32 v6, v6, v7, v9
	v_div_fixup_f32 v5, v6, v1, v5
	v_div_scale_f32 v6, s[40:41], v1, v1, v4
	v_rcp_f32_e32 v7, v6
	s_nop 0
	v_fma_f32 v8, -v6, v7, 1.0
	v_fmac_f32_e32 v7, v8, v7
	v_div_scale_f32 v8, vcc, v4, v1, v4
	v_mul_f32_e32 v9, v8, v7
	v_fma_f32 v10, -v6, v9, v8
	v_fmac_f32_e32 v9, v10, v7
	v_fma_f32 v6, -v6, v9, v8
	v_div_fmas_f32 v6, v6, v7, v9
	v_div_fixup_f32 v4, v6, v1, v4
	v_mov_b32_e32 v1, 0
	global_store_dwordx2 v[2:3], v[4:5], off
.LBB9_281:                              ;   in Loop: Header=BB9_12 Depth=1
	s_or_b64 exec, exec, s[46:47]
	v_cmp_gt_i32_e32 vcc, 50, v1
	s_mov_b64 s[46:47], -1
	s_and_saveexec_b64 s[58:59], vcc
; %bb.282:                              ;   in Loop: Header=BB9_12 Depth=1
	v_cmp_eq_u32_e32 vcc, 0, v1
	s_orn2_b64 s[46:47], vcc, exec
; %bb.283:                              ;   in Loop: Header=BB9_12 Depth=1
	s_or_b64 exec, exec, s[58:59]
	s_and_b64 exec, exec, s[46:47]
	s_cbranch_execz .LBB9_286
; %bb.284:                              ;   in Loop: Header=BB9_12 Depth=1
	v_readlane_b32 s40, v255, 49
	v_readlane_b32 s41, v255, 50
	s_and_b64 exec, exec, s[40:41]
	s_cbranch_execz .LBB9_286
; %bb.285:                              ;   in Loop: Header=BB9_12 Depth=1
	scratch_load_dword v2, off, off offset:36 ; 4-byte Folded Reload
	v_add_u32_e32 v1, 0x2680, v165
	ds_read_b32 v1, v1 offset:164
	v_readlane_b32 s40, v255, 2
	s_waitcnt vmcnt(0)
	ds_read_b32 v4, v2
	v_mad_u64_u32 v[2:3], s[40:41], v236, s40, v[32:33]
	v_readlane_b32 s40, v255, 18
	v_ashrrev_i32_e32 v3, 31, v2
	s_waitcnt lgkmcnt(0)
	v_cvt_f32_f16_sdwa v5, v4 dst_sel:DWORD dst_unused:UNUSED_PAD src0_sel:WORD_1
	v_cvt_f32_f16_e32 v4, v4
	v_readlane_b32 s41, v255, 19
	v_pk_add_f32 v[4:5], v[4:5], 0 op_sel_hi:[1,0]
	s_nop 0
	v_lshl_add_u64 v[2:3], v[2:3], 3, s[40:41]
	v_div_scale_f32 v6, s[40:41], v1, v1, v5
	v_rcp_f32_e32 v7, v6
	s_nop 0
	v_fma_f32 v8, -v6, v7, 1.0
	v_fmac_f32_e32 v7, v8, v7
	v_div_scale_f32 v8, vcc, v5, v1, v5
	v_mul_f32_e32 v9, v8, v7
	v_fma_f32 v10, -v6, v9, v8
	v_fmac_f32_e32 v9, v10, v7
	v_fma_f32 v6, -v6, v9, v8
	v_div_fmas_f32 v6, v6, v7, v9
	v_div_fixup_f32 v5, v6, v1, v5
	v_div_scale_f32 v6, s[40:41], v1, v1, v4
	v_rcp_f32_e32 v7, v6
	s_nop 0
	v_fma_f32 v8, -v6, v7, 1.0
	v_fmac_f32_e32 v7, v8, v7
	v_div_scale_f32 v8, vcc, v4, v1, v4
	v_mul_f32_e32 v9, v8, v7
	v_fma_f32 v10, -v6, v9, v8
	v_fmac_f32_e32 v9, v10, v7
	v_fma_f32 v6, -v6, v9, v8
	v_div_fmas_f32 v6, v6, v7, v9
	v_div_fixup_f32 v4, v6, v1, v4
	global_store_dwordx2 v[2:3], v[4:5], off
.LBB9_286:                              ;   in Loop: Header=BB9_12 Depth=1
	s_or_b64 exec, exec, s[38:39]
	v_mov_b32_e32 v1, 50
	s_mov_b64 s[38:39], exec
	v_readlane_b32 s40, v255, 31
	v_readlane_b32 s41, v255, 32
	s_and_b64 s[40:41], s[38:39], s[40:41]
	s_mov_b64 exec, s[40:41]
	s_cbranch_execz .LBB9_288
; %bb.287:                              ;   in Loop: Header=BB9_12 Depth=1
	ds_read_b32 v1, v133 offset:164
	ds_read_b32 v4, v159 offset:128
	v_readlane_b32 s40, v255, 2
	s_waitcnt lgkmcnt(0)
	v_cvt_f32_f16_sdwa v5, v4 dst_sel:DWORD dst_unused:UNUSED_PAD src0_sel:WORD_1
	v_cvt_f32_f16_e32 v4, v4
	v_mul_lo_u32 v2, v235, s40
	v_ashrrev_i32_e32 v3, 31, v2
	v_readlane_b32 s40, v255, 18
	v_lshl_add_u64 v[2:3], v[2:3], 0, v[30:31]
	v_readlane_b32 s41, v255, 19
	v_pk_add_f32 v[4:5], v[4:5], 0 op_sel_hi:[1,0]
	s_nop 0
	v_lshl_add_u64 v[2:3], v[2:3], 3, s[40:41]
	v_div_scale_f32 v6, s[40:41], v1, v1, v5
	v_rcp_f32_e32 v7, v6
	s_nop 0
	v_fma_f32 v8, -v6, v7, 1.0
	v_fmac_f32_e32 v7, v8, v7
	v_div_scale_f32 v8, vcc, v5, v1, v5
	v_mul_f32_e32 v9, v8, v7
	v_fma_f32 v10, -v6, v9, v8
	v_fmac_f32_e32 v9, v10, v7
	v_fma_f32 v6, -v6, v9, v8
	v_div_fmas_f32 v6, v6, v7, v9
	v_div_fixup_f32 v5, v6, v1, v5
	v_div_scale_f32 v6, s[40:41], v1, v1, v4
	v_rcp_f32_e32 v7, v6
	s_nop 0
	v_fma_f32 v8, -v6, v7, 1.0
	v_fmac_f32_e32 v7, v8, v7
	v_div_scale_f32 v8, vcc, v4, v1, v4
	v_mul_f32_e32 v9, v8, v7
	v_fma_f32 v10, -v6, v9, v8
	v_fmac_f32_e32 v9, v10, v7
	v_fma_f32 v6, -v6, v9, v8
	v_div_fmas_f32 v6, v6, v7, v9
	v_div_fixup_f32 v4, v6, v1, v4
	v_mov_b32_e32 v1, 0
	global_store_dwordx2 v[2:3], v[4:5], off offset:256
.LBB9_288:                              ;   in Loop: Header=BB9_12 Depth=1
	s_or_b64 exec, exec, s[38:39]
	v_cmp_gt_i32_e32 vcc, 50, v1
	s_mov_b64 s[46:47], -1
	s_and_saveexec_b64 s[38:39], vcc
; %bb.289:                              ;   in Loop: Header=BB9_12 Depth=1
	v_cmp_eq_u32_e32 vcc, 0, v1
	s_orn2_b64 s[46:47], vcc, exec
; %bb.290:                              ;   in Loop: Header=BB9_12 Depth=1
	s_or_b64 exec, exec, s[38:39]
                                        ; implicit-def: $vgpr2_vgpr3
	s_and_saveexec_b64 s[38:39], s[46:47]
	v_readlane_b32 s60, v255, 33
	v_readlane_b32 s61, v255, 34
	s_cbranch_execz .LBB9_294
; %bb.291:                              ;   in Loop: Header=BB9_12 Depth=1
	s_mov_b64 s[58:59], s[60:61]
                                        ; implicit-def: $vgpr2_vgpr3
	s_mov_b64 s[46:47], exec
	v_readlane_b32 s40, v255, 51
	v_readlane_b32 s41, v255, 52
	s_and_b64 s[40:41], s[46:47], s[40:41]
	s_mov_b64 exec, s[40:41]
	s_cbranch_execz .LBB9_293
; %bb.292:                              ;   in Loop: Header=BB9_12 Depth=1
	ds_read_b32 v1, v136 offset:164
	ds_read_b32 v2, v160 offset:128
	v_readlane_b32 s60, v255, 33
	v_readlane_b32 s61, v255, 34
	s_or_b64 s[58:59], s[60:61], exec
	s_waitcnt lgkmcnt(0)
	v_cvt_f32_f16_sdwa v3, v2 dst_sel:DWORD dst_unused:UNUSED_PAD src0_sel:WORD_1
	v_cvt_f32_f16_e32 v2, v2
	v_pk_add_f32 v[2:3], v[2:3], 0 op_sel_hi:[1,0]
	s_nop 0
	v_div_scale_f32 v4, s[40:41], v1, v1, v3
	v_rcp_f32_e32 v5, v4
	s_nop 0
	v_fma_f32 v6, -v4, v5, 1.0
	v_fmac_f32_e32 v5, v6, v5
	v_div_scale_f32 v6, vcc, v3, v1, v3
	v_mul_f32_e32 v7, v6, v5
	v_fma_f32 v8, -v4, v7, v6
	v_fmac_f32_e32 v7, v8, v5
	v_fma_f32 v4, -v4, v7, v6
	v_div_fmas_f32 v4, v4, v5, v7
	v_div_fixup_f32 v3, v4, v1, v3
	v_div_scale_f32 v4, s[40:41], v1, v1, v2
	v_rcp_f32_e32 v5, v4
	s_nop 0
	v_fma_f32 v6, -v4, v5, 1.0
	v_fmac_f32_e32 v5, v6, v5
	v_div_scale_f32 v6, vcc, v2, v1, v2
	v_mul_f32_e32 v7, v6, v5
	v_fma_f32 v8, -v4, v7, v6
	v_fmac_f32_e32 v7, v8, v5
	v_fma_f32 v4, -v4, v7, v6
	v_div_fmas_f32 v4, v4, v5, v7
	v_div_fixup_f32 v2, v4, v1, v2
.LBB9_293:                              ;   in Loop: Header=BB9_12 Depth=1
	s_or_b64 exec, exec, s[46:47]
	s_andn2_b64 s[40:41], s[60:61], exec
	s_and_b64 s[46:47], s[58:59], exec
	s_or_b64 s[60:61], s[40:41], s[46:47]
.LBB9_294:                              ;   in Loop: Header=BB9_12 Depth=1
	s_or_b64 exec, exec, s[38:39]
	s_and_saveexec_b64 s[38:39], s[60:61]
	s_cbranch_execz .LBB9_296
.LBB9_295:                              ;   in Loop: Header=BB9_12 Depth=1
	v_readlane_b32 s40, v255, 2
	s_nop 1
	v_mul_lo_u32 v4, v234, s40
	v_ashrrev_i32_e32 v5, 31, v4
	v_readlane_b32 s40, v255, 18
	v_lshl_add_u64 v[4:5], v[4:5], 0, v[30:31]
	v_readlane_b32 s41, v255, 19
	s_nop 1
	v_lshl_add_u64 v[4:5], v[4:5], 3, s[40:41]
	global_store_dwordx2 v[4:5], v[2:3], off offset:256
.LBB9_296:                              ;   in Loop: Header=BB9_12 Depth=1
	s_or_b64 exec, exec, s[38:39]
	v_readlane_b32 s47, v254, 1
	s_add_i32 s38, s50, s47
	s_abs_i32 s40, s38
	v_readlane_b32 s41, v254, 28
	s_mul_hi_u32 s41, s40, s41
	v_readlane_b32 s46, v254, 29
	s_mul_i32 s41, s41, s46
	s_sub_i32 s40, s40, s41
	s_ashr_i32 s39, s38, 31
	s_sub_i32 s41, s40, s46
	s_cmp_ge_u32 s40, s46
	s_cselect_b32 s40, s41, s40
	s_sub_i32 s41, s40, s46
	s_cmp_ge_u32 s40, s46
	s_cselect_b32 s40, s41, s40
	s_xor_b32 s40, s40, s39
	s_sub_i32 s39, s39, s40
	s_add_i32 s46, s38, s39
	v_readlane_b32 s38, v254, 13
	s_sub_i32 s40, s38, s46
	s_min_i32 s50, s47, s40
	v_readlane_b32 s39, v254, 14
	s_cmp_gt_i32 s38, s46
	s_cselect_b64 s[38:39], -1, 0
	s_cmp_le_i32 s47, s40
	s_cselect_b64 s[40:41], -1, 0
	s_and_b64 s[40:41], s[40:41], s[38:39]
	s_mov_b32 s64, 0
	s_and_b64 vcc, exec, s[40:41]
	s_cbranch_vccz .LBB9_299
; %bb.297:                              ;   in Loop: Header=BB9_12 Depth=1
	v_writelane_b32 v254, s50, 54
	s_branch .LBB9_12
.LBB9_298:
	v_writelane_b32 v254, s36, 52
	s_nop 1
	v_writelane_b32 v254, s37, 53
.LBB9_299:
	s_andn2_b64 vcc, exec, s[38:39]
	s_cbranch_vccnz .LBB9_413
; %bb.300:
	v_readlane_b32 s7, v254, 7
	s_abs_i32 s0, s7
	v_cvt_f32_u32_e32 v1, s0
	s_sub_i32 s4, 0, s0
	s_abs_i32 s3, s46
	s_xor_b32 s1, s46, s7
	v_rcp_iflag_f32_e32 v1, v1
	s_ashr_i32 s1, s1, 31
	v_readlane_b32 s9, v254, 6
	v_readlane_b32 s10, v254, 3
	v_mul_f32_e32 v1, 0x4f7ffffe, v1
	v_cvt_u32_f32_e32 v1, v1
	v_readlane_b32 s12, v254, 30
	v_readlane_b32 s18, v254, 36
	;; [unrolled: 1-line block ×3, first 2 shown]
	v_readfirstlane_b32 s5, v1
	s_mul_i32 s4, s4, s5
	s_mul_hi_u32 s4, s5, s4
	s_add_i32 s5, s5, s4
	s_mul_hi_u32 s4, s3, s5
	s_mul_i32 s5, s4, s0
	s_sub_i32 s3, s3, s5
	s_add_i32 s6, s4, 1
	s_sub_i32 s5, s3, s0
	s_cmp_ge_u32 s3, s0
	s_cselect_b32 s4, s6, s4
	s_cselect_b32 s3, s5, s3
	s_add_i32 s5, s4, 1
	s_cmp_ge_u32 s3, s0
	s_cselect_b32 s0, s5, s4
	s_abs_i32 s3, s9
	v_cvt_f32_u32_e32 v1, s3
	s_xor_b32 s0, s0, s1
	s_sub_i32 s6, s0, s1
	s_sub_i32 s4, 0, s3
	v_rcp_iflag_f32_e32 v1, v1
	s_mul_i32 s0, s6, s7
	s_sub_i32 s0, s46, s0
	s_abs_i32 s5, s0
	v_mul_f32_e32 v1, 0x4f7ffffe, v1
	v_cvt_u32_f32_e32 v1, v1
	s_xor_b32 s1, s0, s9
	s_ashr_i32 s1, s1, 31
	s_mov_b64 s[40:41], 0
	v_readfirstlane_b32 s7, v1
	s_mul_i32 s4, s4, s7
	s_mul_hi_u32 s4, s7, s4
	s_add_i32 s7, s7, s4
	s_mul_hi_u32 s4, s5, s7
	s_mul_i32 s7, s4, s3
	s_sub_i32 s5, s5, s7
	s_add_i32 s8, s4, 1
	s_sub_i32 s7, s5, s3
	s_cmp_ge_u32 s5, s3
	s_cselect_b32 s4, s8, s4
	s_cselect_b32 s5, s7, s5
	s_add_i32 s7, s4, 1
	s_cmp_ge_u32 s5, s3
	s_cselect_b32 s3, s7, s4
	s_abs_i32 s4, s10
	v_cvt_f32_u32_e32 v1, s4
	s_xor_b32 s3, s3, s1
	s_sub_i32 s5, 0, s4
	s_sub_i32 s7, s3, s1
	v_rcp_iflag_f32_e32 v1, v1
	s_mul_i32 s1, s7, s9
	s_sub_i32 s1, s0, s1
	s_abs_i32 s3, s1
	v_mul_f32_e32 v1, 0x4f7ffffe, v1
	v_cvt_u32_f32_e32 v1, v1
	s_xor_b32 s0, s1, s10
	s_ashr_i32 s0, s0, 31
	v_readlane_b32 s13, v254, 31
	v_readfirstlane_b32 s8, v1
	s_mul_i32 s5, s5, s8
	s_mul_hi_u32 s5, s8, s5
	s_add_i32 s8, s8, s5
	s_mul_hi_u32 s5, s3, s8
	s_mul_i32 s8, s5, s4
	s_sub_i32 s3, s3, s8
	s_add_i32 s9, s5, 1
	s_sub_i32 s8, s3, s4
	s_cmp_ge_u32 s3, s4
	s_cselect_b32 s5, s9, s5
	s_cselect_b32 s3, s8, s3
	s_add_i32 s8, s5, 1
	s_cmp_ge_u32 s3, s4
	s_cselect_b32 s3, s8, s5
	s_xor_b32 s3, s3, s0
	s_sub_i32 s0, s3, s0
	s_mul_i32 s3, s0, s10
	s_sub_i32 s1, s1, s3
	s_abs_i32 s9, s1
	v_readlane_b32 s3, v254, 28
	s_ashr_i32 s8, s6, 31
	s_mul_hi_u32 s3, s9, s3
	s_cmp_eq_u64 s[18:19], 0
	v_readlane_b32 s14, v254, 32
	v_readlane_b32 s15, v254, 33
	;; [unrolled: 1-line block ×12, first 2 shown]
	s_cbranch_scc1 .LBB9_302
; %bb.301:
	v_readlane_b32 s4, v254, 50
	s_abs_i32 s4, s4
	s_sub_i32 s10, 0, s4
	v_cvt_f32_u32_e32 v1, s4
	v_readlane_b32 s5, v254, 51
	s_abs_i32 s5, s6
	v_readlane_b32 s12, v254, 19
	v_rcp_iflag_f32_e32 v1, v1
	v_readlane_b32 s13, v254, 20
	v_mul_f32_e32 v1, 0x4f7ffffe, v1
	v_cvt_u32_f32_e32 v1, v1
	s_nop 0
	v_readfirstlane_b32 s11, v1
	s_mul_i32 s10, s10, s11
	s_mul_hi_u32 s10, s11, s10
	s_add_i32 s11, s11, s10
	s_mul_hi_u32 s10, s5, s11
	s_mul_i32 s10, s10, s4
	s_sub_i32 s5, s5, s10
	s_sub_i32 s10, s5, s4
	s_cmp_ge_u32 s5, s4
	s_cselect_b32 s5, s10, s5
	s_sub_i32 s10, s5, s4
	s_cmp_ge_u32 s5, s4
	s_cselect_b32 s4, s10, s5
	s_xor_b32 s4, s4, s8
	s_sub_i32 s4, s4, s8
	s_ashr_i32 s5, s4, 31
	s_mul_hi_u32 s10, s12, s4
	s_mul_i32 s5, s12, s5
	s_mul_i32 s11, s13, s4
	s_add_i32 s5, s10, s5
	s_add_i32 s5, s5, s11
	s_mul_i32 s4, s12, s4
	s_add_u32 s40, s18, s4
	s_addc_u32 s41, s19, s5
.LBB9_302:
	s_ashr_i32 s11, s1, 31
	v_readlane_b32 s1, v254, 2
	v_readlane_b32 s12, v254, 46
	s_mul_i32 s10, s7, s1
	v_readlane_b32 s13, v254, 47
	s_add_i32 s10, s10, s0
	v_readlane_b32 s14, v254, 48
	v_cmp_le_f32_e64 s[0:1], s13, 0
	v_readlane_b32 s15, v254, 49
	s_and_b64 vcc, exec, s[0:1]
	v_mov_b32_e32 v40, 1.0
	s_cbranch_vccnz .LBB9_304
; %bb.303:
	v_readlane_b32 s0, v254, 16
	v_mov_b32_e32 v2, s15
	v_mov_b32_e32 v3, s14
	v_mov_b32_e32 v1, s0
	v_sub_co_u32_e32 v1, vcc, s10, v1
	s_add_i32 s0, s10, 1
	v_lshlrev_b32_e32 v1, 1, v1
	v_cndmask_b32_e32 v2, v2, v3, vcc
	v_or_b32_e32 v1, 1, v1
	v_mov_b32_e32 v3, s0
	v_cndmask_b32_e32 v1, v1, v3, vcc
	v_cvt_f32_i32_e32 v1, v1
	v_cmp_neq_f32_e32 vcc, 1.0, v2
	s_mov_b32 s0, 0x3f2aaaab
	s_movk_i32 s4, 0x204
	v_cndmask_b32_e32 v1, 1.0, v1, vcc
	v_cmp_neq_f32_e32 vcc, 0, v1
	s_mov_b32 s1, 0x42b17218
	s_mov_b32 s5, 0x3fb8aa3b
	v_cndmask_b32_e32 v18, 1.0, v2, vcc
	v_frexp_mant_f32_e64 v2, |v18|
	v_cmp_gt_f32_e32 vcc, s0, v2
	s_mov_b32 s0, 0x3f317218
	s_brev_b32 s14, -2
	v_cndmask_b32_e64 v3, 1.0, 2.0, vcc
	v_mul_f32_e32 v2, v2, v3
	v_add_f32_e32 v5, 1.0, v2
	v_rcp_f32_e32 v10, v5
	v_add_f32_e32 v3, -1.0, v5
	v_sub_f32_e32 v7, v2, v3
	v_add_f32_e32 v3, -1.0, v2
	v_mul_f32_e32 v11, v3, v10
	v_mul_f32_e32 v4, v5, v11
	v_fma_f32 v6, v11, v5, -v4
	v_fmac_f32_e32 v6, v11, v7
	v_add_f32_e32 v2, v4, v6
	v_sub_f32_e32 v5, v3, v2
	v_pk_add_f32 v[8:9], v[2:3], v[4:5] neg_lo:[0,1] neg_hi:[0,1]
	v_mov_b32_e32 v7, v2
	v_pk_add_f32 v[2:3], v[8:9], v[6:7] neg_lo:[0,1] neg_hi:[0,1]
	v_mov_b32_e32 v6, 0x3e91f4c4
	v_add_f32_e32 v2, v2, v3
	v_add_f32_e32 v2, v5, v2
	v_mul_f32_e32 v3, v10, v2
	v_add_f32_e32 v2, v11, v3
	v_sub_f32_e32 v4, v2, v11
	v_sub_f32_e32 v12, v3, v4
	v_mul_f32_e32 v3, v2, v2
	v_fma_f32 v5, v2, v2, -v3
	v_add_f32_e32 v4, v12, v12
	v_fmac_f32_e32 v5, v2, v4
	v_add_f32_e32 v4, v3, v5
	v_fmac_f32_e32 v6, 0x3e76c4e1, v4
	v_fmaak_f32 v6, v4, v6, 0x3ecccdef
	v_sub_f32_e32 v3, v4, v3
	v_sub_f32_e32 v13, v5, v3
	v_mul_f32_e32 v3, v4, v6
	v_fma_f32 v5, v4, v6, -v3
	v_fmac_f32_e32 v5, v13, v6
	v_add_f32_e32 v6, v3, v5
	v_add_f32_e32 v7, 0x3f2aaaaa, v6
	v_sub_f32_e32 v3, v6, v3
	v_sub_f32_e32 v3, v5, v3
	v_add_f32_e32 v5, 0xbf2aaaaa, v7
	v_add_f32_e32 v3, 0x31739010, v3
	v_sub_f32_e32 v5, v6, v5
	v_pk_mul_f32 v[8:9], v[2:3], v[4:5]
	v_pk_add_f32 v[10:11], v[2:3], v[4:5]
	v_fma_f32 v6, v4, v2, -v8
	v_fmac_f32_e32 v6, v4, v12
	v_mov_b32_e32 v9, v11
	v_fmac_f32_e32 v6, v13, v2
	v_pk_add_f32 v[4:5], v[8:9], v[6:7]
	v_ldexp_f32 v14, v12, 1
	v_sub_f32_e32 v3, v4, v8
	v_sub_f32_e32 v3, v6, v3
	;; [unrolled: 1-line block ×3, first 2 shown]
	v_add_f32_e32 v9, v11, v6
	v_pk_mul_f32 v[6:7], v[4:5], v[4:5] op_sel:[0,1] op_sel_hi:[1,0]
	v_cvt_f64_f32_e64 v[10:11], |v18|
	v_frexp_exp_i32_f64_e32 v7, v[10:11]
	v_subbrev_co_u32_e32 v7, vcc, 0, v7, vcc
	v_cvt_f32_i32_e32 v7, v7
	v_fma_f32 v8, v4, v5, -v6
	v_fmac_f32_e32 v8, v4, v9
	v_fmac_f32_e32 v8, v3, v5
	v_mul_f32_e32 v4, 0x3f317218, v7
	v_fma_f32 v3, v7, s0, -v4
	v_fmamk_f32 v10, v7, 0xb102e308, v3
	v_ldexp_f32 v11, v2, 1
	v_add_f32_e32 v5, v6, v8
	v_pk_add_f32 v[2:3], v[4:5], v[10:11]
	v_mov_b32_e32 v12, v5
	v_mov_b32_e32 v13, v3
	v_mov_b32_e32 v7, v11
	v_pk_add_f32 v[6:7], v[12:13], v[6:7] neg_lo:[0,1] neg_hi:[0,1]
	v_mov_b32_e32 v9, v5
	v_pk_add_f32 v[6:7], v[8:9], v[6:7] neg_lo:[0,1] neg_hi:[0,1]
	v_mov_b32_e32 v11, v2
	v_add_f32_e32 v5, v14, v6
	v_add_f32_e32 v5, v5, v7
	v_pk_add_f32 v[6:7], v[2:3], v[4:5] neg_lo:[0,1] neg_hi:[0,1]
	v_pk_add_f32 v[8:9], v[2:3], v[4:5]
	v_mov_b32_e32 v16, v3
	v_mov_b32_e32 v7, v9
	v_pk_add_f32 v[12:13], v[10:11], v[6:7] neg_lo:[0,1] neg_hi:[0,1]
	v_pk_add_f32 v[6:7], v[10:11], v[6:7]
	v_mov_b32_e32 v4, v5
	v_pk_add_f32 v[10:11], v[6:7], v[2:3] op_sel:[1,0] op_sel_hi:[0,1] neg_lo:[0,1] neg_hi:[0,1]
	v_pk_add_f32 v[14:15], v[8:9], v[10:11] op_sel_hi:[1,0] neg_lo:[0,1] neg_hi:[0,1]
	v_mov_b32_e32 v8, v9
	v_mov_b32_e32 v9, v7
	;; [unrolled: 1-line block ×3, first 2 shown]
	v_pk_add_f32 v[8:9], v[8:9], v[16:17] neg_lo:[0,1] neg_hi:[0,1]
	v_mov_b32_e32 v5, v2
	v_pk_add_f32 v[2:3], v[4:5], v[8:9] neg_lo:[0,1] neg_hi:[0,1]
	v_mov_b32_e32 v14, v12
	v_pk_add_f32 v[4:5], v[14:15], v[2:3]
	v_mov_b32_e32 v13, v7
	v_pk_add_f32 v[8:9], v[4:5], v[4:5] op_sel:[0,1] op_sel_hi:[1,0]
	s_mov_b32 s0, 0x7f800000
	v_pk_add_f32 v[6:7], v[6:7], v[8:9] op_sel:[1,0] op_sel_hi:[0,1]
	v_mov_b32_e32 v5, v6
	v_pk_add_f32 v[10:11], v[4:5], v[12:13] neg_lo:[0,1] neg_hi:[0,1]
	v_mov_b32_e32 v3, v8
	v_sub_f32_e32 v4, v4, v10
	v_pk_add_f32 v[2:3], v[2:3], v[10:11] neg_lo:[0,1] neg_hi:[0,1]
	v_sub_f32_e32 v4, v12, v4
	v_add_f32_e32 v2, v2, v4
	v_add_f32_e32 v2, v2, v3
	;; [unrolled: 1-line block ×3, first 2 shown]
	v_sub_f32_e32 v4, v3, v6
	v_sub_f32_e32 v2, v2, v4
	v_mul_f32_e32 v4, v1, v3
	v_fma_f32 v3, v1, v3, -v4
	v_fmac_f32_e32 v3, v1, v2
	v_add_f32_e32 v2, v4, v3
	v_cmp_class_f32_e64 vcc, v4, s4
	v_sub_f32_e32 v5, v2, v4
	v_sub_f32_e32 v3, v3, v5
	v_cndmask_b32_e32 v2, v2, v4, vcc
	v_mov_b32_e32 v4, 0x37000000
	v_cmp_eq_f32_e32 vcc, s1, v2
	v_cmp_class_f32_e64 s[12:13], v18, s4
	s_nop 0
	v_cndmask_b32_e32 v4, 0, v4, vcc
	v_sub_f32_e32 v5, v2, v4
	v_mul_f32_e32 v6, 0x3fb8aa3b, v5
	v_fma_f32 v7, v5, s5, -v6
	v_rndne_f32_e32 v8, v6
	v_fmamk_f32 v7, v5, 0x32a5705f, v7
	v_sub_f32_e32 v6, v6, v8
	v_add_f32_e32 v6, v6, v7
	v_exp_f32_e32 v6, v6
	v_cvt_i32_f32_e32 v7, v8
	v_cmp_neq_f32_e64 vcc, |v2|, s0
	s_mov_b32 s0, 0xc2ce8ed0
	s_nop 0
	v_cndmask_b32_e32 v2, 0, v3, vcc
	v_ldexp_f32 v3, v6, v7
	v_cmp_ngt_f32_e32 vcc, s0, v5
	v_add_f32_e32 v2, v4, v2
	v_mov_b32_e32 v4, 0x7f800000
	v_cndmask_b32_e32 v3, 0, v3, vcc
	v_cmp_nlt_f32_e32 vcc, s1, v5
	v_mov_b32_e32 v5, 0x7fc00000
	s_nop 0
	v_cndmask_b32_e32 v3, v4, v3, vcc
	v_fma_f32 v2, v3, v2, v3
	v_cmp_class_f32_e64 vcc, v3, s4
	v_cmp_gt_f32_e64 s[4:5], 0, v1
	s_nop 0
	v_cndmask_b32_e32 v2, v2, v3, vcc
	v_trunc_f32_e32 v3, v1
	v_cmp_eq_f32_e32 vcc, v3, v1
	v_mul_f32_e32 v3, 0.5, v1
	v_trunc_f32_e32 v6, v3
	v_cmp_neq_f32_e64 s[0:1], v6, v3
	s_and_b64 s[0:1], vcc, s[0:1]
	s_nop 0
	v_cndmask_b32_e64 v3, 1.0, v18, s[0:1]
	v_bfi_b32 v2, s14, v2, v3
	v_cndmask_b32_e32 v3, v5, v2, vcc
	v_cmp_gt_f32_e32 vcc, 0, v18
	s_nop 1
	v_cndmask_b32_e32 v2, v2, v3, vcc
	v_cmp_eq_f32_e32 vcc, 0, v18
	s_xor_b64 s[4:5], s[4:5], vcc
	v_cndmask_b32_e64 v1, v4, 0, s[4:5]
	v_cndmask_b32_e64 v3, 0, v18, s[0:1]
	v_bfi_b32 v1, s14, v1, v3
	s_or_b64 vcc, vcc, s[12:13]
	v_cndmask_b32_e32 v1, v2, v1, vcc
	v_cmp_o_f32_e32 vcc, v18, v18
	s_nop 1
	v_cndmask_b32_e32 v40, v5, v1, vcc
.LBB9_304:
	v_readlane_b32 s0, v254, 27
	s_xor_b32 s0, s11, s0
	v_readlane_b32 s11, v254, 29
	s_mul_i32 s1, s3, s11
	s_sub_i32 s1, s9, s1
	s_add_i32 s4, s3, 1
	s_sub_i32 s5, s1, s11
	s_cmp_ge_u32 s1, s11
	s_cselect_b32 s3, s4, s3
	s_cselect_b32 s1, s5, s1
	s_add_i32 s4, s3, 1
	s_cmp_ge_u32 s1, s11
	s_cselect_b32 s1, s4, s3
	s_xor_b32 s1, s1, s0
	v_readlane_b32 s12, v254, 30
	s_sub_i32 s3, s1, s0
	v_readlane_b32 s22, v254, 40
	v_readlane_b32 s23, v254, 41
	;; [unrolled: 1-line block ×3, first 2 shown]
	s_cmp_eq_u64 s[22:23], 0
	v_mov_b32_e32 v8, s50
	v_readlane_b32 s14, v254, 32
	v_readlane_b32 s15, v254, 33
	v_readlane_b32 s16, v254, 34
	v_readlane_b32 s17, v254, 35
	v_readlane_b32 s18, v254, 36
	v_readlane_b32 s19, v254, 37
	v_readlane_b32 s20, v254, 38
	v_readlane_b32 s21, v254, 39
	v_readlane_b32 s24, v254, 42
	v_readlane_b32 s25, v254, 43
	v_readlane_b32 s26, v254, 44
	v_readlane_b32 s27, v254, 45
	s_cbranch_scc1 .LBB9_306
; %bb.305:
	v_readlane_b32 s0, v254, 0
	s_mul_i32 s0, s6, s0
	s_add_i32 s0, s3, s0
	s_ashr_i32 s1, s0, 31
	s_lshl_b64 s[0:1], s[0:1], 2
	s_add_u32 s0, s22, s0
	s_addc_u32 s1, s23, s1
	v_mov_b32_e32 v1, 0
	global_load_dword v1, v1, s[0:1]
	s_waitcnt vmcnt(0)
	v_ashrrev_i32_e32 v2, 31, v1
	v_lshrrev_b32_e32 v2, 26, v2
	v_add_u32_e32 v1, v1, v2
	v_ashrrev_i32_e32 v1, 6, v1
	v_min_i32_e32 v8, s50, v1
.LBB9_306:
	v_readlane_b32 s4, v254, 10
	v_readlane_b32 s5, v254, 11
	s_mul_i32 s0, s6, s5
	s_ashr_i32 s1, s0, 31
	s_add_u32 s0, s12, s0
	s_mul_i32 s10, s10, s4
	s_addc_u32 s1, s13, s1
	s_ashr_i32 s4, s10, 31
	s_add_u32 s0, s0, s10
	s_addc_u32 s1, s1, s4
	s_lshl_b32 s50, s3, 6
	v_add_u32_e32 v2, s50, v33
	s_mov_b32 s9, 0x10001
	v_lshl_add_u32 v85, v32, 2, 0
	v_cmp_le_i32_e32 vcc, s96, v2
	s_and_saveexec_b64 s[4:5], vcc
	s_xor_b64 s[4:5], exec, s[4:5]
; %bb.307:
	s_movk_i32 s3, 0xb0
	v_mad_u32_u24 v1, v33, s3, v85
	v_mov_b32_e32 v2, 0
	ds_write_b32 v1, v2
                                        ; implicit-def: $vgpr2
; %bb.308:
	s_or_saveexec_b64 s[4:5], s[4:5]
	v_mul_lo_u32 v1, v35, s9
	s_xor_b64 exec, exec, s[4:5]
	s_cbranch_execz .LBB9_310
; %bb.309:
	v_mad_u64_u32 v[2:3], s[10:11], v2, s54, v[32:33]
	v_ashrrev_i32_e32 v3, 31, v2
	v_lshl_add_u64 v[2:3], v[2:3], 3, s[0:1]
	global_load_dwordx2 v[2:3], v[2:3], off
	s_movk_i32 s3, 0xb0
	s_waitcnt vmcnt(0)
	v_cvt_pk_f16_f32 v2, v2, v3
	v_pk_mul_f16 v2, v2, v1
	v_mad_u32_u24 v3, v33, s3, v85
	ds_write_b32 v3, v2
.LBB9_310:
	s_or_b64 exec, exec, s[4:5]
	v_add_u32_e32 v2, 8, v33
	v_add_u32_e32 v3, s50, v2
	v_cmp_le_i32_e32 vcc, s96, v3
	s_and_saveexec_b64 s[4:5], vcc
	s_xor_b64 s[4:5], exec, s[4:5]
; %bb.311:
	s_movk_i32 s3, 0xb0
	v_mad_u32_u24 v2, v2, s3, v85
	v_mov_b32_e32 v3, 0
	ds_write_b32 v2, v3
                                        ; implicit-def: $vgpr3
                                        ; implicit-def: $vgpr2
; %bb.312:
	s_andn2_saveexec_b64 s[4:5], s[4:5]
	s_cbranch_execz .LBB9_314
; %bb.313:
	v_mad_u64_u32 v[4:5], s[10:11], v3, s54, v[32:33]
	v_ashrrev_i32_e32 v5, 31, v4
	v_lshl_add_u64 v[4:5], v[4:5], 3, s[0:1]
	global_load_dwordx2 v[4:5], v[4:5], off
	s_movk_i32 s3, 0xb0
	v_mad_u32_u24 v2, v2, s3, v85
	s_waitcnt vmcnt(0)
	v_cvt_pk_f16_f32 v3, v4, v5
	v_pk_mul_f16 v3, v3, v1
	ds_write_b32 v2, v3
.LBB9_314:
	s_or_b64 exec, exec, s[4:5]
	v_add_u32_e32 v92, 16, v33
	v_add_u32_e32 v2, s50, v92
	v_cmp_le_i32_e32 vcc, s96, v2
	s_and_saveexec_b64 s[4:5], vcc
	s_xor_b64 s[4:5], exec, s[4:5]
; %bb.315:
	s_movk_i32 s3, 0xb0
	v_mad_u32_u24 v2, v92, s3, v85
	v_mov_b32_e32 v3, 0
	ds_write_b32 v2, v3
                                        ; implicit-def: $vgpr2
; %bb.316:
	s_andn2_saveexec_b64 s[4:5], s[4:5]
	s_cbranch_execz .LBB9_318
; %bb.317:
	v_mad_u64_u32 v[2:3], s[10:11], v2, s54, v[32:33]
	v_ashrrev_i32_e32 v3, 31, v2
	v_lshl_add_u64 v[2:3], v[2:3], 3, s[0:1]
	global_load_dwordx2 v[2:3], v[2:3], off
	s_movk_i32 s3, 0xb0
	s_waitcnt vmcnt(0)
	v_cvt_pk_f16_f32 v2, v2, v3
	v_pk_mul_f16 v2, v2, v1
	v_mad_u32_u24 v3, v92, s3, v85
	ds_write_b32 v3, v2
.LBB9_318:
	s_or_b64 exec, exec, s[4:5]
	v_add_u32_e32 v2, 24, v33
	v_add_u32_e32 v3, s50, v2
	v_cmp_le_i32_e32 vcc, s96, v3
	s_and_saveexec_b64 s[4:5], vcc
	s_xor_b64 s[4:5], exec, s[4:5]
; %bb.319:
	s_movk_i32 s3, 0xb0
	v_mad_u32_u24 v2, v2, s3, v85
	v_mov_b32_e32 v3, 0
	ds_write_b32 v2, v3
                                        ; implicit-def: $vgpr3
                                        ; implicit-def: $vgpr2
; %bb.320:
	s_andn2_saveexec_b64 s[4:5], s[4:5]
	s_cbranch_execz .LBB9_322
; %bb.321:
	v_mad_u64_u32 v[4:5], s[10:11], v3, s54, v[32:33]
	v_ashrrev_i32_e32 v5, 31, v4
	v_lshl_add_u64 v[4:5], v[4:5], 3, s[0:1]
	global_load_dwordx2 v[4:5], v[4:5], off
	s_movk_i32 s3, 0xb0
	v_mad_u32_u24 v2, v2, s3, v85
	s_waitcnt vmcnt(0)
	v_cvt_pk_f16_f32 v3, v4, v5
	v_pk_mul_f16 v3, v3, v1
	ds_write_b32 v2, v3
.LBB9_322:
	s_or_b64 exec, exec, s[4:5]
	v_add_u32_e32 v93, 32, v33
	v_add_u32_e32 v2, s50, v93
	v_cmp_le_i32_e32 vcc, s96, v2
	s_and_saveexec_b64 s[4:5], vcc
	s_xor_b64 s[4:5], exec, s[4:5]
; %bb.323:
	s_movk_i32 s3, 0xb0
	v_mad_u32_u24 v2, v93, s3, v85
	v_mov_b32_e32 v3, 0
	ds_write_b32 v2, v3
                                        ; implicit-def: $vgpr2
; %bb.324:
	s_andn2_saveexec_b64 s[4:5], s[4:5]
	;; [unrolled: 55-line block ×3, first 2 shown]
	s_cbranch_execz .LBB9_334
; %bb.333:
	v_mad_u64_u32 v[2:3], s[10:11], v2, s54, v[32:33]
	v_ashrrev_i32_e32 v3, 31, v2
	v_lshl_add_u64 v[2:3], v[2:3], 3, s[0:1]
	global_load_dwordx2 v[2:3], v[2:3], off
	s_movk_i32 s3, 0xb0
	s_waitcnt vmcnt(0)
	v_cvt_pk_f16_f32 v2, v2, v3
	v_pk_mul_f16 v2, v2, v1
	v_mad_u32_u24 v3, v94, s3, v85
	ds_write_b32 v3, v2
.LBB9_334:
	s_or_b64 exec, exec, s[4:5]
	v_add_u32_e32 v2, 56, v33
	v_add_u32_e32 v3, s50, v2
	v_cmp_le_i32_e32 vcc, s96, v3
	s_and_saveexec_b64 s[4:5], vcc
	s_xor_b64 s[4:5], exec, s[4:5]
; %bb.335:
	s_movk_i32 s3, 0xb0
	v_mad_u32_u24 v2, v2, s3, v85
	v_mov_b32_e32 v3, 0
	ds_write_b32 v2, v3
                                        ; implicit-def: $vgpr3
                                        ; implicit-def: $vgpr2
; %bb.336:
	s_or_saveexec_b64 s[4:5], s[4:5]
	v_and_b32_e32 v97, 0x3ff, v0
	s_xor_b64 exec, exec, s[4:5]
	s_cbranch_execz .LBB9_338
; %bb.337:
	v_mad_u64_u32 v[4:5], s[10:11], v3, s54, v[32:33]
	v_ashrrev_i32_e32 v5, 31, v4
	v_lshl_add_u64 v[4:5], v[4:5], 3, s[0:1]
	global_load_dwordx2 v[4:5], v[4:5], off
	s_movk_i32 s3, 0xb0
	v_mad_u32_u24 v2, v2, s3, v85
	s_waitcnt vmcnt(0)
	v_cvt_pk_f16_f32 v0, v4, v5
	v_pk_mul_f16 v0, v0, v1
	ds_write_b32 v2, v0
.LBB9_338:
	s_or_b64 exec, exec, s[4:5]
	v_lshrrev_b32_e32 v9, 3, v97
	v_lshl_add_u32 v95, v128, 3, v9
	v_add_u32_e32 v0, s50, v95
	v_and_b32_e32 v34, 7, v97
	v_cmp_le_i32_e32 vcc, s96, v0
	s_and_saveexec_b64 s[4:5], vcc
	s_xor_b64 s[4:5], exec, s[4:5]
; %bb.339:
	v_mul_u32_u24_e32 v0, 0xb0, v95
	v_lshlrev_b32_e32 v2, 2, v34
	v_add3_u32 v0, 0, v0, v2
	v_mov_b32_e32 v2, 0
	ds_write_b32 v0, v2 offset:128
                                        ; implicit-def: $vgpr0
; %bb.340:
	s_or_saveexec_b64 s[4:5], s[4:5]
	v_lshl_add_u32 v96, v34, 2, 0
	s_xor_b64 exec, exec, s[4:5]
	s_cbranch_execz .LBB9_342
; %bb.341:
	v_mul_lo_u32 v2, v0, s54
	v_ashrrev_i32_e32 v3, 31, v2
	v_mov_b32_e32 v35, 0
	v_lshl_add_u64 v[2:3], v[2:3], 0, v[34:35]
	v_lshl_add_u64 v[2:3], v[2:3], 3, s[0:1]
	global_load_dwordx2 v[2:3], v[2:3], off offset:256
	s_movk_i32 s3, 0xb0
	s_waitcnt vmcnt(0)
	v_cvt_pk_f16_f32 v0, v2, v3
	v_pk_mul_f16 v0, v0, v1
	v_mad_u32_u24 v2, v95, s3, v96
	ds_write_b32 v2, v0 offset:128
.LBB9_342:
	s_or_b64 exec, exec, s[4:5]
	v_add_u32_e32 v109, 32, v95
	v_add_u32_e32 v0, s50, v109
	v_cmp_le_i32_e32 vcc, s96, v0
	s_and_saveexec_b64 s[4:5], vcc
	s_xor_b64 s[4:5], exec, s[4:5]
; %bb.343:
	v_mul_u32_u24_e32 v0, 0xb0, v109
	v_lshlrev_b32_e32 v1, 2, v34
	v_add3_u32 v0, 0, v0, v1
	v_mov_b32_e32 v1, 0
	ds_write_b32 v0, v1 offset:128
                                        ; implicit-def: $vgpr0
                                        ; implicit-def: $vgpr1
; %bb.344:
	s_andn2_saveexec_b64 s[4:5], s[4:5]
	s_cbranch_execz .LBB9_346
; %bb.345:
	v_mul_lo_u32 v2, v0, s54
	v_ashrrev_i32_e32 v3, 31, v2
	v_mov_b32_e32 v35, 0
	v_lshl_add_u64 v[2:3], v[2:3], 0, v[34:35]
	v_lshl_add_u64 v[2:3], v[2:3], 3, s[0:1]
	global_load_dwordx2 v[2:3], v[2:3], off offset:256
	s_movk_i32 s0, 0xb0
	s_waitcnt vmcnt(0)
	v_cvt_pk_f16_f32 v0, v2, v3
	v_pk_mul_f16 v0, v0, v1
	v_mad_u32_u24 v1, v109, s0, v96
	ds_write_b32 v1, v0 offset:128
.LBB9_346:
	s_or_b64 exec, exec, s[4:5]
	v_readlane_b32 s4, v254, 17
	v_readlane_b32 s5, v254, 18
	s_mul_i32 s0, s4, s8
	s_mul_hi_u32 s1, s4, s6
	v_readlane_b32 s12, v254, 30
	s_add_i32 s0, s1, s0
	s_mul_i32 s1, s5, s6
	v_readlane_b32 s13, v254, 31
	v_readlane_b32 s16, v254, 34
	;; [unrolled: 1-line block ×3, first 2 shown]
	s_add_i32 s0, s0, s1
	s_mul_i32 s1, s4, s6
	s_mov_b64 s[12:13], s[16:17]
	v_readlane_b32 s14, v254, 32
	v_readlane_b32 s15, v254, 33
	s_add_u32 s1, s12, s1
	s_mov_b64 s[10:11], s[14:15]
	s_addc_u32 s0, s13, s0
	v_readlane_b32 s12, v254, 23
	v_readlane_b32 s15, v254, 26
	s_mul_i32 s3, s7, s15
	s_ashr_i32 s4, s3, 31
	s_add_u32 s3, s1, s3
	v_readlane_b32 s13, v254, 24
	s_addc_u32 s33, s0, s4
	s_mul_i32 s0, s12, s8
	s_mul_hi_u32 s1, s12, s6
	s_add_i32 s0, s1, s0
	s_mul_i32 s1, s13, s6
	v_readlane_b32 s4, v254, 21
	s_add_i32 s0, s0, s1
	s_mul_i32 s1, s12, s6
	v_readlane_b32 s5, v254, 22
	s_add_u32 s1, s10, s1
	s_mul_i32 s7, s7, s5
	s_addc_u32 s0, s11, s0
	s_ashr_i32 s4, s7, 31
	s_add_u32 s51, s1, s7
	s_addc_u32 s56, s0, s4
	s_movk_i32 s0, 0xb00
	v_and_b32_e32 v98, 15, v97
	v_and_b32_e32 v0, 0x7e, v9
	v_mad_u32_u24 v10, v128, s0, 0
	v_mul_u32_u24_e32 v112, 0xb0, v98
	v_lshlrev_b32_e32 v35, 2, v0
	v_add3_u32 v11, v10, v112, v35
	s_waitcnt lgkmcnt(0)
	s_barrier
	ds_read2_b64 v[4:7], v11 offset1:4
	ds_read2_b64 v[0:3], v11 offset0:8 offset1:12
	ds_read_b64 v[28:29], v11 offset:128
	v_add_u32_e32 v117, -1, v8
	v_cmp_ge_i32_e32 vcc, s64, v117
	v_mul_lo_u32 v42, s98, v95
	v_mul_lo_u32 v36, s2, v109
	;; [unrolled: 1-line block ×3, first 2 shown]
	s_movk_i32 s10, 0xb0
	s_mov_b32 s57, 0
	s_and_b64 vcc, exec, vcc
	v_lshlrev_b32_e32 v44, 1, v97
	v_lshrrev_b32_e32 v115, 1, v97
	v_lshlrev_b32_e32 v107, 2, v97
	v_ashrrev_i32_e32 v43, 31, v42
	v_lshl_add_u32 v30, s98, 5, v42
	v_lshrrev_b32_e32 v108, 2, v97
	v_lshl_or_b32 v111, v128, 4, v98
	v_lshl_or_b32 v110, v9, 2, 4
	v_lshlrev_b32_e32 v106, 1, v9
	v_ashrrev_i32_e32 v37, 31, v36
	v_ashrrev_i32_e32 v39, 31, v38
	v_lshlrev_b32_e32 v105, 1, v98
	v_readlane_b32 s18, v254, 36
	v_readlane_b32 s19, v254, 37
	;; [unrolled: 1-line block ×11, first 2 shown]
	s_waitcnt lgkmcnt(0)
	s_barrier
	s_cbranch_vccnz .LBB9_366
; %bb.347:
	v_mov_b32_e32 v47, 0
	v_mov_b32_e32 v45, v47
	v_mul_i32_i24_e32 v8, 0xfffff590, v128
	v_lshl_add_u64 v[48:49], s[40:41], 0, v[44:45]
	v_add3_u32 v45, v10, v8, v44
	v_add_u32_e32 v8, s50, v128
	v_mul_hi_u32 v9, s48, v8
	v_add_u32_e32 v9, v8, v9
	v_lshrrev_b32_e32 v9, s49, v9
	v_mul_lo_u32 v9, v9, s96
	v_sub_u32_e32 v9, v8, v9
	v_readlane_b32 s6, v254, 52
	v_and_b32_e32 v84, 4, v107
	s_movk_i32 s20, 0x80
	v_mad_i64_i32 v[50:51], s[4:5], v9, s6, 0
	v_add_u32_e32 v9, 4, v8
	v_mul_hi_u32 v10, s48, v9
	v_add_u32_e32 v10, v9, v10
	v_lshrrev_b32_e32 v10, s49, v10
	v_mul_lo_u32 v10, v10, s96
	v_sub_u32_e32 v9, v9, v10
	v_mad_i64_i32 v[52:53], s[4:5], v9, s6, 0
	v_add_u32_e32 v9, 8, v8
	v_mul_hi_u32 v10, s48, v9
	v_add_u32_e32 v10, v9, v10
	v_lshrrev_b32_e32 v10, s49, v10
	v_mul_lo_u32 v10, v10, s96
	v_sub_u32_e32 v9, v9, v10
	;; [unrolled: 7-line block ×14, first 2 shown]
	v_add_u32_e32 v8, 60, v8
	v_mad_i64_i32 v[78:79], s[4:5], v9, s6, 0
	v_mul_hi_u32 v9, s48, v8
	v_add_u32_e32 v9, v8, v9
	v_lshrrev_b32_e32 v9, s49, v9
	v_mul_lo_u32 v9, v9, s96
	v_sub_u32_e32 v8, v8, v9
	v_mad_i64_i32 v[80:81], s[4:5], v8, s6, 0
	v_mbcnt_hi_u32_b32 v8, -1, v129
	v_and_b32_e32 v9, 64, v8
	v_add_u32_e32 v9, 64, v9
	v_xor_b32_e32 v10, 32, v8
	v_cmp_lt_i32_e32 vcc, v10, v9
	v_and_b32_e32 v14, 0xfc, v106
	s_mov_b64 s[42:43], src_private_base
	v_cndmask_b32_e32 v10, v8, v10, vcc
	v_lshlrev_b32_e32 v135, 2, v10
	v_xor_b32_e32 v10, 16, v8
	v_cmp_lt_i32_e32 vcc, v10, v9
	v_lshl_add_u32 v9, v128, 5, v115
	v_cmp_gt_u32_e64 s[4:5], 64, v9
	v_cndmask_b32_e32 v8, v8, v10, vcc
	v_lshlrev_b32_e32 v136, 2, v8
	v_and_b32_e32 v8, 28, v107
	v_mul_u32_u24_e32 v10, 0xb0, v95
	v_lshlrev_b32_e32 v11, 2, v8
	v_add3_u32 v137, 0, v10, v11
	v_mad_u32_u24 v10, v9, s10, 0
	v_lshlrev_b32_e32 v11, 2, v84
	s_movk_i32 s10, 0x90
	v_add3_u32 v140, v10, v11, s20
	v_and_b32_e32 v10, 0xfc, v108
	v_mad_u32_u24 v11, v111, s10, 0
	v_mul_lo_u32 v82, s98, v9
	v_lshl_add_u32 v141, v10, 1, v11
	v_cmp_gt_u32_e64 s[14:15], 47, v10
	v_cmp_gt_u32_e64 s[16:17], 46, v10
	;; [unrolled: 1-line block ×9, first 2 shown]
	v_mul_lo_u32 v86, s2, v9
	v_or_b32_e32 v9, 3, v106
	v_or_b32_e32 v10, 2, v106
	s_cmp_lg_u64 s[40:41], 0
	v_readlane_b32 s7, v254, 53
	v_add_u32_e32 v142, v11, v110
	v_add_u32_e32 v11, 32, v141
	;; [unrolled: 1-line block ×4, first 2 shown]
	s_movk_i32 s10, 0x100
	s_movk_i32 s12, 0xc0
	v_mul_u32_u24_e32 v9, 0xb0, v9
	v_mul_u32_u24_e32 v10, 0xb0, v10
	;; [unrolled: 1-line block ×3, first 2 shown]
	s_cselect_b64 s[44:45], -1, 0
	v_cmp_gt_u32_e64 s[0:1], 64, v97
	v_cmp_lt_u32_e64 s[38:39], 63, v97
	v_add_u32_e32 v118, 0x240, v45
	v_add_u32_e32 v119, 0x480, v45
	v_add_u32_e32 v120, 0x6c0, v45
	v_add_u32_e32 v121, 0x900, v45
	v_add_u32_e32 v122, 0xb40, v45
	v_add_u32_e32 v123, 0xd80, v45
	v_add_u32_e32 v124, 0xfc0, v45
	v_add_u32_e32 v125, 0x1200, v45
	v_add_u32_e32 v126, 0x1440, v45
	v_add_u32_e32 v127, 0x1680, v45
	v_add_u32_e32 v130, 0x18c0, v45
	v_add_u32_e32 v131, 0x1b00, v45
	v_add_u32_e32 v132, 0x1d40, v45
	v_add_u32_e32 v133, 0x1f80, v45
	v_add_u32_e32 v134, 0x21c0, v45
	v_cmp_gt_u32_e64 s[6:7], 64, v95
	v_add_u32_e32 v138, 0x1600, v137
	v_cmp_gt_u32_e64 s[8:9], 32, v95
	v_ashrrev_i32_e32 v31, 31, v30
	v_add3_u32 v139, 0, v112, v35
	v_ashrrev_i32_e32 v83, 31, v82
	v_cmp_gt_u32_e64 s[10:11], s10, v97
	v_cmp_gt_u32_e64 s[12:13], s12, v97
	v_cmp_gt_u32_e64 s[20:21], s20, v97
	v_ashrrev_i32_e32 v87, 31, v86
	v_add3_u32 v143, 0, v14, v105
	v_add3_u32 v144, 0, v10, v105
	;; [unrolled: 1-line block ×3, first 2 shown]
	v_mov_b32_e32 v88, v40
	v_mov_b32_e32 v89, v40
	s_lshl_b32 s46, s64, 6
	v_mov_b32_e32 v26, 0xfeffffff
	v_lshlrev_b32_e32 v46, 2, v8
	v_add_u32_e32 v146, 0x2c00, v11
	v_add_u32_e32 v147, 0x2c00, v12
	;; [unrolled: 1-line block ×3, first 2 shown]
	s_mov_b32 s42, 0x3fb8aa3b
	s_mov_b32 s58, 0xc2ce8ed0
	;; [unrolled: 1-line block ×5, first 2 shown]
	v_mov_b32_e32 v170, v47
	v_mov_b32_e32 v171, v47
	;; [unrolled: 1-line block ×17, first 2 shown]
.LBB9_348:                              ; =>This Inner Loop Header: Depth=1
	v_cndmask_b32_e64 v8, 0, 1, s[44:45]
	v_cmp_ne_u32_e64 s[36:37], 1, v8
	s_andn2_b64 vcc, exec, s[44:45]
	s_ashr_i32 s47, s46, 31
	s_cbranch_vccnz .LBB9_358
; %bb.349:                              ;   in Loop: Header=BB9_348 Depth=1
	s_and_saveexec_b64 s[52:53], s[38:39]
	s_xor_b64 s[52:53], exec, s[52:53]
	s_cbranch_execz .LBB9_351
; %bb.350:                              ;   in Loop: Header=BB9_348 Depth=1
	ds_write_b16 v45, v47 offset:11264
	ds_write_b16 v118, v47 offset:11264
	;; [unrolled: 1-line block ×4, first 2 shown]
.LBB9_351:                              ;   in Loop: Header=BB9_348 Depth=1
	s_or_saveexec_b64 s[52:53], s[52:53]
	v_lshl_add_u64 v[8:9], s[46:47], 1, v[48:49]
	v_mov_b32_e32 v10, 0
	v_mov_b32_e32 v11, 0
	;; [unrolled: 1-line block ×4, first 2 shown]
	s_xor_b64 exec, exec, s[52:53]
	s_cbranch_execz .LBB9_353
; %bb.352:                              ;   in Loop: Header=BB9_348 Depth=1
	v_lshl_add_u64 v[10:11], v[50:51], 1, v[8:9]
	v_lshl_add_u64 v[12:13], v[52:53], 1, v[8:9]
	;; [unrolled: 1-line block ×8, first 2 shown]
	global_load_ushort v27, v[10:11], off
	global_load_ushort v41, v[12:13], off
	s_nop 0
	global_load_ushort v14, v[14:15], off
	s_nop 0
	global_load_ushort v15, v[16:17], off
	global_load_ushort v10, v[18:19], off
	;; [unrolled: 1-line block ×5, first 2 shown]
	s_waitcnt vmcnt(7)
	ds_write_b16 v45, v27 offset:11264
	s_waitcnt vmcnt(6)
	ds_write_b16 v118, v41 offset:11264
	;; [unrolled: 2-line block ×4, first 2 shown]
.LBB9_353:                              ;   in Loop: Header=BB9_348 Depth=1
	s_or_b64 exec, exec, s[52:53]
	s_waitcnt vmcnt(3)
	ds_write_b16 v121, v10 offset:11264
	s_waitcnt vmcnt(2)
	ds_write_b16 v122, v11 offset:11264
	;; [unrolled: 2-line block ×4, first 2 shown]
	s_and_saveexec_b64 s[52:53], s[38:39]
	s_xor_b64 s[52:53], exec, s[52:53]
	s_cbranch_execz .LBB9_355
; %bb.354:                              ;   in Loop: Header=BB9_348 Depth=1
	ds_write_b16 v125, v47 offset:11264
	ds_write_b16 v126, v47 offset:11264
	;; [unrolled: 1-line block ×4, first 2 shown]
                                        ; implicit-def: $vgpr8_vgpr9
.LBB9_355:                              ;   in Loop: Header=BB9_348 Depth=1
	s_or_saveexec_b64 s[52:53], s[52:53]
	v_mov_b32_e32 v10, 0
	v_mov_b32_e32 v11, 0
	;; [unrolled: 1-line block ×4, first 2 shown]
	s_xor_b64 exec, exec, s[52:53]
	s_cbranch_execz .LBB9_357
; %bb.356:                              ;   in Loop: Header=BB9_348 Depth=1
	v_lshl_add_u64 v[10:11], v[66:67], 1, v[8:9]
	v_lshl_add_u64 v[12:13], v[68:69], 1, v[8:9]
	;; [unrolled: 1-line block ×8, first 2 shown]
	global_load_ushort v24, v[10:11], off
	global_load_ushort v25, v[12:13], off
	s_nop 0
	global_load_ushort v14, v[14:15], off
	s_nop 0
	global_load_ushort v15, v[16:17], off
	global_load_ushort v10, v[18:19], off
	;; [unrolled: 1-line block ×5, first 2 shown]
	s_waitcnt vmcnt(7)
	ds_write_b16 v125, v24 offset:11264
	s_waitcnt vmcnt(6)
	ds_write_b16 v126, v25 offset:11264
	;; [unrolled: 2-line block ×4, first 2 shown]
.LBB9_357:                              ;   in Loop: Header=BB9_348 Depth=1
	s_or_b64 exec, exec, s[52:53]
	s_waitcnt vmcnt(3)
	ds_write_b16 v131, v10 offset:11264
	s_waitcnt vmcnt(2)
	ds_write_b16 v132, v11 offset:11264
	;; [unrolled: 2-line block ×4, first 2 shown]
.LBB9_358:                              ;   in Loop: Header=BB9_348 Depth=1
	s_mul_hi_i32 s53, s46, s98
	s_mul_i32 s52, s46, s98
	s_lshl_b64 s[52:53], s[52:53], 2
	s_add_u32 s52, s51, s52
	s_addc_u32 s53, s56, s53
	scratch_store_dwordx4 off, v[170:173], off
	s_and_saveexec_b64 s[54:55], s[4:5]
	s_cbranch_execz .LBB9_360
; %bb.359:                              ;   in Loop: Header=BB9_348 Depth=1
	v_lshl_add_u64 v[8:9], v[82:83], 2, s[52:53]
	v_lshlrev_b32_e32 v10, 2, v84
	v_mov_b32_e32 v11, v47
	v_lshl_add_u64 v[8:9], v[8:9], 0, v[10:11]
	global_load_dwordx4 v[8:11], v[8:9], off offset:128
	s_waitcnt vmcnt(0)
	ds_write_b128 v140, v[8:11]
.LBB9_360:                              ;   in Loop: Header=BB9_348 Depth=1
	s_or_b64 exec, exec, s[54:55]
	v_lshl_add_u64 v[8:9], v[42:43], 2, s[52:53]
	v_lshl_add_u64 v[8:9], v[8:9], 0, v[46:47]
	v_mov_b32_e32 v14, s43
	v_cndmask_b32_e64 v9, v14, v9, s[6:7]
	v_cndmask_b32_e64 v8, v149, v8, s[6:7]
	flat_load_dwordx4 v[8:11], v[8:9]
	v_lshl_add_u64 v[12:13], v[30:31], 2, s[52:53]
	v_lshl_add_u64 v[12:13], v[12:13], 0, v[46:47]
	v_cndmask_b32_e64 v13, v14, v13, s[8:9]
	v_cndmask_b32_e64 v12, v149, v12, s[8:9]
	v_add_u32_e32 v24, 0x800, v139
	v_add_u32_e32 v25, 0x1000, v139
	;; [unrolled: 1-line block ×3, first 2 shown]
	s_and_b64 vcc, exec, s[36:37]
	s_waitcnt vmcnt(0) lgkmcnt(0)
	ds_write_b128 v137, v[8:11]
	flat_load_dwordx4 v[8:11], v[12:13]
	s_waitcnt vmcnt(0) lgkmcnt(0)
	ds_write_b128 v138, v[8:11]
	s_waitcnt lgkmcnt(0)
	s_barrier
	ds_read2_b64 v[8:11], v139 offset1:4
	ds_read2_b64 v[16:19], v24 offset0:96 offset1:100
	ds_read2_b64 v[152:155], v25 offset0:192 offset1:196
	;; [unrolled: 1-line block ×3, first 2 shown]
	s_waitcnt lgkmcnt(3)
	v_mfma_f32_16x16x16_f16 v[12:15], v[8:9], v[4:5], 0
	s_waitcnt lgkmcnt(2)
	v_mfma_f32_16x16x16_f16 v[20:23], v[16:17], v[4:5], 0
	;; [unrolled: 2-line block ×4, first 2 shown]
	v_mfma_f32_16x16x16_f16 v[8:11], v[10:11], v[6:7], v[12:15]
	v_mfma_f32_16x16x16_f16 v[12:15], v[18:19], v[6:7], v[20:23]
	v_mfma_f32_16x16x16_f16 v[16:19], v[154:155], v[6:7], v[156:159]
	ds_read2_b64 v[152:155], v139 offset0:8 offset1:12
	v_mfma_f32_16x16x16_f16 v[20:23], v[162:163], v[6:7], v[164:167]
	s_nop 0
	ds_read2_b64 v[156:159], v24 offset0:104 offset1:108
	ds_read2_b64 v[160:163], v25 offset0:200 offset1:204
	ds_read_b64 v[24:25], v139 offset:128
	ds_read2_b64 v[164:167], v27 offset0:40 offset1:44
	s_waitcnt lgkmcnt(4)
	v_mfma_f32_16x16x16_f16 v[8:11], v[152:153], v[0:1], v[8:11]
	s_waitcnt lgkmcnt(3)
	v_mfma_f32_16x16x16_f16 v[12:15], v[156:157], v[0:1], v[12:15]
	;; [unrolled: 2-line block ×3, first 2 shown]
	v_mfma_f32_16x16x16_f16 v[16:19], v[160:161], v[0:1], v[16:19]
	v_mfma_f32_16x16x16_f16 v[8:11], v[154:155], v[2:3], v[8:11]
	;; [unrolled: 1-line block ×4, first 2 shown]
	s_nop 3
	ds_read_b64 v[20:21], v139 offset:2944
	ds_read_b64 v[156:157], v139 offset:5760
	;; [unrolled: 1-line block ×3, first 2 shown]
	s_waitcnt lgkmcnt(0)
	s_barrier
	v_mfma_f32_16x16x16_f16 v[16:19], v[162:163], v[2:3], v[16:19]
	v_mfma_f32_16x16x16_f16 v[8:11], v[24:25], v[28:29], v[8:11]
	;; [unrolled: 1-line block ×5, first 2 shown]
	s_cbranch_vccnz .LBB9_362
; %bb.361:                              ;   in Loop: Header=BB9_348 Depth=1
	ds_read_b32 v27, v141 offset:11264
	ds_read_b32 v41, v142 offset:11264
	ds_read2_b32 v[12:13], v146 offset1:1
	ds_read2_b32 v[152:153], v147 offset1:1
	s_waitcnt lgkmcnt(3)
	v_cvt_f32_f16_sdwa v155, v27 dst_sel:DWORD dst_unused:UNUSED_PAD src0_sel:WORD_1
	v_cvt_f32_f16_e32 v154, v27
	s_waitcnt lgkmcnt(1)
	v_cvt_f32_f16_e32 v158, v12
	v_cvt_f32_f16_e32 v160, v13
	v_cvt_f32_f16_sdwa v161, v13 dst_sel:DWORD dst_unused:UNUSED_PAD src0_sel:WORD_1
	v_cvt_f32_f16_sdwa v159, v12 dst_sel:DWORD dst_unused:UNUSED_PAD src0_sel:WORD_1
	ds_read2_b32 v[12:13], v148 offset1:1
	v_cvt_f32_f16_sdwa v157, v41 dst_sel:DWORD dst_unused:UNUSED_PAD src0_sel:WORD_1
	v_cvt_f32_f16_e32 v156, v41
	v_mov_b32_e32 v41, v40
	v_pk_fma_f32 v[8:9], v[88:89], v[154:155], v[8:9]
	v_pk_fma_f32 v[22:23], v[88:89], v[158:159], v[22:23]
	;; [unrolled: 1-line block ×3, first 2 shown]
	s_waitcnt lgkmcnt(1)
	v_cvt_f32_f16_e32 v154, v152
	v_cvt_f32_f16_sdwa v155, v152 dst_sel:DWORD dst_unused:UNUSED_PAD src0_sel:WORD_1
	v_cvt_f32_f16_e32 v152, v153
	v_cvt_f32_f16_sdwa v153, v153 dst_sel:DWORD dst_unused:UNUSED_PAD src0_sel:WORD_1
	s_waitcnt lgkmcnt(0)
	v_cvt_f32_f16_e32 v156, v12
	v_cvt_f32_f16_e32 v158, v13
	v_cvt_f32_f16_sdwa v159, v13 dst_sel:DWORD dst_unused:UNUSED_PAD src0_sel:WORD_1
	v_cvt_f32_f16_sdwa v157, v12 dst_sel:DWORD dst_unused:UNUSED_PAD src0_sel:WORD_1
	v_pk_fma_f32 v[24:25], v[40:41], v[160:161], v[24:25]
	v_pk_fma_f32 v[20:21], v[40:41], v[152:153], v[20:21]
	;; [unrolled: 1-line block ×5, first 2 shown]
.LBB9_362:                              ;   in Loop: Header=BB9_348 Depth=1
	s_nop 3
	v_add_f32_e32 v12, 0x40051340, v8
	v_max_f32_e32 v13, v26, v26
	v_max_f32_e32 v12, v13, v12
	v_cndmask_b32_e64 v12, v26, v12, s[10:11]
	v_add_f32_e32 v13, 0x40051340, v9
	v_max_f32_e32 v12, v12, v12
	v_max_f32_e32 v12, v12, v13
	v_cndmask_b32_e64 v12, v26, v12, s[10:11]
	;; [unrolled: 4-line block ×16, first 2 shown]
	ds_bpermute_b32 v13, v135, v12
	v_max_f32_e32 v12, v12, v12
	s_mul_hi_i32 s37, s46, s2
	s_mul_i32 s36, s46, s2
	s_lshl_b64 s[36:37], s[36:37], 2
	s_waitcnt lgkmcnt(0)
	v_max_f32_e32 v13, v13, v13
	v_max_f32_e32 v12, v12, v13
	ds_bpermute_b32 v13, v136, v12
	s_add_u32 s36, s3, s36
	s_addc_u32 s37, s33, s37
	scratch_store_dwordx4 off, v[170:173], off
	s_and_saveexec_b64 s[52:53], s[4:5]
	s_cbranch_execz .LBB9_364
; %bb.363:                              ;   in Loop: Header=BB9_348 Depth=1
	v_lshl_add_u64 v[152:153], v[86:87], 2, s[36:37]
	v_lshlrev_b32_e32 v154, 2, v84
	v_mov_b32_e32 v155, v47
	v_lshl_add_u64 v[152:153], v[152:153], 0, v[154:155]
	global_load_dwordx4 v[152:155], v[152:153], off offset:128
	s_waitcnt vmcnt(0)
	ds_write_b128 v140, v[152:155]
.LBB9_364:                              ;   in Loop: Header=BB9_348 Depth=1
	s_or_b64 exec, exec, s[52:53]
	s_waitcnt lgkmcnt(0)
	v_max_f32_e32 v13, v13, v13
	v_max_f32_e32 v12, v12, v12
	;; [unrolled: 1-line block ×3, first 2 shown]
	v_sub_f32_e32 v8, v8, v41
	v_mul_f32_e32 v12, 0x3fb8aa3b, v8
	v_fma_f32 v13, v8, s42, -v12
	v_rndne_f32_e32 v27, v12
	v_fmac_f32_e32 v13, 0x32a5705f, v8
	v_sub_f32_e32 v12, v12, v27
	v_add_f32_e32 v12, v12, v13
	v_exp_f32_e32 v12, v12
	v_cvt_i32_f32_e32 v13, v27
	v_sub_f32_e32 v9, v9, v41
	v_cmp_ngt_f32_e32 vcc, s58, v8
	v_sub_f32_e32 v10, v10, v41
	v_ldexp_f32 v12, v12, v13
	v_mul_f32_e32 v13, 0x3fb8aa3b, v9
	v_fma_f32 v27, v9, s42, -v13
	v_rndne_f32_e32 v116, v13
	v_fmac_f32_e32 v27, 0x32a5705f, v9
	v_sub_f32_e32 v13, v13, v116
	v_add_f32_e32 v13, v13, v27
	v_exp_f32_e32 v13, v13
	v_cvt_i32_f32_e32 v27, v116
	v_cndmask_b32_e32 v12, 0, v12, vcc
	v_cmp_nlt_f32_e32 vcc, s59, v8
	v_sub_f32_e32 v11, v11, v41
	v_sub_f32_e32 v25, v25, v41
	v_cndmask_b32_e32 v116, v150, v12, vcc
	v_ldexp_f32 v12, v13, v27
	v_mul_f32_e32 v13, 0x3fb8aa3b, v10
	v_fma_f32 v27, v10, s42, -v13
	v_rndne_f32_e32 v152, v13
	v_fmac_f32_e32 v27, 0x32a5705f, v10
	v_sub_f32_e32 v13, v13, v152
	v_add_f32_e32 v13, v13, v27
	v_exp_f32_e32 v13, v13
	v_cvt_i32_f32_e32 v27, v152
	v_cmp_ngt_f32_e32 vcc, s58, v9
	v_mov_b32_e32 v163, s43
	v_sub_f32_e32 v18, v18, v41
	v_cndmask_b32_e32 v12, 0, v12, vcc
	v_cmp_nlt_f32_e32 vcc, s59, v9
	v_sub_f32_e32 v19, v19, v41
	v_sub_f32_e32 v20, v20, v41
	v_cndmask_b32_e32 v152, v150, v12, vcc
	v_ldexp_f32 v12, v13, v27
	v_mul_f32_e32 v13, 0x3fb8aa3b, v11
	v_fma_f32 v27, v11, s42, -v13
	v_rndne_f32_e32 v153, v13
	v_fmac_f32_e32 v27, 0x32a5705f, v11
	v_sub_f32_e32 v13, v13, v153
	v_add_f32_e32 v13, v13, v27
	v_exp_f32_e32 v13, v13
	v_cvt_i32_f32_e32 v27, v153
	v_cmp_ngt_f32_e32 vcc, s58, v10
	v_sub_f32_e32 v21, v21, v41
	v_sub_f32_e32 v14, v14, v41
	v_cndmask_b32_e32 v12, 0, v12, vcc
	v_cmp_nlt_f32_e32 vcc, s59, v10
	v_sub_f32_e32 v15, v15, v41
	v_sub_f32_e32 v16, v16, v41
	v_cndmask_b32_e32 v153, v150, v12, vcc
	v_ldexp_f32 v12, v13, v27
	v_sub_f32_e32 v13, v22, v41
	v_mul_f32_e32 v22, 0x3fb8aa3b, v13
	v_fma_f32 v27, v13, s42, -v22
	v_rndne_f32_e32 v154, v22
	v_fmac_f32_e32 v27, 0x32a5705f, v13
	v_sub_f32_e32 v22, v22, v154
	v_add_f32_e32 v22, v22, v27
	v_exp_f32_e32 v22, v22
	v_cvt_i32_f32_e32 v27, v154
	v_cmp_ngt_f32_e32 vcc, s58, v11
	v_sub_f32_e32 v17, v17, v41
	v_mov_b32_e32 v9, s57
	v_cndmask_b32_e32 v12, 0, v12, vcc
	v_cmp_nlt_f32_e32 vcc, s59, v11
	v_ldexp_f32 v11, v22, v27
	v_sub_f32_e32 v22, v23, v41
	v_cndmask_b32_e32 v154, v150, v12, vcc
	v_mul_f32_e32 v12, 0x3fb8aa3b, v22
	v_fma_f32 v23, v22, s42, -v12
	v_rndne_f32_e32 v27, v12
	v_fmac_f32_e32 v23, 0x32a5705f, v22
	v_sub_f32_e32 v12, v12, v27
	v_add_f32_e32 v12, v12, v23
	v_exp_f32_e32 v23, v12
	v_cvt_i32_f32_e32 v27, v27
	v_cmp_ngt_f32_e32 vcc, s58, v13
	v_mov_b32_e32 v10, s57
	v_cndmask_b32_e64 v8, 0, v116, s[10:11]
	v_cndmask_b32_e32 v11, 0, v11, vcc
	v_cmp_nlt_f32_e32 vcc, s59, v13
	v_sub_f32_e32 v13, v24, v41
	v_cndmask_b32_e64 v9, v9, v152, s[10:11]
	v_cndmask_b32_e32 v155, v150, v11, vcc
	v_ldexp_f32 v11, v23, v27
	v_mul_f32_e32 v23, 0x3fb8aa3b, v13
	v_fma_f32 v24, v13, s42, -v23
	v_rndne_f32_e32 v27, v23
	v_fmac_f32_e32 v24, 0x32a5705f, v13
	v_sub_f32_e32 v23, v23, v27
	v_add_f32_e32 v23, v23, v24
	v_exp_f32_e32 v23, v23
	v_cvt_i32_f32_e32 v24, v27
	v_cmp_ngt_f32_e32 vcc, s58, v22
	v_cndmask_b32_e64 v10, v10, v153, s[10:11]
	v_mov_b32_e32 v12, s57
	v_cndmask_b32_e32 v11, 0, v11, vcc
	v_cmp_nlt_f32_e32 vcc, s59, v22
	v_ldexp_f32 v22, v23, v24
	v_cndmask_b32_e64 v12, v12, v155, s[12:13]
	v_cndmask_b32_e32 v156, v150, v11, vcc
	v_cmp_ngt_f32_e32 vcc, s58, v13
	v_mov_b32_e32 v11, s57
	v_cndmask_b32_e64 v11, v11, v156, s[14:15]
	v_cndmask_b32_e32 v24, 0, v22, vcc
	v_mul_f32_e32 v22, 0x3fb8aa3b, v25
	v_fma_f32 v23, v25, s42, -v22
	v_rndne_f32_e32 v27, v22
	v_fmac_f32_e32 v23, 0x32a5705f, v25
	v_sub_f32_e32 v22, v22, v27
	v_add_f32_e32 v22, v22, v23
	v_exp_f32_e32 v158, v22
	v_lshl_add_u64 v[22:23], v[38:39], 2, s[36:37]
	v_lshl_add_u64 v[22:23], v[22:23], 0, v[46:47]
	v_cndmask_b32_e64 v23, v163, v23, s[6:7]
	v_cndmask_b32_e64 v22, v149, v22, s[6:7]
	flat_load_dwordx4 v[164:167], v[22:23]
	v_cvt_i32_f32_e32 v27, v27
	v_cmp_nlt_f32_e32 vcc, s59, v13
	v_mul_f32_e32 v23, 0x3fb8aa3b, v18
	v_mov_b32_e32 v22, s57
	v_cndmask_b32_e32 v157, v150, v24, vcc
	v_ldexp_f32 v13, v158, v27
	v_fma_f32 v24, v18, s42, -v23
	v_rndne_f32_e32 v27, v23
	v_fmac_f32_e32 v24, 0x32a5705f, v18
	v_sub_f32_e32 v23, v23, v27
	v_add_f32_e32 v23, v23, v24
	v_exp_f32_e32 v23, v23
	v_cvt_i32_f32_e32 v24, v27
	v_cmp_ngt_f32_e32 vcc, s58, v25
	v_cndmask_b32_e64 v22, v22, v157, s[16:17]
	s_add_i32 s64, s64, 1
	v_cndmask_b32_e32 v13, 0, v13, vcc
	v_cmp_nlt_f32_e32 vcc, s59, v25
	s_add_i32 s46, s46, 64
	s_waitcnt vmcnt(0) lgkmcnt(0)
	ds_write_b128 v137, v[164:167]
	v_cndmask_b32_e32 v158, v150, v13, vcc
	v_ldexp_f32 v13, v23, v24
	v_mul_f32_e32 v23, 0x3fb8aa3b, v19
	v_fma_f32 v24, v19, s42, -v23
	v_rndne_f32_e32 v25, v23
	v_fmac_f32_e32 v24, 0x32a5705f, v19
	v_sub_f32_e32 v23, v23, v25
	v_add_f32_e32 v23, v23, v24
	v_exp_f32_e32 v23, v23
	v_cvt_i32_f32_e32 v24, v25
	v_cmp_ngt_f32_e32 vcc, s58, v18
	s_nop 1
	v_cndmask_b32_e32 v13, 0, v13, vcc
	v_cmp_nlt_f32_e32 vcc, s59, v18
	v_mov_b32_e32 v18, s57
	s_nop 0
	v_cndmask_b32_e32 v159, v150, v13, vcc
	v_ldexp_f32 v13, v23, v24
	v_mul_f32_e32 v23, 0x3fb8aa3b, v20
	v_fma_f32 v24, v20, s42, -v23
	v_rndne_f32_e32 v25, v23
	v_fmac_f32_e32 v24, 0x32a5705f, v20
	v_sub_f32_e32 v23, v23, v25
	v_add_f32_e32 v23, v23, v24
	v_exp_f32_e32 v23, v23
	v_cvt_i32_f32_e32 v24, v25
	v_cmp_ngt_f32_e32 vcc, s58, v19
	v_cndmask_b32_e64 v18, v18, v159, s[20:21]
	s_nop 0
	v_cndmask_b32_e32 v13, 0, v13, vcc
	v_cmp_nlt_f32_e32 vcc, s59, v19
	v_ldexp_f32 v19, v23, v24
	v_mul_f32_e32 v23, 0x3fb8aa3b, v21
	v_fma_f32 v24, v21, s42, -v23
	v_rndne_f32_e32 v25, v23
	v_fmac_f32_e32 v24, 0x32a5705f, v21
	v_sub_f32_e32 v23, v23, v25
	v_add_f32_e32 v23, v23, v24
	v_exp_f32_e32 v23, v23
	v_cvt_i32_f32_e32 v24, v25
	v_cndmask_b32_e32 v161, v150, v13, vcc
	v_cmp_ngt_f32_e32 vcc, s58, v20
	v_mov_b32_e32 v13, s57
	v_cndmask_b32_e64 v13, v13, v161, s[22:23]
	v_cndmask_b32_e32 v19, 0, v19, vcc
	v_cmp_nlt_f32_e32 vcc, s59, v20
	v_mov_b32_e32 v20, s57
	s_nop 0
	v_cndmask_b32_e32 v162, v150, v19, vcc
	v_ldexp_f32 v19, v23, v24
	v_lshl_add_u64 v[24:25], v[36:37], 2, s[36:37]
	v_lshl_add_u64 v[24:25], v[24:25], 0, v[46:47]
	v_cndmask_b32_e64 v25, v163, v25, s[8:9]
	v_cndmask_b32_e64 v24, v149, v24, s[8:9]
	flat_load_dwordx4 v[174:177], v[24:25]
	v_cmp_ngt_f32_e32 vcc, s58, v21
	v_cndmask_b32_e64 v20, v20, v162, s[24:25]
	s_waitcnt vmcnt(0) lgkmcnt(0)
	ds_write_b128 v138, v[174:177]
	v_cndmask_b32_e32 v19, 0, v19, vcc
	v_cmp_nlt_f32_e32 vcc, s59, v21
	s_waitcnt lgkmcnt(0)
	s_barrier
	v_cndmask_b32_e32 v160, v150, v19, vcc
	v_mul_f32_e32 v19, 0x3fb8aa3b, v14
	v_fma_f32 v21, v14, s42, -v19
	v_rndne_f32_e32 v23, v19
	v_fmac_f32_e32 v21, 0x32a5705f, v14
	v_sub_f32_e32 v19, v19, v23
	v_add_f32_e32 v19, v19, v21
	v_exp_f32_e32 v19, v19
	v_cvt_i32_f32_e32 v21, v23
	v_cmp_ngt_f32_e32 vcc, s58, v14
	v_ldexp_f32 v19, v19, v21
	v_mul_f32_e32 v21, 0x3fb8aa3b, v15
	v_fma_f32 v23, v15, s42, -v21
	v_rndne_f32_e32 v24, v21
	v_fmac_f32_e32 v23, 0x32a5705f, v15
	v_sub_f32_e32 v21, v21, v24
	v_add_f32_e32 v21, v21, v23
	v_exp_f32_e32 v21, v21
	v_cvt_i32_f32_e32 v23, v24
	v_cndmask_b32_e32 v19, 0, v19, vcc
	v_cmp_nlt_f32_e32 vcc, s59, v14
	v_mov_b32_e32 v14, s57
	s_nop 0
	v_cndmask_b32_e32 v163, v150, v19, vcc
	v_ldexp_f32 v19, v21, v23
	v_mul_f32_e32 v21, 0x3fb8aa3b, v16
	v_fma_f32 v23, v16, s42, -v21
	v_rndne_f32_e32 v24, v21
	v_fmac_f32_e32 v23, 0x32a5705f, v16
	v_sub_f32_e32 v21, v21, v24
	v_add_f32_e32 v21, v21, v23
	v_exp_f32_e32 v21, v21
	v_cvt_i32_f32_e32 v23, v24
	v_cmp_ngt_f32_e32 vcc, s58, v15
	v_cndmask_b32_e64 v14, v14, v163, s[0:1]
	s_nop 0
	v_cndmask_b32_e32 v19, 0, v19, vcc
	v_cmp_nlt_f32_e32 vcc, s59, v15
	v_mov_b32_e32 v15, s57
	s_nop 0
	v_cndmask_b32_e32 v165, v150, v19, vcc
	v_ldexp_f32 v19, v21, v23
	v_cmp_ngt_f32_e32 vcc, s58, v16
	v_sub_f32_e32 v23, v26, v41
	v_cndmask_b32_e64 v15, v15, v165, s[28:29]
	v_cndmask_b32_e32 v19, 0, v19, vcc
	v_cmp_nlt_f32_e32 vcc, s59, v16
	v_mul_f32_e32 v16, 0x3fb8aa3b, v17
	v_rndne_f32_e32 v21, v16
	v_cndmask_b32_e32 v164, v150, v19, vcc
	v_fma_f32 v19, v17, s42, -v16
	v_fmac_f32_e32 v19, 0x32a5705f, v17
	v_sub_f32_e32 v16, v16, v21
	v_add_f32_e32 v16, v16, v19
	v_exp_f32_e32 v19, v16
	v_mul_f32_e32 v16, 0x3fb8aa3b, v23
	v_fma_f32 v24, v23, s42, -v16
	v_rndne_f32_e32 v25, v16
	v_fmac_f32_e32 v24, 0x32a5705f, v23
	v_sub_f32_e32 v16, v16, v25
	v_add_f32_e32 v16, v16, v24
	v_cvt_i32_f32_e32 v21, v21
	v_exp_f32_e32 v24, v16
	v_cvt_i32_f32_e32 v25, v25
	v_cmp_ngt_f32_e32 vcc, s58, v23
	v_ldexp_f32 v19, v19, v21
	v_mov_b32_e32 v16, s57
	v_ldexp_f32 v21, v24, v25
	v_cndmask_b32_e32 v21, 0, v21, vcc
	v_cmp_nlt_f32_e32 vcc, s59, v23
	v_cndmask_b32_e64 v16, v16, v164, s[30:31]
	s_nop 0
	v_cndmask_b32_e32 v21, v150, v21, vcc
	v_cmp_le_f32_e32 vcc, s60, v23
	v_mov_b32_e32 v23, s57
	v_cndmask_b32_e64 v23, v23, v154, s[10:11]
	v_cndmask_b32_e32 v166, 0, v21, vcc
	v_cvt_f16_f32_e32 v21, v166
	v_cmp_ngt_f32_e32 vcc, s58, v17
	v_mul_u32_u24_e32 v168, 0x10001, v21
	v_pk_mul_f16 v25, v114, v168
	v_pk_mul_f16 v27, v113, v168
	;; [unrolled: 1-line block ×4, first 2 shown]
	ds_read_u16 v90, v144
	ds_read_u16 v169, v144 offset:32
	ds_read_u16 v176, v144 offset:2816
	;; [unrolled: 1-line block ×7, first 2 shown]
	ds_read_u16 v91, v145
	ds_read_u16 v185, v145 offset:32
	ds_read_u16 v186, v145 offset:64
	ds_read_u16 v187, v145 offset:96
	ds_read_u16 v188, v144 offset:8576
	s_waitcnt lgkmcnt(4)
	v_perm_b32 v175, v91, v90, s61
	ds_read_u16 v90, v143 offset:176
	ds_read_u16 v91, v143
	ds_read_u16 v189, v143 offset:32
	ds_read_u16 v190, v143 offset:208
	;; [unrolled: 1-line block ×6, first 2 shown]
	s_waitcnt lgkmcnt(6)
	v_perm_b32 v174, v90, v91, s61
	v_cvt_f32_f16_e32 v24, v25
	v_cvt_f32_f16_sdwa v25, v25 dst_sel:DWORD dst_unused:UNUSED_PAD src0_sel:WORD_1
	v_cvt_f32_f16_e32 v26, v27
	v_cvt_f32_f16_sdwa v27, v27 dst_sel:DWORD dst_unused:UNUSED_PAD src0_sel:WORD_1
	v_cvt_pk_f16_f32 v91, v10, v23
	v_cvt_pk_f16_f32 v90, v8, v9
	v_mov_b32_e32 v21, s57
	v_cndmask_b32_e32 v19, 0, v19, vcc
	v_mfma_f32_16x16x16_f16 v[24:27], v[174:175], v[90:91], v[24:27]
	v_cvt_pk_f16_f32 v174, v12, v11
	v_cmp_nlt_f32_e32 vcc, s59, v17
	v_mov_b32_e32 v17, s57
	s_nop 0
	v_cndmask_b32_e32 v167, v150, v19, vcc
	s_nop 2
	v_cvt_f16_f32_e32 v8, v24
	v_cvt_f16_f32_e32 v9, v25
	;; [unrolled: 1-line block ×4, first 2 shown]
	v_cvt_f32_f16_e32 v24, v8
	ds_read_u16 v8, v145 offset:2816
	ds_read_u16 v177, v145 offset:5632
	;; [unrolled: 1-line block ×8, first 2 shown]
	v_cvt_f32_f16_e32 v25, v9
	v_cvt_f32_f16_e32 v26, v10
	s_waitcnt lgkmcnt(7)
	v_perm_b32 v9, v8, v176, s61
	ds_read_u16 v8, v143 offset:2816
	ds_read_u16 v10, v143 offset:2992
	;; [unrolled: 1-line block ×7, first 2 shown]
	s_waitcnt lgkmcnt(5)
	v_perm_b32 v8, v10, v8, s61
	v_cvt_f32_f16_e32 v27, v23
	v_cndmask_b32_e64 v10, v21, v158, s[18:19]
	v_cvt_pk_f16_f32 v175, v22, v10
	v_mov_b32_e32 v19, s57
	v_cvt_pk_f16_f32 v176, v18, v13
	v_mfma_f32_16x16x16_f16 v[8:11], v[8:9], v[174:175], v[24:27]
	ds_read_u16 v12, v144 offset:5632
	ds_read_u16 v21, v144 offset:8448
	s_nop 0
	ds_read_u16 v24, v144 offset:5664
	ds_read_u16 v25, v144 offset:5696
	;; [unrolled: 1-line block ×5, first 2 shown]
	s_waitcnt lgkmcnt(6)
	v_perm_b32 v23, v177, v12, s61
	ds_read_u16 v12, v143 offset:5632
	ds_read_u16 v27, v143 offset:5664
	;; [unrolled: 1-line block ×13, first 2 shown]
	v_cvt_f16_f32_e32 v8, v8
	v_cvt_f16_f32_e32 v9, v9
	;; [unrolled: 1-line block ×4, first 2 shown]
	s_waitcnt lgkmcnt(7)
	v_perm_b32 v22, v22, v12, s61
	v_cvt_f32_f16_e32 v8, v8
	v_cvt_f32_f16_e32 v9, v9
	;; [unrolled: 1-line block ×4, first 2 shown]
	v_cndmask_b32_e64 v12, v19, v160, s[26:27]
	v_cvt_pk_f16_f32 v177, v20, v12
	v_cndmask_b32_e64 v17, v17, v167, s[34:35]
	v_cvt_pk_f16_f32 v179, v16, v17
	v_mfma_f32_16x16x16_f16 v[8:11], v[22:23], v[176:177], v[8:11]
	ds_read_u16 v12, v145 offset:8448
	ds_read_u16 v18, v145 offset:8480
	;; [unrolled: 1-line block ×6, first 2 shown]
	s_waitcnt lgkmcnt(5)
	v_perm_b32 v13, v12, v21, s61
	ds_read_u16 v12, v143 offset:8624
	ds_read_u16 v19, v143 offset:8656
	;; [unrolled: 1-line block ×6, first 2 shown]
	v_cvt_f16_f32_e32 v8, v8
	v_cvt_f16_f32_e32 v9, v9
	;; [unrolled: 1-line block ×4, first 2 shown]
	s_waitcnt lgkmcnt(5)
	v_perm_b32 v12, v12, v178, s61
	v_cvt_f32_f16_e32 v8, v8
	v_cvt_f32_f16_e32 v9, v9
	;; [unrolled: 1-line block ×4, first 2 shown]
	v_cvt_pk_f16_f32 v178, v14, v15
	v_perm_b32 v17, v185, v169, s61
	v_perm_b32 v16, v190, v189, s61
	v_mfma_f32_16x16x16_f16 v[8:11], v[12:13], v[178:179], v[8:11]
	v_cvt_f32_f16_e32 v12, v114
	v_cvt_f32_f16_sdwa v13, v114 dst_sel:DWORD dst_unused:UNUSED_PAD src0_sel:WORD_1
	v_cvt_f32_f16_e32 v14, v113
	v_cvt_f32_f16_sdwa v15, v113 dst_sel:DWORD dst_unused:UNUSED_PAD src0_sel:WORD_1
	ds_read_u16 v20, v143 offset:3024
	ds_read_u16 v113, v143 offset:3056
	;; [unrolled: 1-line block ×3, first 2 shown]
	v_mfma_f32_16x16x16_f16 v[12:15], v[16:17], v[90:91], v[12:15]
	v_perm_b32 v17, v195, v180, s61
	s_waitcnt lgkmcnt(2)
	v_perm_b32 v16, v20, v201, s61
	ds_read_u16 v169, v143 offset:272
	s_nop 3
	v_cvt_f16_f32_e32 v12, v12
	v_cvt_f16_f32_e32 v13, v13
	;; [unrolled: 1-line block ×4, first 2 shown]
	v_cvt_f32_f16_e32 v12, v12
	v_cvt_f32_f16_e32 v13, v13
	;; [unrolled: 1-line block ×4, first 2 shown]
	v_perm_b32 v21, v186, v181, s61
	v_cmp_lt_i32_e32 vcc, s64, v117
	v_mfma_f32_16x16x16_f16 v[12:15], v[16:17], v[174:175], v[12:15]
	v_perm_b32 v17, v196, v24, s61
	v_perm_b32 v16, v211, v27, s61
	ds_read_u16 v20, v144 offset:8480
	ds_read_u16 v24, v144 offset:8512
	;; [unrolled: 1-line block ×3, first 2 shown]
	s_nop 2
	v_cvt_f16_f32_e32 v12, v12
	v_cvt_f16_f32_e32 v13, v13
	;; [unrolled: 1-line block ×4, first 2 shown]
	v_cvt_f32_f16_e32 v12, v12
	v_cvt_f32_f16_e32 v13, v13
	;; [unrolled: 1-line block ×4, first 2 shown]
	ds_read_u16 v180, v144 offset:2912
	s_and_b64 vcc, exec, vcc
	v_mfma_f32_16x16x16_f16 v[12:15], v[16:17], v[176:177], v[12:15]
	s_waitcnt lgkmcnt(3)
	v_perm_b32 v17, v18, v20, s61
	v_perm_b32 v16, v19, v212, s61
	v_pk_mul_f16 v18, v104, v168
	v_pk_mul_f16 v19, v103, v168
	s_nop 2
	v_cvt_f16_f32_e32 v12, v12
	v_cvt_f16_f32_e32 v13, v13
	;; [unrolled: 1-line block ×4, first 2 shown]
	v_cvt_f32_f16_e32 v12, v12
	v_cvt_f32_f16_e32 v13, v13
	;; [unrolled: 1-line block ×4, first 2 shown]
	v_perm_b32 v20, v192, v191, s61
	ds_read_u16 v103, v145 offset:5696
	ds_read_u16 v104, v145 offset:5728
	;; [unrolled: 1-line block ×4, first 2 shown]
	v_mfma_f32_16x16x16_f16 v[12:15], v[16:17], v[178:179], v[12:15]
	v_cvt_f32_f16_e32 v16, v18
	v_cvt_f32_f16_sdwa v17, v18 dst_sel:DWORD dst_unused:UNUSED_PAD src0_sel:WORD_1
	v_cvt_f32_f16_e32 v18, v19
	v_cvt_f32_f16_sdwa v19, v19 dst_sel:DWORD dst_unused:UNUSED_PAD src0_sel:WORD_1
	s_waitcnt lgkmcnt(0)
	s_barrier
	v_mfma_f32_16x16x16_f16 v[16:19], v[20:21], v[90:91], v[16:19]
	v_perm_b32 v21, v197, v182, s61
	v_perm_b32 v20, v113, v202, s61
	v_add_f32_e32 v113, v116, v152
	v_add_f32_e32 v113, v113, v153
	s_nop 3
	v_cvt_f16_f32_e32 v16, v16
	v_cvt_f16_f32_e32 v17, v17
	;; [unrolled: 1-line block ×4, first 2 shown]
	v_cvt_f32_f16_e32 v16, v16
	v_cvt_f32_f16_e32 v17, v17
	;; [unrolled: 1-line block ×4, first 2 shown]
	v_add_f32_e32 v113, v113, v154
	s_nop 0
	v_mfma_f32_16x16x16_f16 v[16:19], v[20:21], v[174:175], v[16:19]
	v_perm_b32 v21, v103, v25, s61
	v_perm_b32 v20, v213, v208, s61
	v_cndmask_b32_e64 v25, 0, v113, s[10:11]
	v_add_f32_e32 v103, v155, v25
	s_nop 3
	v_cvt_f16_f32_e32 v16, v16
	v_cvt_f16_f32_e32 v17, v17
	;; [unrolled: 1-line block ×4, first 2 shown]
	v_cvt_f32_f16_e32 v16, v16
	v_cvt_f32_f16_e32 v17, v17
	;; [unrolled: 1-line block ×4, first 2 shown]
	v_cndmask_b32_e64 v103, v25, v103, s[12:13]
	v_perm_b32 v25, v187, v183, s61
	v_mfma_f32_16x16x16_f16 v[16:19], v[20:21], v[176:177], v[16:19]
	v_perm_b32 v21, v22, v24, s61
	v_perm_b32 v20, v23, v181, s61
	v_pk_mul_f16 v22, v102, v168
	v_pk_mul_f16 v23, v101, v168
	s_nop 3
	v_cvt_f16_f32_e32 v16, v16
	v_cvt_f16_f32_e32 v17, v17
	v_cvt_f16_f32_e32 v18, v18
	v_cvt_f16_f32_e32 v19, v19
	v_cvt_f32_f16_e32 v16, v16
	v_cvt_f32_f16_e32 v17, v17
	;; [unrolled: 1-line block ×4, first 2 shown]
	v_perm_b32 v24, v169, v193, s61
	v_add_f32_e32 v113, v156, v103
	v_mfma_f32_16x16x16_f16 v[16:19], v[20:21], v[178:179], v[16:19]
	v_cvt_f32_f16_e32 v20, v22
	v_cvt_f32_f16_sdwa v21, v22 dst_sel:DWORD dst_unused:UNUSED_PAD src0_sel:WORD_1
	v_cvt_f32_f16_e32 v22, v23
	v_cvt_f32_f16_sdwa v23, v23 dst_sel:DWORD dst_unused:UNUSED_PAD src0_sel:WORD_1
	v_cndmask_b32_e64 v101, v103, v113, s[14:15]
	v_add_f32_e32 v102, v157, v101
	v_mfma_f32_16x16x16_f16 v[20:23], v[24:25], v[90:91], v[20:23]
	v_perm_b32 v25, v198, v180, s61
	v_perm_b32 v24, v114, v203, s61
	v_cndmask_b32_e64 v101, v101, v102, s[16:17]
	v_add_f32_e32 v102, v158, v101
	s_nop 3
	v_cvt_f16_f32_e32 v20, v20
	v_cvt_f16_f32_e32 v21, v21
	;; [unrolled: 1-line block ×4, first 2 shown]
	v_cvt_f32_f16_e32 v20, v20
	v_cvt_f32_f16_e32 v21, v21
	;; [unrolled: 1-line block ×4, first 2 shown]
	v_cndmask_b32_e64 v101, v101, v102, s[18:19]
	v_add_f32_e32 v102, v159, v101
	v_mfma_f32_16x16x16_f16 v[20:23], v[24:25], v[174:175], v[20:23]
	v_perm_b32 v25, v104, v26, s61
	v_perm_b32 v24, v214, v209, s61
	v_cndmask_b32_e64 v26, v101, v102, s[20:21]
	v_add_f32_e32 v101, v161, v26
	s_nop 3
	v_cvt_f16_f32_e32 v20, v20
	v_cvt_f16_f32_e32 v21, v21
	;; [unrolled: 1-line block ×4, first 2 shown]
	v_cvt_f32_f16_e32 v20, v20
	v_cvt_f32_f16_e32 v21, v21
	;; [unrolled: 1-line block ×4, first 2 shown]
	v_cndmask_b32_e64 v102, v26, v101, s[22:23]
	v_pk_mul_f16 v26, v100, v168
	v_mfma_f32_16x16x16_f16 v[20:23], v[24:25], v[176:177], v[20:23]
	v_perm_b32 v25, v217, v27, s61
	v_perm_b32 v24, v220, v185, s61
	v_pk_mul_f16 v27, v99, v168
	v_perm_b32 v101, v200, v184, s61
	s_nop 3
	v_cvt_f16_f32_e32 v20, v20
	v_cvt_f16_f32_e32 v21, v21
	;; [unrolled: 1-line block ×4, first 2 shown]
	v_cvt_f32_f16_e32 v20, v20
	v_cvt_f32_f16_e32 v21, v21
	;; [unrolled: 1-line block ×4, first 2 shown]
	v_perm_b32 v100, v205, v194, s61
	v_add_f32_e32 v103, v162, v102
	v_mfma_f32_16x16x16_f16 v[20:23], v[24:25], v[178:179], v[20:23]
	v_cvt_f32_f16_e32 v24, v26
	v_cvt_f32_f16_sdwa v25, v26 dst_sel:DWORD dst_unused:UNUSED_PAD src0_sel:WORD_1
	v_cvt_f32_f16_e32 v26, v27
	v_cvt_f32_f16_sdwa v27, v27 dst_sel:DWORD dst_unused:UNUSED_PAD src0_sel:WORD_1
	v_cndmask_b32_e64 v99, v102, v103, s[24:25]
	v_add_f32_e32 v102, v160, v99
	v_mfma_f32_16x16x16_f16 v[24:27], v[100:101], v[90:91], v[24:27]
	v_perm_b32 v91, v199, v207, s61
	v_perm_b32 v90, v210, v204, s61
	v_cndmask_b32_e64 v99, v99, v102, s[26:27]
	v_add_f32_e32 v100, v163, v99
	s_nop 3
	v_cvt_f16_f32_e32 v24, v24
	v_cvt_f16_f32_e32 v25, v25
	;; [unrolled: 1-line block ×4, first 2 shown]
	v_cvt_f32_f16_e32 v24, v24
	v_cvt_f32_f16_e32 v25, v25
	v_cvt_f32_f16_e32 v26, v26
	v_cvt_f32_f16_e32 v27, v27
	v_cndmask_b32_e64 v99, v99, v100, s[0:1]
	v_add_f32_e32 v100, v165, v99
	v_mfma_f32_16x16x16_f16 v[24:27], v[90:91], v[174:175], v[24:27]
	v_perm_b32 v91, v219, v206, s61
	v_perm_b32 v90, v215, v216, s61
	v_cndmask_b32_e64 v99, v99, v100, s[28:29]
	v_add_f32_e32 v100, v164, v99
	s_nop 3
	v_cvt_f16_f32_e32 v24, v24
	v_cvt_f16_f32_e32 v25, v25
	;; [unrolled: 1-line block ×4, first 2 shown]
	v_cvt_f32_f16_e32 v24, v24
	v_cvt_f32_f16_e32 v25, v25
	;; [unrolled: 1-line block ×4, first 2 shown]
	v_cndmask_b32_e64 v99, v99, v100, s[30:31]
	v_add_f32_e32 v100, v167, v99
	v_mfma_f32_16x16x16_f16 v[24:27], v[90:91], v[176:177], v[24:27]
	v_perm_b32 v91, v218, v188, s61
	v_perm_b32 v90, v221, v222, s61
	v_cndmask_b32_e64 v116, v99, v100, s[34:35]
	v_fmac_f32_e32 v116, v151, v166
	s_nop 3
	v_cvt_f16_f32_e32 v24, v24
	v_cvt_f16_f32_e32 v25, v25
	;; [unrolled: 1-line block ×4, first 2 shown]
	v_cvt_f32_f16_e32 v24, v24
	v_cvt_f32_f16_e32 v25, v25
	v_cvt_f32_f16_e32 v26, v26
	v_cvt_f32_f16_e32 v27, v27
	v_cvt_pk_f16_f32 v114, v8, v9
	v_cvt_pk_f16_f32 v113, v10, v11
	v_mfma_f32_16x16x16_f16 v[24:27], v[90:91], v[178:179], v[24:27]
	v_cvt_pk_f16_f32 v91, v12, v13
	v_cvt_pk_f16_f32 v90, v14, v15
	;; [unrolled: 1-line block ×6, first 2 shown]
	s_nop 1
	v_cvt_pk_f16_f32 v100, v24, v25
	v_cvt_pk_f16_f32 v99, v26, v27
	s_cbranch_vccz .LBB9_367
; %bb.365:                              ;   in Loop: Header=BB9_348 Depth=1
	v_mov_b32_e32 v151, v116
	v_mov_b32_e32 v26, v41
	s_branch .LBB9_348
.LBB9_366:
	v_mov_b32_e32 v41, 0xfeffffff
	v_mov_b32_e32 v116, 0
	;; [unrolled: 1-line block ×12, first 2 shown]
.LBB9_367:
	s_lshl_b32 s42, s64, 6
	v_readlane_b32 s0, v254, 4
	s_sub_i32 s46, s0, s42
	v_readlane_b32 s1, v254, 5
	s_cmp_lg_u64 s[40:41], 0
	s_cselect_b64 s[0:1], -1, 0
	s_ashr_i32 s43, s42, 31
	s_cmp_eq_u64 s[40:41], 0
	v_readlane_b32 s47, v254, 12
	v_readlane_b32 s52, v254, 15
	s_cbranch_scc1 .LBB9_401
; %bb.368:
	s_lshl_b64 s[4:5], s[42:43], 1
	s_add_u32 s4, s40, s4
	s_addc_u32 s5, s41, s5
	v_mov_b32_e32 v45, 0
	v_cmp_gt_i32_e32 vcc, s46, v97
	v_lshl_add_u64 v[8:9], s[4:5], 0, v[44:45]
	v_mov_b32_e32 v11, 0
	s_and_saveexec_b64 s[4:5], vcc
	v_readlane_b32 s8, v254, 52
	v_readlane_b32 s9, v254, 53
	s_cbranch_execz .LBB9_370
; %bb.369:
	v_add_u32_e32 v10, s50, v128
	v_mul_hi_u32 v11, s48, v10
	v_add_u32_e32 v11, v10, v11
	v_lshrrev_b32_e32 v11, s49, v11
	v_mul_lo_u32 v11, v11, s96
	v_sub_u32_e32 v10, v10, v11
	v_mad_i64_i32 v[10:11], s[6:7], v10, s8, 0
	v_lshl_add_u64 v[10:11], v[10:11], 1, v[8:9]
	global_load_ushort v11, v[10:11], off
.LBB9_370:
	s_or_b64 exec, exec, s[4:5]
	s_movk_i32 s4, 0x90
	v_mad_u32_u24 v10, v128, s4, 0
	v_lshl_add_u32 v12, v97, 1, v10
	s_waitcnt vmcnt(0)
	ds_write_b16 v12, v11 offset:11264
	s_and_saveexec_b64 s[4:5], vcc
	s_cbranch_execz .LBB9_372
; %bb.371:
	v_add3_u32 v11, v128, s50, 4
	v_mul_hi_u32 v12, s48, v11
	v_add_u32_e32 v12, v11, v12
	v_lshrrev_b32_e32 v12, s49, v12
	v_mul_lo_u32 v12, v12, s96
	v_sub_u32_e32 v11, v11, v12
	v_mad_i64_i32 v[12:13], s[6:7], v11, s8, 0
	v_lshl_add_u64 v[12:13], v[12:13], 1, v[8:9]
	global_load_ushort v45, v[12:13], off
.LBB9_372:
	s_or_b64 exec, exec, s[4:5]
	v_add_u32_e32 v11, 0x240, v10
	v_lshl_add_u32 v10, v97, 1, v11
	s_waitcnt vmcnt(0)
	ds_write_b16 v10, v45 offset:11264
	v_mov_b32_e32 v10, 0
	v_mov_b32_e32 v12, 0
	s_and_saveexec_b64 s[4:5], vcc
	s_cbranch_execz .LBB9_374
; %bb.373:
	v_add3_u32 v12, v128, s50, 8
	v_mul_hi_u32 v13, s48, v12
	v_add_u32_e32 v13, v12, v13
	v_lshrrev_b32_e32 v13, s49, v13
	v_mul_lo_u32 v13, v13, s96
	v_sub_u32_e32 v12, v12, v13
	v_mad_i64_i32 v[12:13], s[6:7], v12, s8, 0
	v_lshl_add_u64 v[12:13], v[12:13], 1, v[8:9]
	global_load_ushort v12, v[12:13], off
.LBB9_374:
	s_or_b64 exec, exec, s[4:5]
	v_add_u32_e32 v11, 0x240, v11
	v_lshl_add_u32 v13, v97, 1, v11
	s_waitcnt vmcnt(0)
	ds_write_b16 v13, v12 offset:11264
	s_and_saveexec_b64 s[4:5], vcc
	s_cbranch_execz .LBB9_376
; %bb.375:
	v_add3_u32 v10, v128, s50, 12
	v_mul_hi_u32 v12, s48, v10
	v_add_u32_e32 v12, v10, v12
	v_lshrrev_b32_e32 v12, s49, v12
	v_mul_lo_u32 v12, v12, s96
	v_sub_u32_e32 v10, v10, v12
	v_mad_i64_i32 v[12:13], s[6:7], v10, s8, 0
	v_lshl_add_u64 v[12:13], v[12:13], 1, v[8:9]
	global_load_ushort v10, v[12:13], off
.LBB9_376:
	s_or_b64 exec, exec, s[4:5]
	v_add_u32_e32 v11, 0x240, v11
	v_lshl_add_u32 v12, v97, 1, v11
	s_waitcnt vmcnt(0)
	ds_write_b16 v12, v10 offset:11264
	v_mov_b32_e32 v10, 0
	v_mov_b32_e32 v12, 0
	s_and_saveexec_b64 s[4:5], vcc
	s_cbranch_execz .LBB9_378
; %bb.377:
	v_add3_u32 v12, v128, s50, 16
	v_mul_hi_u32 v13, s48, v12
	v_add_u32_e32 v13, v12, v13
	v_lshrrev_b32_e32 v13, s49, v13
	v_mul_lo_u32 v13, v13, s96
	v_sub_u32_e32 v12, v12, v13
	v_mad_i64_i32 v[12:13], s[6:7], v12, s8, 0
	v_lshl_add_u64 v[12:13], v[12:13], 1, v[8:9]
	global_load_ushort v12, v[12:13], off
.LBB9_378:
	s_or_b64 exec, exec, s[4:5]
	v_add_u32_e32 v11, 0x240, v11
	;; [unrolled: 38-line block ×7, first 2 shown]
	v_lshl_add_u32 v11, v97, 1, v11
	s_waitcnt vmcnt(0)
	ds_write_b16 v11, v12 offset:11264
	s_and_saveexec_b64 s[4:5], vcc
	s_cbranch_execz .LBB9_400
; %bb.399:
	v_add3_u32 v10, v128, s50, 60
	v_mul_hi_u32 v12, s48, v10
	v_add_u32_e32 v12, v10, v12
	v_lshrrev_b32_e32 v12, s49, v12
	v_mul_lo_u32 v12, v12, s96
	v_sub_u32_e32 v10, v10, v12
	v_mad_i64_i32 v[12:13], s[6:7], v10, s8, 0
	v_lshl_add_u64 v[8:9], v[12:13], 1, v[8:9]
	global_load_ushort v10, v[8:9], off
.LBB9_400:
	s_or_b64 exec, exec, s[4:5]
	s_waitcnt vmcnt(0)
	ds_write_b16 v11, v10 offset:11840
.LBB9_401:
	s_mul_hi_i32 s5, s42, s98
	s_mul_i32 s4, s42, s98
	s_lshl_b64 s[4:5], s[4:5], 2
	s_add_u32 s4, s51, s4
	v_lshl_add_u32 v46, v128, 5, v115
	v_mov_b32_e32 v8, 0
	s_mov_b64 s[6:7], src_private_base
	s_addc_u32 s5, s56, s5
	v_cmp_gt_u32_e64 s[34:35], 64, v46
	v_mov_b32_e32 v9, v8
	v_mov_b32_e32 v10, v8
	;; [unrolled: 1-line block ×3, first 2 shown]
	scratch_store_dwordx4 off, v[8:11], off
	s_and_saveexec_b64 s[8:9], s[34:35]
	s_cbranch_execz .LBB9_403
; %bb.402:
	v_mul_lo_u32 v10, s98, v46
	v_ashrrev_i32_e32 v11, 31, v10
	v_and_b32_e32 v9, 4, v107
	v_lshl_add_u64 v[10:11], v[10:11], 2, s[4:5]
	v_lshlrev_b32_e32 v14, 2, v9
	v_mov_b32_e32 v15, v8
	v_lshl_add_u64 v[10:11], v[10:11], 0, v[14:15]
	s_mov_b64 s[10:11], 0x80
	v_lshl_add_u64 v[10:11], v[10:11], 0, s[10:11]
	v_mov_b32_e32 v9, s7
	v_cmp_gt_i32_e32 vcc, s46, v46
	s_nop 1
	v_cndmask_b32_e32 v11, v9, v11, vcc
	v_mov_b32_e32 v9, 0
	v_cndmask_b32_e32 v10, v9, v10, vcc
	flat_load_dwordx4 v[10:13], v[10:11]
	v_mul_u32_u24_e32 v9, 0xb0, v46
	v_add3_u32 v9, 0, v9, v14
	s_waitcnt vmcnt(0) lgkmcnt(0)
	ds_write_b128 v9, v[10:13] offset:128
.LBB9_403:
	s_or_b64 exec, exec, s[8:9]
	v_and_b32_e32 v9, 28, v107
	v_lshlrev_b32_e32 v44, 2, v9
	v_lshl_add_u64 v[10:11], v[42:43], 2, s[4:5]
	v_mov_b32_e32 v45, v8
	v_lshl_add_u64 v[8:9], v[10:11], 0, v[44:45]
	v_mov_b32_e32 v14, s7
	v_cmp_gt_i32_e64 s[30:31], s46, v95
	v_mov_b32_e32 v15, 0
	v_ashrrev_i32_e32 v31, 31, v30
	v_cndmask_b32_e64 v9, v14, v9, s[30:31]
	v_cndmask_b32_e64 v8, v15, v8, s[30:31]
	flat_load_dwordx4 v[8:11], v[8:9]
	v_mul_u32_u24_e32 v42, 0xb0, v95
	v_lshl_add_u64 v[12:13], v[30:31], 2, s[4:5]
	v_add3_u32 v43, 0, v42, v44
	v_lshl_add_u64 v[12:13], v[12:13], 0, v[44:45]
	v_cmp_gt_i32_e64 s[28:29], s46, v109
	v_add3_u32 v30, 0, v112, v35
	v_add_u32_e32 v31, 0x800, v30
	v_cndmask_b32_e64 v13, v14, v13, s[28:29]
	v_cndmask_b32_e64 v12, v15, v12, s[28:29]
	v_add_u32_e32 v45, 0x1000, v30
	v_add_u32_e32 v47, 0x2000, v30
	v_readlane_b32 s4, v254, 30
	v_readlane_b32 s18, v254, 44
	;; [unrolled: 1-line block ×3, first 2 shown]
	s_and_b64 vcc, exec, s[0:1]
	s_mov_b64 s[50:51], s[18:19]
	v_readlane_b32 s5, v254, 31
	v_readlane_b32 s6, v254, 32
	;; [unrolled: 1-line block ×13, first 2 shown]
	s_waitcnt vmcnt(0) lgkmcnt(0)
	ds_write_b128 v43, v[8:11]
	flat_load_dwordx4 v[8:11], v[12:13]
	s_waitcnt vmcnt(0) lgkmcnt(0)
	ds_write_b128 v43, v[8:11] offset:5632
	s_waitcnt lgkmcnt(0)
	s_barrier
	ds_read2_b64 v[8:11], v30 offset1:4
	ds_read2_b64 v[16:19], v31 offset0:96 offset1:100
	ds_read2_b64 v[24:27], v45 offset0:192 offset1:196
	;; [unrolled: 1-line block ×3, first 2 shown]
	s_waitcnt lgkmcnt(3)
	v_mfma_f32_16x16x16_f16 v[12:15], v[8:9], v[4:5], 0
	s_waitcnt lgkmcnt(2)
	v_mfma_f32_16x16x16_f16 v[20:23], v[16:17], v[4:5], 0
	;; [unrolled: 2-line block ×4, first 2 shown]
	v_mfma_f32_16x16x16_f16 v[8:11], v[10:11], v[6:7], v[12:15]
	v_mfma_f32_16x16x16_f16 v[12:15], v[18:19], v[6:7], v[20:23]
	;; [unrolled: 1-line block ×3, first 2 shown]
	ds_read2_b64 v[24:27], v31 offset0:104 offset1:108
	s_nop 0
	ds_read2_b64 v[20:23], v30 offset0:8 offset1:12
	ds_read2_b64 v[48:51], v45 offset0:200 offset1:204
	v_mfma_f32_16x16x16_f16 v[4:7], v[54:55], v[6:7], v[56:59]
	ds_read2_b64 v[52:55], v47 offset0:40 offset1:44
	v_and_b32_e32 v45, 0xfc, v108
	v_add_u32_e32 v47, 16, v45
	s_waitcnt lgkmcnt(3)
	v_mfma_f32_16x16x16_f16 v[12:15], v[24:25], v[0:1], v[12:15]
	s_waitcnt lgkmcnt(1)
	v_mfma_f32_16x16x16_f16 v[16:19], v[48:49], v[0:1], v[16:19]
	v_add_u32_e32 v48, 18, v45
	v_add_u32_e32 v49, 32, v45
	v_mfma_f32_16x16x16_f16 v[8:11], v[20:21], v[0:1], v[8:11]
	s_waitcnt lgkmcnt(0)
	v_mfma_f32_16x16x16_f16 v[4:7], v[52:53], v[0:1], v[4:7]
	v_add_u32_e32 v53, 50, v45
	v_mfma_f32_16x16x16_f16 v[12:15], v[26:27], v[2:3], v[12:15]
	v_mfma_f32_16x16x16_f16 v[24:27], v[50:51], v[2:3], v[16:19]
	v_add_u32_e32 v50, 34, v45
	v_add_u32_e32 v51, 48, v45
	s_nop 0
	ds_read_b64 v[16:17], v30 offset:128
	v_mfma_f32_16x16x16_f16 v[8:11], v[22:23], v[2:3], v[8:11]
	v_mfma_f32_16x16x16_f16 v[0:3], v[54:55], v[2:3], v[4:7]
	s_nop 2
	ds_read_b64 v[4:5], v30 offset:2944
	ds_read_b64 v[6:7], v30 offset:5760
	;; [unrolled: 1-line block ×3, first 2 shown]
	s_waitcnt lgkmcnt(0)
	s_barrier
	v_mfma_f32_16x16x16_f16 v[16:19], v[16:17], v[28:29], v[8:11]
	v_mfma_f32_16x16x16_f16 v[20:23], v[4:5], v[28:29], v[12:15]
	;; [unrolled: 1-line block ×4, first 2 shown]
	s_cbranch_vccz .LBB9_414
; %bb.404:
	s_movk_i32 s0, 0x90
	v_mad_u32_u24 v12, v111, s0, 0
	v_add_u32_e32 v1, v12, v110
	v_add_u32_e32 v54, 16, v45
	ds_read_b32 v3, v1 offset:11264
	v_lshlrev_b32_e32 v1, 1, v54
	s_movk_i32 s0, 0x2c00
	v_add_u32_e32 v52, 32, v45
	v_lshl_add_u32 v0, v45, 1, v12
	v_add3_u32 v1, v12, v1, s0
	v_lshlrev_b32_e32 v2, 1, v52
	v_add3_u32 v2, v12, v2, s0
	ds_read_b32 v5, v0 offset:11264
	ds_read2_b32 v[0:1], v1 offset1:1
	ds_read2_b32 v[8:9], v2 offset1:1
	v_add_u32_e32 v55, 48, v45
	s_waitcnt lgkmcnt(3)
	v_cvt_f32_f16_e32 v2, v3
	s_waitcnt lgkmcnt(2)
	v_cvt_f32_f16_e32 v4, v5
	v_cvt_f32_f16_sdwa v5, v5 dst_sel:DWORD dst_unused:UNUSED_PAD src0_sel:WORD_1
	s_waitcnt lgkmcnt(1)
	v_cvt_f32_f16_e32 v10, v0
	v_cvt_f32_f16_sdwa v11, v0 dst_sel:DWORD dst_unused:UNUSED_PAD src0_sel:WORD_1
	v_cvt_f32_f16_e32 v6, v1
	v_cvt_f32_f16_sdwa v7, v1 dst_sel:DWORD dst_unused:UNUSED_PAD src0_sel:WORD_1
	v_pk_fma_f32 v[0:1], v[40:41], v[4:5], v[16:17] op_sel_hi:[0,1,1]
	v_pk_fma_f32 v[4:5], v[40:41], v[10:11], v[20:21] op_sel_hi:[0,1,1]
	s_waitcnt lgkmcnt(0)
	v_cvt_f32_f16_e32 v10, v9
	v_cvt_f32_f16_sdwa v11, v9 dst_sel:DWORD dst_unused:UNUSED_PAD src0_sel:WORD_1
	v_lshlrev_b32_e32 v9, 1, v55
	v_add3_u32 v9, v12, v9, s0
	ds_read2_b32 v[12:13], v9 offset1:1
	v_cvt_f32_f16_sdwa v3, v3 dst_sel:DWORD dst_unused:UNUSED_PAD src0_sel:WORD_1
	v_cvt_f32_f16_e32 v60, v8
	v_cvt_f32_f16_sdwa v61, v8 dst_sel:DWORD dst_unused:UNUSED_PAD src0_sel:WORD_1
	v_pk_fma_f32 v[14:15], v[40:41], v[10:11], v[26:27] op_sel_hi:[0,1,1]
	s_waitcnt lgkmcnt(0)
	v_cvt_f32_f16_e32 v8, v12
	v_cvt_f32_f16_e32 v10, v13
	v_cvt_f32_f16_sdwa v11, v13 dst_sel:DWORD dst_unused:UNUSED_PAD src0_sel:WORD_1
	v_cvt_f32_f16_sdwa v9, v12 dst_sel:DWORD dst_unused:UNUSED_PAD src0_sel:WORD_1
	v_pk_fma_f32 v[2:3], v[40:41], v[2:3], v[18:19] op_sel_hi:[0,1,1]
	v_add_u32_e32 v57, 18, v45
	v_pk_fma_f32 v[6:7], v[40:41], v[6:7], v[22:23] op_sel_hi:[0,1,1]
	v_add_u32_e32 v58, 34, v45
	;; [unrolled: 2-line block ×3, first 2 shown]
	v_pk_fma_f32 v[10:11], v[40:41], v[10:11], v[30:31] op_sel_hi:[0,1,1]
	v_pk_fma_f32 v[8:9], v[40:41], v[8:9], v[28:29] op_sel_hi:[0,1,1]
	s_cbranch_execnz .LBB9_406
.LBB9_405:
	s_nop 5
	v_mov_b64_e32 v[8:9], v[28:29]
	v_mov_b64_e32 v[12:13], v[24:25]
	;; [unrolled: 1-line block ×4, first 2 shown]
	v_mov_b32_e32 v56, v53
	v_mov_b32_e32 v55, v51
	;; [unrolled: 1-line block ×6, first 2 shown]
	v_mov_b64_e32 v[10:11], v[30:31]
	v_mov_b64_e32 v[14:15], v[26:27]
	;; [unrolled: 1-line block ×4, first 2 shown]
.LBB9_406:
	v_add_f32_e32 v16, 0x40051340, v0
	v_max_f32_e32 v17, v41, v41
	v_max_f32_e32 v16, v17, v16
	v_cmp_gt_u32_e64 s[36:37], s46, v45
	v_or_b32_e32 v17, 1, v45
	v_add_f32_e32 v18, 0x40051340, v1
	v_cndmask_b32_e64 v16, v41, v16, s[36:37]
	v_max_f32_e32 v19, v16, v16
	v_max_f32_e32 v18, v19, v18
	v_cmp_gt_u32_e64 s[26:27], s46, v17
	v_or_b32_e32 v17, 2, v45
	v_cmp_gt_u32_e64 s[22:23], s46, v17
	v_cndmask_b32_e64 v16, v16, v18, s[26:27]
	v_add_f32_e32 v18, 0x40051340, v2
	v_max_f32_e32 v19, v16, v16
	v_max_f32_e32 v18, v19, v18
	v_cndmask_b32_e64 v16, v16, v18, s[22:23]
	v_or_b32_e32 v17, 3, v108
	v_add_f32_e32 v18, 0x40051340, v3
	v_max_f32_e32 v19, v16, v16
	v_max_f32_e32 v18, v19, v18
	v_cmp_gt_u32_e64 s[24:25], s46, v17
	v_add_f32_e32 v17, 0x40051340, v4
	v_cmp_gt_u32_e64 s[20:21], s46, v54
	v_cndmask_b32_e64 v16, v16, v18, s[24:25]
	v_max_f32_e32 v18, v16, v16
	v_max_f32_e32 v17, v18, v17
	v_cndmask_b32_e64 v16, v16, v17, s[20:21]
	v_add_u32_e32 v17, 17, v45
	v_add_f32_e32 v18, 0x40051340, v5
	v_max_f32_e32 v19, v16, v16
	v_max_f32_e32 v18, v19, v18
	v_cmp_gt_u32_e64 s[18:19], s46, v17
	v_add_f32_e32 v17, 0x40051340, v6
	v_cmp_gt_u32_e64 s[16:17], s46, v57
	v_cndmask_b32_e64 v16, v16, v18, s[18:19]
	v_max_f32_e32 v18, v16, v16
	v_max_f32_e32 v17, v18, v17
	v_cndmask_b32_e64 v16, v16, v17, s[16:17]
	v_add_u32_e32 v17, 19, v45
	;; [unrolled: 11-line block ×6, first 2 shown]
	v_add_f32_e32 v18, 0x40051340, v11
	v_max_f32_e32 v19, v16, v16
	v_max_f32_e32 v18, v19, v18
	v_cmp_gt_u32_e32 vcc, s46, v17
	v_mbcnt_hi_u32_b32 v17, -1, v129
	v_xor_b32_e32 v19, 32, v17
	v_cndmask_b32_e32 v16, v16, v18, vcc
	v_and_b32_e32 v18, 64, v17
	v_add_u32_e32 v18, 64, v18
	v_cmp_lt_i32_e64 s[40:41], v19, v18
	s_mov_b64 s[44:45], src_private_base
	v_add_u32_e32 v20, 0x1600, v43
	v_cndmask_b32_e64 v19, v17, v19, s[40:41]
	v_lshlrev_b32_e32 v23, 2, v19
	ds_bpermute_b32 v19, v23, v16
	v_max_f32_e32 v16, v16, v16
	s_waitcnt lgkmcnt(0)
	v_max_f32_e32 v19, v19, v19
	v_max_f32_e32 v21, v16, v19
	v_xor_b32_e32 v16, 16, v17
	v_cmp_lt_i32_e64 s[40:41], v16, v18
	s_nop 1
	v_cndmask_b32_e64 v16, v17, v16, s[40:41]
	v_lshlrev_b32_e32 v24, 2, v16
	ds_bpermute_b32 v22, v24, v21
	s_mul_hi_i32 s41, s42, s2
	s_mul_i32 s40, s42, s2
	s_lshl_b64 s[40:41], s[40:41], 2
	s_add_u32 s40, s3, s40
	v_mov_b32_e32 v16, 0
	s_addc_u32 s41, s33, s41
	s_mov_b32 s3, 0
	v_mov_b32_e32 v17, v16
	v_mov_b32_e32 v18, v16
	;; [unrolled: 1-line block ×3, first 2 shown]
	scratch_store_dwordx4 off, v[16:19], off
	s_and_saveexec_b64 s[42:43], s[34:35]
	s_cbranch_execz .LBB9_408
; %bb.407:
	v_mul_lo_u32 v26, s2, v46
	v_and_b32_e32 v17, 4, v107
	v_ashrrev_i32_e32 v27, 31, v26
	v_lshlrev_b32_e32 v18, 2, v17
	v_lshl_add_u64 v[26:27], v[26:27], 2, s[40:41]
	v_mov_b32_e32 v19, v16
	v_lshl_add_u64 v[26:27], v[26:27], 0, v[18:19]
	s_mov_b64 s[34:35], 0x80
	v_lshl_add_u64 v[26:27], v[26:27], 0, s[34:35]
	v_mov_b32_e32 v17, s45
	v_cmp_gt_i32_e64 s[34:35], s46, v46
	s_nop 1
	v_cndmask_b32_e64 v27, v17, v27, s[34:35]
	v_mov_b32_e32 v17, 0
	v_cndmask_b32_e64 v26, v17, v26, s[34:35]
	flat_load_dwordx4 v[26:29], v[26:27]
	v_mul_u32_u24_e32 v17, 0xb0, v46
	v_add3_u32 v17, 0, v17, v18
	s_waitcnt vmcnt(0) lgkmcnt(0)
	ds_write_b128 v17, v[26:29] offset:128
.LBB9_408:
	s_or_b64 exec, exec, s[42:43]
	s_waitcnt lgkmcnt(0)
	v_max_f32_e32 v17, v22, v22
	v_max_f32_e32 v18, v21, v21
	;; [unrolled: 1-line block ×3, first 2 shown]
	v_sub_f32_e32 v0, v0, v22
	s_mov_b32 s42, 0x3fb8aa3b
	v_mul_f32_e32 v17, 0x3fb8aa3b, v0
	v_fma_f32 v18, v0, s42, -v17
	v_rndne_f32_e32 v19, v17
	v_fmac_f32_e32 v18, 0x32a5705f, v0
	v_sub_f32_e32 v17, v17, v19
	v_sub_f32_e32 v1, v1, v22
	v_add_f32_e32 v17, v17, v18
	v_cvt_i32_f32_e32 v18, v19
	v_mul_f32_e32 v19, 0x3fb8aa3b, v1
	v_fma_f32 v21, v1, s42, -v19
	v_rndne_f32_e32 v25, v19
	v_exp_f32_e32 v17, v17
	v_fmac_f32_e32 v21, 0x32a5705f, v1
	v_sub_f32_e32 v19, v19, v25
	v_add_f32_e32 v19, v19, v21
	v_exp_f32_e32 v19, v19
	v_cvt_i32_f32_e32 v21, v25
	s_mov_b32 s2, 0xc2ce8ed0
	v_ldexp_f32 v17, v17, v18
	v_cmp_ngt_f32_e64 s[34:35], s2, v0
	s_mov_b32 s33, 0x42b17218
	v_sub_f32_e32 v2, v2, v22
	v_cndmask_b32_e64 v18, 0, v17, s[34:35]
	v_mov_b32_e32 v17, 0x7f800000
	v_cmp_nlt_f32_e64 s[34:35], s33, v0
	v_sub_f32_e32 v3, v3, v22
	v_sub_f32_e32 v4, v4, v22
	v_cndmask_b32_e64 v0, v17, v18, s[34:35]
	v_ldexp_f32 v18, v19, v21
	v_mul_f32_e32 v19, 0x3fb8aa3b, v2
	v_fma_f32 v21, v2, s42, -v19
	v_rndne_f32_e32 v25, v19
	v_fmac_f32_e32 v21, 0x32a5705f, v2
	v_sub_f32_e32 v19, v19, v25
	v_add_f32_e32 v19, v19, v21
	v_exp_f32_e32 v19, v19
	v_cvt_i32_f32_e32 v21, v25
	v_cmp_ngt_f32_e64 s[34:35], s2, v1
	v_sub_f32_e32 v5, v5, v22
	v_sub_f32_e32 v6, v6, v22
	v_cndmask_b32_e64 v18, 0, v18, s[34:35]
	v_cmp_nlt_f32_e64 s[34:35], s33, v1
	v_sub_f32_e32 v7, v7, v22
	v_mov_b32_e32 v45, v16
	v_cndmask_b32_e64 v25, v17, v18, s[34:35]
	v_ldexp_f32 v18, v19, v21
	v_mul_f32_e32 v19, 0x3fb8aa3b, v3
	v_fma_f32 v21, v3, s42, -v19
	v_rndne_f32_e32 v26, v19
	v_fmac_f32_e32 v21, 0x32a5705f, v3
	v_sub_f32_e32 v19, v19, v26
	v_add_f32_e32 v19, v19, v21
	v_exp_f32_e32 v19, v19
	v_cvt_i32_f32_e32 v21, v26
	v_cmp_ngt_f32_e64 s[34:35], s2, v2
	v_mov_b32_e32 v16, s45
	v_mov_b32_e32 v47, 0
	v_cndmask_b32_e64 v18, 0, v18, s[34:35]
	v_cmp_nlt_f32_e64 s[34:35], s33, v2
	v_sub_f32_e32 v12, v12, v22
	v_sub_f32_e32 v15, v15, v22
	v_cndmask_b32_e64 v26, v17, v18, s[34:35]
	v_ldexp_f32 v18, v19, v21
	v_mul_f32_e32 v19, 0x3fb8aa3b, v4
	v_fma_f32 v21, v4, s42, -v19
	v_rndne_f32_e32 v27, v19
	v_fmac_f32_e32 v21, 0x32a5705f, v4
	v_sub_f32_e32 v19, v19, v27
	v_add_f32_e32 v19, v19, v21
	v_exp_f32_e32 v19, v19
	v_cvt_i32_f32_e32 v21, v27
	v_cmp_ngt_f32_e64 s[34:35], s2, v3
	v_mov_b32_e32 v1, s3
	v_mov_b32_e32 v2, s3
	v_cndmask_b32_e64 v18, 0, v18, s[34:35]
	v_cmp_nlt_f32_e64 s[34:35], s33, v3
	v_ldexp_f32 v3, v19, v21
	v_cndmask_b32_e64 v0, 0, v0, s[36:37]
	v_cndmask_b32_e64 v27, v17, v18, s[34:35]
	v_mul_f32_e32 v18, 0x3fb8aa3b, v5
	v_fma_f32 v19, v5, s42, -v18
	v_rndne_f32_e32 v21, v18
	v_fmac_f32_e32 v19, 0x32a5705f, v5
	v_sub_f32_e32 v18, v18, v21
	v_add_f32_e32 v18, v18, v19
	v_exp_f32_e32 v18, v18
	v_cvt_i32_f32_e32 v19, v21
	v_cmp_ngt_f32_e64 s[34:35], s2, v4
	v_cndmask_b32_e64 v1, v1, v25, s[26:27]
	v_cndmask_b32_e64 v2, v2, v26, s[22:23]
	;; [unrolled: 1-line block ×3, first 2 shown]
	v_cmp_nlt_f32_e64 s[34:35], s33, v4
	v_mov_b32_e32 v4, s3
	s_nop 0
	v_cndmask_b32_e64 v28, v17, v3, s[34:35]
	v_ldexp_f32 v3, v18, v19
	v_mul_f32_e32 v18, 0x3fb8aa3b, v6
	v_fma_f32 v19, v6, s42, -v18
	v_rndne_f32_e32 v21, v18
	v_fmac_f32_e32 v19, 0x32a5705f, v6
	v_sub_f32_e32 v18, v18, v21
	v_add_f32_e32 v18, v18, v19
	v_exp_f32_e32 v18, v18
	v_cvt_i32_f32_e32 v19, v21
	v_cmp_ngt_f32_e64 s[34:35], s2, v5
	v_cndmask_b32_e64 v4, v4, v28, s[20:21]
	s_nop 0
	v_cndmask_b32_e64 v3, 0, v3, s[34:35]
	v_cmp_nlt_f32_e64 s[34:35], s33, v5
	v_ldexp_f32 v5, v18, v19
	v_mul_f32_e32 v18, 0x3fb8aa3b, v7
	v_fma_f32 v19, v7, s42, -v18
	v_rndne_f32_e32 v21, v18
	v_fmac_f32_e32 v19, 0x32a5705f, v7
	v_sub_f32_e32 v18, v18, v21
	v_add_f32_e32 v18, v18, v19
	v_exp_f32_e32 v18, v18
	v_cvt_i32_f32_e32 v19, v21
	v_cndmask_b32_e64 v29, v17, v3, s[34:35]
	v_cmp_ngt_f32_e64 s[34:35], s2, v6
	v_mul_f32_e32 v21, 0x3fb8aa3b, v12
	v_fma_f32 v31, v12, s42, -v21
	v_cndmask_b32_e64 v5, 0, v5, s[34:35]
	v_cmp_nlt_f32_e64 s[34:35], s33, v6
	v_fmac_f32_e32 v31, 0x32a5705f, v12
	v_mov_b32_e32 v3, s3
	v_cndmask_b32_e64 v30, v17, v5, s[34:35]
	v_ldexp_f32 v5, v18, v19
	v_lshl_add_u64 v[18:19], v[38:39], 2, s[40:41]
	v_lshl_add_u64 v[18:19], v[18:19], 0, v[44:45]
	v_cndmask_b32_e64 v19, v16, v19, s[30:31]
	v_cndmask_b32_e64 v18, v47, v18, s[30:31]
	flat_load_dwordx4 v[48:51], v[18:19]
	v_rndne_f32_e32 v18, v21
	v_sub_f32_e32 v19, v21, v18
	v_add_f32_e32 v19, v19, v31
	v_exp_f32_e32 v19, v19
	v_cvt_i32_f32_e32 v18, v18
	v_cmp_ngt_f32_e64 s[30:31], s2, v7
	v_and_b32_e32 v21, 0xfc, v106
	v_mul_u32_u24_e32 v21, 0xb0, v21
	v_cndmask_b32_e64 v5, 0, v5, s[30:31]
	v_cmp_nlt_f32_e64 s[30:31], s33, v7
	v_sub_f32_e32 v7, v13, v22
	v_mul_f32_e32 v13, 0x3fb8aa3b, v7
	v_cndmask_b32_e64 v31, v17, v5, s[30:31]
	v_ldexp_f32 v5, v19, v18
	v_fma_f32 v18, v7, s42, -v13
	v_rndne_f32_e32 v19, v13
	v_fmac_f32_e32 v18, 0x32a5705f, v7
	v_sub_f32_e32 v13, v13, v19
	v_add_f32_e32 v13, v13, v18
	v_exp_f32_e32 v13, v13
	v_cvt_i32_f32_e32 v18, v19
	v_cmp_ngt_f32_e64 s[30:31], s2, v12
	v_mov_b32_e32 v6, s3
	v_cndmask_b32_e64 v3, v3, v29, s[18:19]
	v_cndmask_b32_e64 v5, 0, v5, s[30:31]
	v_cmp_nlt_f32_e64 s[30:31], s33, v12
	v_cndmask_b32_e64 v6, v6, v30, s[16:17]
	v_mov_b32_e32 v12, s3
	v_cndmask_b32_e64 v38, v17, v5, s[30:31]
	v_ldexp_f32 v5, v13, v18
	v_sub_f32_e32 v13, v14, v22
	v_mul_f32_e32 v14, 0x3fb8aa3b, v13
	v_fma_f32 v18, v13, s42, -v14
	v_rndne_f32_e32 v19, v14
	v_fmac_f32_e32 v18, 0x32a5705f, v13
	v_sub_f32_e32 v14, v14, v19
	v_add_f32_e32 v14, v14, v18
	v_exp_f32_e32 v14, v14
	v_cvt_i32_f32_e32 v18, v19
	v_cmp_ngt_f32_e64 s[30:31], s2, v7
	v_cndmask_b32_e64 v12, v12, v38, s[14:15]
	s_waitcnt vmcnt(0) lgkmcnt(0)
	ds_write_b128 v43, v[48:51]
	v_cndmask_b32_e64 v5, 0, v5, s[30:31]
	v_cmp_nlt_f32_e64 s[30:31], s33, v7
	v_ldexp_f32 v7, v14, v18
	v_mul_f32_e32 v14, 0x3fb8aa3b, v15
	v_fma_f32 v18, v15, s42, -v14
	v_rndne_f32_e32 v19, v14
	v_fmac_f32_e32 v18, 0x32a5705f, v15
	v_sub_f32_e32 v14, v14, v19
	v_add_f32_e32 v14, v14, v18
	v_exp_f32_e32 v18, v14
	v_cvt_i32_f32_e32 v19, v19
	v_cndmask_b32_e64 v39, v17, v5, s[30:31]
	v_cmp_ngt_f32_e64 s[30:31], s2, v13
	v_mov_b32_e32 v5, s3
	v_mov_b32_e32 v14, s3
	v_cndmask_b32_e64 v7, 0, v7, s[30:31]
	v_cmp_nlt_f32_e64 s[30:31], s33, v13
	v_sub_f32_e32 v13, v8, v22
	v_mul_f32_e32 v8, 0x3fb8aa3b, v13
	v_cndmask_b32_e64 v46, v17, v7, s[30:31]
	v_ldexp_f32 v7, v18, v19
	v_fma_f32 v18, v13, s42, -v8
	v_rndne_f32_e32 v19, v8
	v_fmac_f32_e32 v18, 0x32a5705f, v13
	v_sub_f32_e32 v8, v8, v19
	v_add_f32_e32 v8, v8, v18
	v_exp_f32_e32 v8, v8
	v_cvt_i32_f32_e32 v18, v19
	v_cmp_ngt_f32_e64 s[30:31], s2, v15
	v_cndmask_b32_e64 v5, v5, v39, s[10:11]
	v_cndmask_b32_e64 v14, v14, v46, s[8:9]
	;; [unrolled: 1-line block ×3, first 2 shown]
	v_cmp_nlt_f32_e64 s[30:31], s33, v15
	v_sub_f32_e32 v15, v9, v22
	s_nop 0
	v_cndmask_b32_e64 v40, v17, v7, s[30:31]
	v_ldexp_f32 v7, v8, v18
	v_lshl_add_u64 v[8:9], v[36:37], 2, s[40:41]
	v_lshl_add_u64 v[8:9], v[8:9], 0, v[44:45]
	v_cndmask_b32_e64 v9, v16, v9, s[28:29]
	v_cndmask_b32_e64 v8, v47, v8, s[28:29]
	flat_load_dwordx4 v[52:55], v[8:9]
	v_mul_f32_e32 v18, 0x3fb8aa3b, v15
	v_fma_f32 v19, v15, s42, -v18
	v_rndne_f32_e32 v8, v18
	v_fmac_f32_e32 v19, 0x32a5705f, v15
	v_sub_f32_e32 v9, v18, v8
	v_add_f32_e32 v9, v9, v19
	v_exp_f32_e32 v9, v9
	v_cvt_i32_f32_e32 v16, v8
	v_cmp_ngt_f32_e64 s[30:31], s2, v13
	v_cmp_nlt_f32_e64 s[28:29], s33, v13
	v_add3_u32 v47, 0, v21, v105
	v_cndmask_b32_e64 v7, 0, v7, s[30:31]
	v_cndmask_b32_e64 v37, v17, v7, s[28:29]
	v_ldexp_f32 v7, v9, v16
	v_sub_f32_e32 v9, v10, v22
	v_mul_f32_e32 v10, 0x3fb8aa3b, v9
	v_fma_f32 v13, v9, s42, -v10
	v_rndne_f32_e32 v16, v10
	v_fmac_f32_e32 v13, 0x32a5705f, v9
	v_sub_f32_e32 v10, v10, v16
	v_add_f32_e32 v10, v10, v13
	v_exp_f32_e32 v10, v10
	v_cvt_i32_f32_e32 v13, v16
	v_cmp_ngt_f32_e64 s[28:29], s2, v15
	v_mov_b32_e32 v8, s3
	v_cndmask_b32_e64 v8, v8, v37, s[38:39]
	v_cndmask_b32_e64 v7, 0, v7, s[28:29]
	v_cmp_nlt_f32_e64 s[28:29], s33, v15
	v_ldexp_f32 v10, v10, v13
	v_sub_f32_e32 v15, v41, v22
	v_cndmask_b32_e64 v43, v17, v7, s[28:29]
	v_cmp_ngt_f32_e64 s[28:29], s2, v9
	v_mov_b32_e32 v7, s3
	v_cndmask_b32_e64 v7, v7, v43, s[4:5]
	v_cndmask_b32_e64 v10, 0, v10, s[28:29]
	v_cmp_nlt_f32_e64 s[28:29], s33, v9
	v_sub_f32_e32 v9, v11, v22
	s_waitcnt vmcnt(0) lgkmcnt(0)
	ds_write_b128 v20, v[52:55]
	v_cndmask_b32_e64 v36, v17, v10, s[28:29]
	v_mul_f32_e32 v10, 0x3fb8aa3b, v9
	v_fma_f32 v11, v9, s42, -v10
	v_rndne_f32_e32 v13, v10
	v_fmac_f32_e32 v11, 0x32a5705f, v9
	v_sub_f32_e32 v10, v10, v13
	v_add_f32_e32 v10, v10, v11
	v_exp_f32_e32 v11, v10
	v_mul_f32_e32 v10, 0x3fb8aa3b, v15
	v_fma_f32 v16, v15, s42, -v10
	v_rndne_f32_e32 v18, v10
	v_fmac_f32_e32 v16, 0x32a5705f, v15
	v_sub_f32_e32 v10, v10, v18
	v_add_f32_e32 v10, v10, v16
	v_cvt_i32_f32_e32 v13, v13
	v_exp_f32_e32 v16, v10
	v_cvt_i32_f32_e32 v18, v18
	v_cmp_ngt_f32_e64 s[28:29], s2, v15
	v_ldexp_f32 v11, v11, v13
	s_waitcnt lgkmcnt(0)
	v_ldexp_f32 v13, v16, v18
	v_cndmask_b32_e64 v13, 0, v13, s[28:29]
	v_cmp_nlt_f32_e64 s[28:29], s33, v15
	v_or_b32_e32 v18, 2, v106
	v_or_b32_e32 v16, 3, v106
	v_cndmask_b32_e64 v13, v17, v13, s[28:29]
	s_mov_b32 s28, 0xc1a00000
	v_cmp_le_f32_e64 s[28:29], s28, v15
	v_mul_u32_u24_e32 v18, 0xb0, v18
	v_mul_u32_u24_e32 v16, 0xb0, v16
	v_cndmask_b32_e64 v41, 0, v13, s[28:29]
	v_cvt_f16_f32_e32 v13, v41
	v_cmp_ngt_f32_e64 s[28:29], s2, v9
	v_add3_u32 v48, 0, v18, v105
	s_barrier
	v_cndmask_b32_e64 v11, 0, v11, s[28:29]
	v_cmp_nlt_f32_e64 s[28:29], s33, v9
	v_mul_u32_u24_e32 v45, 0x10001, v13
	v_add3_u32 v50, 0, v16, v105
	s_mov_b32 s2, 0x5040100
	ds_read_u16 v20, v48
	ds_read_u16 v58, v48 offset:32
	ds_read_u16 v54, v48 offset:2816
	;; [unrolled: 1-line block ×7, first 2 shown]
	ds_read_u16 v21, v50
	ds_read_u16 v64, v50 offset:32
	ds_read_u16 v65, v50 offset:64
	;; [unrolled: 1-line block ×4, first 2 shown]
	v_cndmask_b32_e64 v44, v17, v11, s[28:29]
	v_pk_mul_f16 v17, v114, v45
	v_pk_mul_f16 v19, v113, v45
	s_waitcnt lgkmcnt(4)
	v_perm_b32 v53, v21, v20, s2
	ds_read_u16 v20, v47 offset:176
	ds_read_u16 v21, v47
	ds_read_u16 v68, v47 offset:32
	ds_read_u16 v69, v47 offset:208
	;; [unrolled: 1-line block ×6, first 2 shown]
	s_waitcnt lgkmcnt(6)
	v_perm_b32 v52, v20, v21, s2
	v_cvt_f32_f16_e32 v16, v17
	v_cvt_f32_f16_sdwa v17, v17 dst_sel:DWORD dst_unused:UNUSED_PAD src0_sel:WORD_1
	v_cvt_f32_f16_e32 v18, v19
	v_cvt_f32_f16_sdwa v19, v19 dst_sel:DWORD dst_unused:UNUSED_PAD src0_sel:WORD_1
	v_mov_b32_e32 v15, s3
	v_cndmask_b32_e64 v15, v15, v27, s[24:25]
	v_cvt_pk_f16_f32 v21, v2, v15
	v_cvt_pk_f16_f32 v20, v0, v1
	v_mov_b32_e32 v13, s3
	v_pk_mul_f16 v49, v90, v45
	v_mfma_f32_16x16x16_f16 v[16:19], v[52:53], v[20:21], v[16:19]
	v_pk_mul_f16 v51, v91, v45
	v_mov_b32_e32 v11, s3
	v_mov_b32_e32 v10, s3
	;; [unrolled: 1-line block ×3, first 2 shown]
	v_cndmask_b32_e64 v10, v10, v36, s[0:1]
	s_nop 2
	v_cvt_f16_f32_e32 v1, v16
	v_cvt_f16_f32_e32 v2, v17
	;; [unrolled: 1-line block ×4, first 2 shown]
	v_cvt_f32_f16_e32 v16, v1
	v_cvt_f32_f16_e32 v17, v2
	;; [unrolled: 1-line block ×3, first 2 shown]
	ds_read_u16 v1, v50 offset:2816
	ds_read_u16 v2, v50 offset:5632
	;; [unrolled: 1-line block ×8, first 2 shown]
	s_waitcnt lgkmcnt(7)
	v_perm_b32 v53, v1, v54, s2
	ds_read_u16 v1, v47 offset:2816
	ds_read_u16 v52, v47 offset:2992
	;; [unrolled: 1-line block ×8, first 2 shown]
	s_waitcnt lgkmcnt(6)
	v_perm_b32 v52, v52, v1, s2
	v_cvt_f32_f16_e32 v19, v19
	v_cndmask_b32_e64 v1, v13, v31, s[12:13]
	v_cvt_pk_f16_f32 v55, v6, v1
	v_cvt_pk_f16_f32 v54, v4, v3
	s_nop 1
	v_mfma_f32_16x16x16_f16 v[16:19], v[52:53], v[54:55], v[16:19]
	v_cvt_pk_f16_f32 v52, v12, v5
	s_nop 6
	v_cvt_f16_f32_e32 v1, v16
	v_cvt_f16_f32_e32 v3, v17
	;; [unrolled: 1-line block ×4, first 2 shown]
	v_cvt_f32_f16_e32 v16, v1
	ds_read_u16 v1, v48 offset:5632
	ds_read_u16 v13, v48 offset:8448
	;; [unrolled: 1-line block ×7, first 2 shown]
	v_cvt_f32_f16_e32 v17, v3
	s_waitcnt lgkmcnt(6)
	v_perm_b32 v3, v2, v1, s2
	ds_read_u16 v1, v47 offset:5632
	ds_read_u16 v91, v47 offset:5664
	;; [unrolled: 1-line block ×13, first 2 shown]
	s_waitcnt lgkmcnt(7)
	v_perm_b32 v2, v2, v1, s2
	v_cvt_f32_f16_e32 v18, v4
	v_cvt_f32_f16_e32 v19, v6
	v_cndmask_b32_e64 v1, v11, v40, s[6:7]
	v_cvt_pk_f16_f32 v53, v14, v1
	v_perm_b32 v11, v64, v58, s2
	v_cvt_f32_f16_e32 v6, v51
	v_mfma_f32_16x16x16_f16 v[2:5], v[2:3], v[52:53], v[16:19]
	s_nop 7
	v_cvt_f16_f32_e32 v1, v2
	v_cvt_f16_f32_e32 v3, v3
	;; [unrolled: 1-line block ×4, first 2 shown]
	v_cvt_f32_f16_e32 v2, v1
	ds_read_u16 v1, v50 offset:8448
	ds_read_u16 v14, v50 offset:8480
	;; [unrolled: 1-line block ×6, first 2 shown]
	s_waitcnt lgkmcnt(5)
	v_perm_b32 v13, v1, v13, s2
	ds_read_u16 v1, v47 offset:8624
	ds_read_u16 v17, v47 offset:8656
	;; [unrolled: 1-line block ×6, first 2 shown]
	s_waitcnt lgkmcnt(5)
	v_perm_b32 v12, v1, v56, s2
	v_cndmask_b32_e32 v1, v9, v44, vcc
	v_cvt_pk_f16_f32 v57, v10, v1
	v_perm_b32 v10, v69, v68, s2
	v_cvt_pk_f16_f32 v56, v8, v7
	v_cvt_f32_f16_sdwa v7, v51 dst_sel:DWORD dst_unused:UNUSED_PAD src0_sel:WORD_1
	v_cvt_f32_f16_e32 v8, v49
	v_cvt_f32_f16_sdwa v9, v49 dst_sel:DWORD dst_unused:UNUSED_PAD src0_sel:WORD_1
	ds_read_u16 v1, v47 offset:3024
	ds_read_u16 v49, v47 offset:3056
	;; [unrolled: 1-line block ×3, first 2 shown]
	v_mfma_f32_16x16x16_f16 v[6:9], v[10:11], v[20:21], v[6:9]
	v_perm_b32 v11, v15, v59, s2
	s_waitcnt lgkmcnt(2)
	v_perm_b32 v10, v1, v79, s2
	ds_read_u16 v58, v48 offset:2912
	ds_read_u16 v59, v50 offset:5696
	;; [unrolled: 1-line block ×3, first 2 shown]
	s_nop 1
	v_cvt_f16_f32_e32 v6, v6
	v_cvt_f16_f32_e32 v7, v7
	v_cvt_f16_f32_e32 v8, v8
	v_cvt_f16_f32_e32 v9, v9
	v_cvt_f32_f16_e32 v6, v6
	v_cvt_f32_f16_e32 v7, v7
	;; [unrolled: 1-line block ×6, first 2 shown]
	v_mfma_f32_16x16x16_f16 v[6:9], v[10:11], v[54:55], v[6:9]
	v_perm_b32 v11, v74, v86, s2
	v_perm_b32 v10, v108, v91, s2
	v_cvt_f32_f16_e32 v5, v5
	v_perm_b32 v15, v65, v60, s2
	s_nop 3
	v_cvt_f16_f32_e32 v1, v6
	v_cvt_f16_f32_e32 v7, v7
	;; [unrolled: 1-line block ×4, first 2 shown]
	v_cvt_f32_f16_e32 v6, v1
	v_cvt_f32_f16_e32 v7, v7
	;; [unrolled: 1-line block ×4, first 2 shown]
	ds_read_u16 v1, v48 offset:8480
	ds_read_u16 v64, v48 offset:8512
	;; [unrolled: 1-line block ×3, first 2 shown]
	v_mfma_f32_16x16x16_f16 v[6:9], v[10:11], v[52:53], v[6:9]
	s_waitcnt lgkmcnt(2)
	v_perm_b32 v11, v14, v1, s2
	v_perm_b32 v10, v17, v109, s2
	v_pk_mul_f16 v1, v104, v45
	s_nop 3
	v_cvt_f16_f32_e32 v6, v6
	v_cvt_f16_f32_e32 v7, v7
	;; [unrolled: 1-line block ×4, first 2 shown]
	v_cvt_f32_f16_e32 v6, v6
	v_cvt_f32_f16_e32 v7, v7
	;; [unrolled: 1-line block ×4, first 2 shown]
	v_mfma_f32_16x16x16_f16 v[2:5], v[12:13], v[56:57], v[2:5]
	v_pk_mul_f16 v13, v103, v45
	v_perm_b32 v14, v71, v70, s2
	v_cvt_f32_f16_e32 v12, v13
	v_mfma_f32_16x16x16_f16 v[6:9], v[10:11], v[56:57], v[6:9]
	v_cvt_f32_f16_e32 v10, v1
	v_cvt_f32_f16_sdwa v11, v1 dst_sel:DWORD dst_unused:UNUSED_PAD src0_sel:WORD_1
	v_cvt_f32_f16_sdwa v13, v13 dst_sel:DWORD dst_unused:UNUSED_PAD src0_sel:WORD_1
	v_add_f32_e32 v1, v25, v0
	v_cndmask_b32_e64 v25, v0, v1, s[26:27]
	v_mfma_f32_16x16x16_f16 v[10:13], v[14:15], v[20:21], v[10:13]
	ds_read_u16 v17, v47 offset:8512
	ds_read_u16 v47, v47 offset:8544
	v_add_f32_e32 v26, v25, v26
	v_cndmask_b32_e64 v14, v25, v26, s[22:23]
	s_nop 3
	v_cvt_f16_f32_e32 v0, v10
	v_cvt_f16_f32_e32 v1, v11
	;; [unrolled: 1-line block ×4, first 2 shown]
	v_cvt_f32_f16_e32 v10, v0
	v_cvt_f32_f16_e32 v11, v1
	v_perm_b32 v1, v75, v61, s2
	v_perm_b32 v0, v49, v80, s2
	v_cvt_f32_f16_e32 v12, v12
	v_cvt_f32_f16_e32 v13, v13
	v_add_f32_e32 v15, v14, v27
	v_cndmask_b32_e64 v14, v14, v15, s[24:25]
	v_mfma_f32_16x16x16_f16 v[10:13], v[0:1], v[54:55], v[10:13]
	v_add_f32_e32 v15, v28, v14
	v_cndmask_b32_e64 v14, v14, v15, s[20:21]
	v_add_f32_e32 v15, v29, v14
	s_waitcnt lgkmcnt(0)
	s_nop 3
	v_cvt_f16_f32_e32 v0, v10
	v_cvt_f16_f32_e32 v1, v11
	;; [unrolled: 1-line block ×4, first 2 shown]
	v_cvt_f32_f16_e32 v10, v0
	v_cvt_f32_f16_e32 v11, v1
	v_perm_b32 v1, v59, v87, s2
	v_perm_b32 v0, v110, v105, s2
	v_cvt_f32_f16_e32 v12, v12
	v_cvt_f32_f16_e32 v13, v13
	s_barrier
	s_nop 0
	v_mfma_f32_16x16x16_f16 v[10:13], v[0:1], v[52:53], v[10:13]
	s_barrier
	s_nop 6
	v_cvt_f16_f32_e32 v0, v10
	v_cvt_f16_f32_e32 v1, v11
	;; [unrolled: 1-line block ×4, first 2 shown]
	v_cvt_f32_f16_e32 v10, v0
	v_cvt_f32_f16_e32 v11, v1
	v_perm_b32 v1, v16, v64, s2
	v_perm_b32 v0, v19, v17, s2
	v_cvt_f32_f16_e32 v12, v12
	v_cvt_f32_f16_e32 v13, v13
	v_cndmask_b32_e64 v19, v14, v15, s[18:19]
	v_pk_mul_f16 v15, v102, v45
	v_pk_mul_f16 v17, v101, v45
	v_mfma_f32_16x16x16_f16 v[10:13], v[0:1], v[56:57], v[10:13]
	v_perm_b32 v1, v66, v62, s2
	v_perm_b32 v0, v81, v72, s2
	v_cvt_f32_f16_e32 v14, v15
	v_cvt_f32_f16_sdwa v15, v15 dst_sel:DWORD dst_unused:UNUSED_PAD src0_sel:WORD_1
	v_cvt_f32_f16_e32 v16, v17
	v_cvt_f32_f16_sdwa v17, v17 dst_sel:DWORD dst_unused:UNUSED_PAD src0_sel:WORD_1
	v_add_f32_e32 v25, v30, v19
	v_cndmask_b32_e64 v19, v19, v25, s[16:17]
	v_mfma_f32_16x16x16_f16 v[14:17], v[0:1], v[20:21], v[14:17]
	v_add_f32_e32 v25, v31, v19
	v_cndmask_b32_e64 v19, v19, v25, s[12:13]
	v_add_f32_e32 v25, v38, v19
	v_cndmask_b32_e64 v19, v19, v25, s[14:15]
	s_nop 3
	v_cvt_f16_f32_e32 v0, v14
	v_cvt_f16_f32_e32 v1, v15
	;; [unrolled: 1-line block ×4, first 2 shown]
	v_cvt_f32_f16_e32 v14, v0
	v_cvt_f32_f16_e32 v15, v1
	v_perm_b32 v1, v76, v58, s2
	v_perm_b32 v0, v51, v82, s2
	v_cvt_f32_f16_e32 v16, v16
	v_cvt_f32_f16_e32 v17, v17
	v_add_f32_e32 v25, v39, v19
	v_cndmask_b32_e64 v19, v19, v25, s[10:11]
	v_mfma_f32_16x16x16_f16 v[14:17], v[0:1], v[54:55], v[14:17]
	v_add_f32_e32 v25, v46, v19
	s_nop 6
	v_cvt_f16_f32_e32 v0, v14
	v_cvt_f16_f32_e32 v1, v15
	;; [unrolled: 1-line block ×4, first 2 shown]
	v_cvt_f32_f16_e32 v14, v0
	v_cvt_f32_f16_e32 v15, v1
	v_perm_b32 v1, v50, v88, s2
	v_perm_b32 v0, v111, v106, s2
	v_cvt_f32_f16_e32 v16, v16
	v_cvt_f32_f16_e32 v17, v17
	s_nop 1
	v_mfma_f32_16x16x16_f16 v[14:17], v[0:1], v[52:53], v[14:17]
	s_nop 7
	v_cvt_f16_f32_e32 v0, v14
	v_cvt_f16_f32_e32 v1, v15
	;; [unrolled: 1-line block ×4, first 2 shown]
	v_cvt_f32_f16_e32 v14, v0
	v_cvt_f32_f16_e32 v15, v1
	v_perm_b32 v1, v18, v48, s2
	v_perm_b32 v0, v117, v47, s2
	v_cvt_f32_f16_e32 v16, v16
	v_cvt_f32_f16_e32 v17, v17
	v_cndmask_b32_e64 v18, v19, v25, s[8:9]
	v_pk_mul_f16 v19, v100, v45
	v_pk_mul_f16 v25, v99, v45
	v_mfma_f32_16x16x16_f16 v[14:17], v[0:1], v[56:57], v[14:17]
	v_perm_b32 v1, v78, v63, s2
	v_perm_b32 v0, v84, v73, s2
	v_cvt_f32_f16_e32 v26, v19
	v_cvt_f32_f16_sdwa v27, v19 dst_sel:DWORD dst_unused:UNUSED_PAD src0_sel:WORD_1
	v_cvt_f32_f16_e32 v28, v25
	v_cvt_f32_f16_sdwa v29, v25 dst_sel:DWORD dst_unused:UNUSED_PAD src0_sel:WORD_1
	v_add_f32_e32 v19, v40, v18
	v_cndmask_b32_e64 v25, v18, v19, s[6:7]
	v_mfma_f32_16x16x16_f16 v[18:21], v[0:1], v[20:21], v[26:29]
	v_add_f32_e32 v30, v37, v25
	v_cndmask_b32_e64 v25, v25, v30, s[38:39]
	s_nop 0
	v_add_f32_e32 v26, v43, v25
	v_cndmask_b32_e64 v25, v25, v26, s[4:5]
	s_nop 2
	v_cvt_f16_f32_e32 v0, v18
	v_cvt_f16_f32_e32 v1, v19
	;; [unrolled: 1-line block ×4, first 2 shown]
	v_cvt_f32_f16_e32 v18, v0
	v_cvt_f32_f16_e32 v19, v1
	v_perm_b32 v1, v77, v90, s2
	v_perm_b32 v0, v107, v83, s2
	v_cvt_f32_f16_e32 v20, v20
	v_cvt_f32_f16_e32 v21, v21
	v_add_f32_e32 v26, v36, v25
	v_cndmask_b32_e64 v25, v25, v26, s[0:1]
	v_mfma_f32_16x16x16_f16 v[18:21], v[0:1], v[54:55], v[18:21]
	v_add_f32_e32 v26, v44, v25
	v_cndmask_b32_e32 v25, v25, v26, vcc
	v_fmac_f32_e32 v25, v116, v41
	ds_bpermute_b32 v23, v23, v25
	s_nop 3
	v_cvt_f16_f32_e32 v0, v18
	v_cvt_f16_f32_e32 v1, v19
	;; [unrolled: 1-line block ×4, first 2 shown]
	v_cvt_f32_f16_e32 v18, v0
	v_cvt_f32_f16_e32 v19, v1
	v_perm_b32 v1, v115, v89, s2
	v_perm_b32 v0, v112, v113, s2
	v_cvt_f32_f16_e32 v20, v20
	v_cvt_f32_f16_e32 v21, v21
	v_cmp_lt_u32_e32 vcc, 15, v97
	s_nop 0
	v_mfma_f32_16x16x16_f16 v[18:21], v[0:1], v[52:53], v[18:21]
	s_nop 7
	v_cvt_f16_f32_e32 v0, v18
	v_cvt_f16_f32_e32 v1, v19
	;; [unrolled: 1-line block ×4, first 2 shown]
	v_cvt_f32_f16_e32 v18, v0
	v_cvt_f32_f16_e32 v19, v1
	v_perm_b32 v1, v114, v67, s2
	v_perm_b32 v0, v118, v119, s2
	v_cvt_f32_f16_e32 v20, v20
	v_cvt_f32_f16_e32 v21, v21
	s_nop 1
	v_mfma_f32_16x16x16_f16 v[18:21], v[0:1], v[56:57], v[18:21]
	s_waitcnt lgkmcnt(0)
	v_add_f32_e32 v1, v25, v23
	ds_bpermute_b32 v23, v24, v1
                                        ; implicit-def: $vgpr0
	s_and_saveexec_b64 s[0:1], vcc
	s_xor_b64 s[0:1], exec, s[0:1]
; %bb.409:
	v_lshlrev_b32_e32 v0, 4, v128
                                        ; implicit-def: $vgpr1
                                        ; implicit-def: $vgpr23
                                        ; implicit-def: $vgpr128
                                        ; implicit-def: $vgpr97
                                        ; implicit-def: $vgpr22
; %bb.410:
	s_andn2_saveexec_b64 s[0:1], s[0:1]
	s_cbranch_execz .LBB9_412
; %bb.411:
	s_add_i32 s2, s52, s47
	s_lshl_b32 s2, s2, 6
	v_lshlrev_b32_e32 v0, 4, v128
	s_lshl_b64 s[2:3], s[2:3], 3
	s_waitcnt lgkmcnt(0)
	v_add_f32_e32 v23, v1, v23
	v_or_b32_e32 v1, v0, v97
	s_add_u32 s2, s50, s2
	s_addc_u32 s3, s51, s3
	v_lshlrev_b32_e32 v1, 3, v1
	global_store_dwordx2 v1, v[22:23], s[2:3]
.LBB9_412:
	s_or_b64 exec, exec, s[0:1]
	v_readlane_b32 s4, v254, 8
	v_readlane_b32 s5, v254, 9
	s_load_dword s0, s[4:5], 0x0
	s_load_dword s2, s[4:5], 0x10
	v_or_b32_e32 v0, v0, v98
	v_mul_i32_i24_e32 v0, 0xb0, v0
	v_cvt_pk_f16_f32 v1, v4, v5
	v_cvt_pk_f16_f32 v2, v2, v3
	s_waitcnt lgkmcnt(0)
	s_lshr_b32 s2, s2, 16
	s_cmp_lg_u32 s2, 0
	s_cselect_b64 s[2:3], -1, 0
	s_cmp_lg_u64 s[2:3], 0
	s_addc_u32 s0, s0, 0
	s_movk_i32 s4, 0xb0
	s_mov_b32 s1, 0
	v_add3_u32 v0, 0, v0, v35
	s_lshl_b32 s0, s0, 7
	v_cvt_pk_f16_f32 v3, v8, v9
	v_cvt_pk_f16_f32 v4, v6, v7
	;; [unrolled: 1-line block ×8, first 2 shown]
	s_lshl_b64 s[2:3], s[0:1], 3
	ds_write2_b32 v0, v2, v1 offset1:1
	ds_write2_b32 v0, v4, v3 offset0:8 offset1:9
	ds_write2_b32 v0, v6, v5 offset0:16 offset1:17
	;; [unrolled: 1-line block ×4, first 2 shown]
	v_mad_u32_u24 v0, v33, s4, v85
	s_add_u32 s2, s50, s2
	s_mul_i32 s0, s47, 0xa00
	s_waitcnt lgkmcnt(0)
	s_barrier
	ds_read_b32 v3, v0
	v_add_u32_e32 v6, 0x80, v0
	s_addc_u32 s3, s51, s3
	s_lshl_b64 s[0:1], s[0:1], 3
	ds_read2st64_b32 v[0:1], v6 offset0:5 offset1:16
	s_add_u32 s0, s2, s0
	v_and_b32_e32 v2, 15, v33
	s_movk_i32 s2, 0x1ff0
	v_and_or_b32 v4, v92, s2, v2
	v_and_or_b32 v5, v93, s2, v2
	;; [unrolled: 1-line block ×3, first 2 shown]
	v_mad_u32_u24 v4, v4, s4, v85
	v_mad_u32_u24 v2, v2, s4, v85
	;; [unrolled: 1-line block ×3, first 2 shown]
	ds_read_b32 v7, v4
	ds_read_b32 v8, v5
	;; [unrolled: 1-line block ×3, first 2 shown]
	s_waitcnt lgkmcnt(4)
	v_cvt_f32_f16_e32 v2, v3
	v_cvt_f32_f16_sdwa v3, v3 dst_sel:DWORD dst_unused:UNUSED_PAD src0_sel:WORD_1
	s_waitcnt lgkmcnt(3)
	v_cvt_f32_f16_e32 v4, v0
	v_cvt_f32_f16_sdwa v5, v0 dst_sel:DWORD dst_unused:UNUSED_PAD src0_sel:WORD_1
	v_mul_u32_u24_e32 v10, 40, v33
	s_addc_u32 s1, s3, s1
	v_pk_add_f32 v[2:3], v[2:3], 0 op_sel_hi:[1,0]
	v_add_lshl_u32 v10, v10, v32, 3
	global_store_dwordx2 v10, v[2:3], s[0:1]
	v_pk_add_f32 v[2:3], v[4:5], 0 op_sel_hi:[1,0]
	global_store_dwordx2 v10, v[2:3], s[0:1] offset:2560
	s_waitcnt lgkmcnt(2)
	v_cvt_f32_f16_e32 v2, v7
	v_cvt_f32_f16_sdwa v3, v7 dst_sel:DWORD dst_unused:UNUSED_PAD src0_sel:WORD_1
	v_add_u32_e32 v4, 0x1400, v10
	v_cvt_f32_f16_e32 v0, v1
	v_cvt_f32_f16_sdwa v1, v1 dst_sel:DWORD dst_unused:UNUSED_PAD src0_sel:WORD_1
	v_pk_add_f32 v[2:3], v[2:3], 0 op_sel_hi:[1,0]
	global_store_dwordx2 v4, v[2:3], s[0:1]
	ds_read2st64_b32 v[2:3], v6 offset0:27 offset1:38
	v_add_u32_e32 v4, 0x1e00, v10
	v_pk_add_f32 v[0:1], v[0:1], 0 op_sel_hi:[1,0]
	global_store_dwordx2 v4, v[0:1], s[0:1]
	s_waitcnt lgkmcnt(2)
	v_cvt_f32_f16_e32 v0, v8
	v_cvt_f32_f16_sdwa v1, v8 dst_sel:DWORD dst_unused:UNUSED_PAD src0_sel:WORD_1
	s_waitcnt lgkmcnt(0)
	v_cvt_f32_f16_e32 v4, v2
	v_cvt_f32_f16_sdwa v5, v2 dst_sel:DWORD dst_unused:UNUSED_PAD src0_sel:WORD_1
	v_add_u32_e32 v6, 0x2800, v10
	v_pk_add_f32 v[0:1], v[0:1], 0 op_sel_hi:[1,0]
	global_store_dwordx2 v6, v[0:1], s[0:1]
	v_pk_add_f32 v[0:1], v[4:5], 0 op_sel_hi:[1,0]
	v_add_u32_e32 v4, v96, v42
	v_add_u32_e32 v2, 0x3200, v10
	;; [unrolled: 1-line block ×3, first 2 shown]
	global_store_dwordx2 v2, v[0:1], s[0:1]
	v_cvt_f32_f16_e32 v0, v9
	v_cvt_f32_f16_sdwa v1, v9 dst_sel:DWORD dst_unused:UNUSED_PAD src0_sel:WORD_1
	ds_read2st64_b32 v[4:5], v4 offset1:22
	v_cvt_f32_f16_e32 v2, v3
	v_cvt_f32_f16_sdwa v3, v3 dst_sel:DWORD dst_unused:UNUSED_PAD src0_sel:WORD_1
	v_add_u32_e32 v6, 0x3c00, v10
	v_pk_add_f32 v[0:1], v[0:1], 0 op_sel_hi:[1,0]
	global_store_dwordx2 v6, v[0:1], s[0:1]
	v_pk_add_f32 v[0:1], v[2:3], 0 op_sel_hi:[1,0]
	s_waitcnt lgkmcnt(0)
	v_cvt_f32_f16_e32 v2, v4
	v_cvt_f32_f16_sdwa v3, v4 dst_sel:DWORD dst_unused:UNUSED_PAD src0_sel:WORD_1
	v_add_u32_e32 v6, 0x4600, v10
	global_store_dwordx2 v6, v[0:1], s[0:1]
	v_mul_u32_u24_e32 v0, 40, v95
	v_or_b32_e32 v4, v0, v34
	v_pk_add_f32 v[0:1], v[2:3], 0 op_sel_hi:[1,0]
	v_cvt_f32_f16_e32 v2, v5
	v_cvt_f32_f16_sdwa v3, v5 dst_sel:DWORD dst_unused:UNUSED_PAD src0_sel:WORD_1
	v_lshlrev_b32_e32 v4, 3, v4
	global_store_dwordx2 v4, v[0:1], s[0:1] offset:256
	v_add_u32_e32 v4, 0x2800, v4
	v_pk_add_f32 v[0:1], v[2:3], 0 op_sel_hi:[1,0]
	global_store_dwordx2 v4, v[0:1], s[0:1] offset:256
.LBB9_413:
	s_endpgm
.LBB9_414:
                                        ; implicit-def: $vgpr0_vgpr1_vgpr2_vgpr3
                                        ; implicit-def: $vgpr4_vgpr5_vgpr6_vgpr7
                                        ; implicit-def: $vgpr12_vgpr13_vgpr14_vgpr15
                                        ; implicit-def: $vgpr8_vgpr9_vgpr10_vgpr11
                                        ; implicit-def: $vgpr54
                                        ; implicit-def: $vgpr57
                                        ; implicit-def: $vgpr52
                                        ; implicit-def: $vgpr58
                                        ; implicit-def: $vgpr55
                                        ; implicit-def: $vgpr56
	s_branch .LBB9_405
	.section	.rodata,"a",@progbits
	.p2align	6, 0x0
	.amdhsa_kernel _ZL18flash_attn_ext_f16ILi80ELi80ELi64ELi1ELb0ELb0EEvPKcS1_S1_S1_S1_PKiPfP15HIP_vector_typeIfLj2EEffffjfiS5_IjLj3EEiiiiiiiiiiiliiliiiiil
		.amdhsa_group_segment_fixed_size 0
		.amdhsa_private_segment_fixed_size 48
		.amdhsa_kernarg_size 464
		.amdhsa_user_sgpr_count 2
		.amdhsa_user_sgpr_dispatch_ptr 0
		.amdhsa_user_sgpr_queue_ptr 0
		.amdhsa_user_sgpr_kernarg_segment_ptr 1
		.amdhsa_user_sgpr_dispatch_id 0
		.amdhsa_user_sgpr_kernarg_preload_length 0
		.amdhsa_user_sgpr_kernarg_preload_offset 0
		.amdhsa_user_sgpr_private_segment_size 0
		.amdhsa_uses_dynamic_stack 0
		.amdhsa_enable_private_segment 1
		.amdhsa_system_sgpr_workgroup_id_x 1
		.amdhsa_system_sgpr_workgroup_id_y 0
		.amdhsa_system_sgpr_workgroup_id_z 0
		.amdhsa_system_sgpr_workgroup_info 0
		.amdhsa_system_vgpr_workitem_id 1
		.amdhsa_next_free_vgpr 256
		.amdhsa_next_free_sgpr 100
		.amdhsa_accum_offset 256
		.amdhsa_reserve_vcc 1
		.amdhsa_float_round_mode_32 0
		.amdhsa_float_round_mode_16_64 0
		.amdhsa_float_denorm_mode_32 3
		.amdhsa_float_denorm_mode_16_64 3
		.amdhsa_dx10_clamp 1
		.amdhsa_ieee_mode 1
		.amdhsa_fp16_overflow 0
		.amdhsa_tg_split 0
		.amdhsa_exception_fp_ieee_invalid_op 0
		.amdhsa_exception_fp_denorm_src 0
		.amdhsa_exception_fp_ieee_div_zero 0
		.amdhsa_exception_fp_ieee_overflow 0
		.amdhsa_exception_fp_ieee_underflow 0
		.amdhsa_exception_fp_ieee_inexact 0
		.amdhsa_exception_int_div_zero 0
	.end_amdhsa_kernel
	.section	.text._ZL18flash_attn_ext_f16ILi80ELi80ELi64ELi1ELb0ELb0EEvPKcS1_S1_S1_S1_PKiPfP15HIP_vector_typeIfLj2EEffffjfiS5_IjLj3EEiiiiiiiiiiiliiliiiiil,"axG",@progbits,_ZL18flash_attn_ext_f16ILi80ELi80ELi64ELi1ELb0ELb0EEvPKcS1_S1_S1_S1_PKiPfP15HIP_vector_typeIfLj2EEffffjfiS5_IjLj3EEiiiiiiiiiiiliiliiiiil,comdat
.Lfunc_end9:
	.size	_ZL18flash_attn_ext_f16ILi80ELi80ELi64ELi1ELb0ELb0EEvPKcS1_S1_S1_S1_PKiPfP15HIP_vector_typeIfLj2EEffffjfiS5_IjLj3EEiiiiiiiiiiiliiliiiiil, .Lfunc_end9-_ZL18flash_attn_ext_f16ILi80ELi80ELi64ELi1ELb0ELb0EEvPKcS1_S1_S1_S1_PKiPfP15HIP_vector_typeIfLj2EEffffjfiS5_IjLj3EEiiiiiiiiiiiliiliiiiil
                                        ; -- End function
	.set _ZL18flash_attn_ext_f16ILi80ELi80ELi64ELi1ELb0ELb0EEvPKcS1_S1_S1_S1_PKiPfP15HIP_vector_typeIfLj2EEffffjfiS5_IjLj3EEiiiiiiiiiiiliiliiiiil.num_vgpr, 256
	.set _ZL18flash_attn_ext_f16ILi80ELi80ELi64ELi1ELb0ELb0EEvPKcS1_S1_S1_S1_PKiPfP15HIP_vector_typeIfLj2EEffffjfiS5_IjLj3EEiiiiiiiiiiiliiliiiiil.num_agpr, 0
	.set _ZL18flash_attn_ext_f16ILi80ELi80ELi64ELi1ELb0ELb0EEvPKcS1_S1_S1_S1_PKiPfP15HIP_vector_typeIfLj2EEffffjfiS5_IjLj3EEiiiiiiiiiiiliiliiiiil.numbered_sgpr, 100
	.set _ZL18flash_attn_ext_f16ILi80ELi80ELi64ELi1ELb0ELb0EEvPKcS1_S1_S1_S1_PKiPfP15HIP_vector_typeIfLj2EEffffjfiS5_IjLj3EEiiiiiiiiiiiliiliiiiil.num_named_barrier, 0
	.set _ZL18flash_attn_ext_f16ILi80ELi80ELi64ELi1ELb0ELb0EEvPKcS1_S1_S1_S1_PKiPfP15HIP_vector_typeIfLj2EEffffjfiS5_IjLj3EEiiiiiiiiiiiliiliiiiil.private_seg_size, 48
	.set _ZL18flash_attn_ext_f16ILi80ELi80ELi64ELi1ELb0ELb0EEvPKcS1_S1_S1_S1_PKiPfP15HIP_vector_typeIfLj2EEffffjfiS5_IjLj3EEiiiiiiiiiiiliiliiiiil.uses_vcc, 1
	.set _ZL18flash_attn_ext_f16ILi80ELi80ELi64ELi1ELb0ELb0EEvPKcS1_S1_S1_S1_PKiPfP15HIP_vector_typeIfLj2EEffffjfiS5_IjLj3EEiiiiiiiiiiiliiliiiiil.uses_flat_scratch, 0
	.set _ZL18flash_attn_ext_f16ILi80ELi80ELi64ELi1ELb0ELb0EEvPKcS1_S1_S1_S1_PKiPfP15HIP_vector_typeIfLj2EEffffjfiS5_IjLj3EEiiiiiiiiiiiliiliiiiil.has_dyn_sized_stack, 0
	.set _ZL18flash_attn_ext_f16ILi80ELi80ELi64ELi1ELb0ELb0EEvPKcS1_S1_S1_S1_PKiPfP15HIP_vector_typeIfLj2EEffffjfiS5_IjLj3EEiiiiiiiiiiiliiliiiiil.has_recursion, 0
	.set _ZL18flash_attn_ext_f16ILi80ELi80ELi64ELi1ELb0ELb0EEvPKcS1_S1_S1_S1_PKiPfP15HIP_vector_typeIfLj2EEffffjfiS5_IjLj3EEiiiiiiiiiiiliiliiiiil.has_indirect_call, 0
	.section	.AMDGPU.csdata,"",@progbits
; Kernel info:
; codeLenInByte = 64444
; TotalNumSgprs: 106
; NumVgprs: 256
; NumAgprs: 0
; TotalNumVgprs: 256
; ScratchSize: 48
; MemoryBound: 0
; FloatMode: 240
; IeeeMode: 1
; LDSByteSize: 0 bytes/workgroup (compile time only)
; SGPRBlocks: 13
; VGPRBlocks: 31
; NumSGPRsForWavesPerEU: 106
; NumVGPRsForWavesPerEU: 256
; AccumOffset: 256
; Occupancy: 2
; WaveLimiterHint : 0
; COMPUTE_PGM_RSRC2:SCRATCH_EN: 1
; COMPUTE_PGM_RSRC2:USER_SGPR: 2
; COMPUTE_PGM_RSRC2:TRAP_HANDLER: 0
; COMPUTE_PGM_RSRC2:TGID_X_EN: 1
; COMPUTE_PGM_RSRC2:TGID_Y_EN: 0
; COMPUTE_PGM_RSRC2:TGID_Z_EN: 0
; COMPUTE_PGM_RSRC2:TIDIG_COMP_CNT: 1
; COMPUTE_PGM_RSRC3_GFX90A:ACCUM_OFFSET: 63
; COMPUTE_PGM_RSRC3_GFX90A:TG_SPLIT: 0
	.section	.text._ZL18flash_attn_ext_f16ILi80ELi80ELi64ELi1ELb1ELb0EEvPKcS1_S1_S1_S1_PKiPfP15HIP_vector_typeIfLj2EEffffjfiS5_IjLj3EEiiiiiiiiiiiliiliiiiil,"axG",@progbits,_ZL18flash_attn_ext_f16ILi80ELi80ELi64ELi1ELb1ELb0EEvPKcS1_S1_S1_S1_PKiPfP15HIP_vector_typeIfLj2EEffffjfiS5_IjLj3EEiiiiiiiiiiiliiliiiiil,comdat
	.globl	_ZL18flash_attn_ext_f16ILi80ELi80ELi64ELi1ELb1ELb0EEvPKcS1_S1_S1_S1_PKiPfP15HIP_vector_typeIfLj2EEffffjfiS5_IjLj3EEiiiiiiiiiiiliiliiiiil ; -- Begin function _ZL18flash_attn_ext_f16ILi80ELi80ELi64ELi1ELb1ELb0EEvPKcS1_S1_S1_S1_PKiPfP15HIP_vector_typeIfLj2EEffffjfiS5_IjLj3EEiiiiiiiiiiiliiliiiiil
	.p2align	8
	.type	_ZL18flash_attn_ext_f16ILi80ELi80ELi64ELi1ELb1ELb0EEvPKcS1_S1_S1_S1_PKiPfP15HIP_vector_typeIfLj2EEffffjfiS5_IjLj3EEiiiiiiiiiiiliiliiiiil,@function
_ZL18flash_attn_ext_f16ILi80ELi80ELi64ELi1ELb1ELb0EEvPKcS1_S1_S1_S1_PKiPfP15HIP_vector_typeIfLj2EEffffjfiS5_IjLj3EEiiiiiiiiiiiliiliiiiil: ; @_ZL18flash_attn_ext_f16ILi80ELi80ELi64ELi1ELb1ELb0EEvPKcS1_S1_S1_S1_PKiPfP15HIP_vector_typeIfLj2EEffffjfiS5_IjLj3EEiiiiiiiiiiiliiliiiiil
; %bb.0:
	s_add_u32 s8, s0, 0xd0
	s_addc_u32 s9, s1, 0
	s_getpc_b64 s[0:1]
	s_add_u32 s0, s0, _ZL14no_device_codePKciS0_iS0_@rel32@lo+4
	s_addc_u32 s1, s1, _ZL14no_device_codePKciS0_iS0_@rel32@hi+12
	s_mov_b32 s32, 0
	s_swappc_b64 s[30:31], s[0:1]
	.section	.rodata,"a",@progbits
	.p2align	6, 0x0
	.amdhsa_kernel _ZL18flash_attn_ext_f16ILi80ELi80ELi64ELi1ELb1ELb0EEvPKcS1_S1_S1_S1_PKiPfP15HIP_vector_typeIfLj2EEffffjfiS5_IjLj3EEiiiiiiiiiiiliiliiiiil
		.amdhsa_group_segment_fixed_size 0
		.amdhsa_private_segment_fixed_size 16
		.amdhsa_kernarg_size 464
		.amdhsa_user_sgpr_count 2
		.amdhsa_user_sgpr_dispatch_ptr 0
		.amdhsa_user_sgpr_queue_ptr 0
		.amdhsa_user_sgpr_kernarg_segment_ptr 1
		.amdhsa_user_sgpr_dispatch_id 0
		.amdhsa_user_sgpr_kernarg_preload_length 0
		.amdhsa_user_sgpr_kernarg_preload_offset 0
		.amdhsa_user_sgpr_private_segment_size 0
		.amdhsa_uses_dynamic_stack 0
		.amdhsa_enable_private_segment 1
		.amdhsa_system_sgpr_workgroup_id_x 1
		.amdhsa_system_sgpr_workgroup_id_y 0
		.amdhsa_system_sgpr_workgroup_id_z 0
		.amdhsa_system_sgpr_workgroup_info 0
		.amdhsa_system_vgpr_workitem_id 0
		.amdhsa_next_free_vgpr 50
		.amdhsa_next_free_sgpr 34
		.amdhsa_accum_offset 52
		.amdhsa_reserve_vcc 1
		.amdhsa_float_round_mode_32 0
		.amdhsa_float_round_mode_16_64 0
		.amdhsa_float_denorm_mode_32 3
		.amdhsa_float_denorm_mode_16_64 3
		.amdhsa_dx10_clamp 1
		.amdhsa_ieee_mode 1
		.amdhsa_fp16_overflow 0
		.amdhsa_tg_split 0
		.amdhsa_exception_fp_ieee_invalid_op 0
		.amdhsa_exception_fp_denorm_src 0
		.amdhsa_exception_fp_ieee_div_zero 0
		.amdhsa_exception_fp_ieee_overflow 0
		.amdhsa_exception_fp_ieee_underflow 0
		.amdhsa_exception_fp_ieee_inexact 0
		.amdhsa_exception_int_div_zero 0
	.end_amdhsa_kernel
	.section	.text._ZL18flash_attn_ext_f16ILi80ELi80ELi64ELi1ELb1ELb0EEvPKcS1_S1_S1_S1_PKiPfP15HIP_vector_typeIfLj2EEffffjfiS5_IjLj3EEiiiiiiiiiiiliiliiiiil,"axG",@progbits,_ZL18flash_attn_ext_f16ILi80ELi80ELi64ELi1ELb1ELb0EEvPKcS1_S1_S1_S1_PKiPfP15HIP_vector_typeIfLj2EEffffjfiS5_IjLj3EEiiiiiiiiiiiliiliiiiil,comdat
.Lfunc_end10:
	.size	_ZL18flash_attn_ext_f16ILi80ELi80ELi64ELi1ELb1ELb0EEvPKcS1_S1_S1_S1_PKiPfP15HIP_vector_typeIfLj2EEffffjfiS5_IjLj3EEiiiiiiiiiiiliiliiiiil, .Lfunc_end10-_ZL18flash_attn_ext_f16ILi80ELi80ELi64ELi1ELb1ELb0EEvPKcS1_S1_S1_S1_PKiPfP15HIP_vector_typeIfLj2EEffffjfiS5_IjLj3EEiiiiiiiiiiiliiliiiiil
                                        ; -- End function
	.set _ZL18flash_attn_ext_f16ILi80ELi80ELi64ELi1ELb1ELb0EEvPKcS1_S1_S1_S1_PKiPfP15HIP_vector_typeIfLj2EEffffjfiS5_IjLj3EEiiiiiiiiiiiliiliiiiil.num_vgpr, max(0, .L_ZL14no_device_codePKciS0_iS0_.num_vgpr)
	.set _ZL18flash_attn_ext_f16ILi80ELi80ELi64ELi1ELb1ELb0EEvPKcS1_S1_S1_S1_PKiPfP15HIP_vector_typeIfLj2EEffffjfiS5_IjLj3EEiiiiiiiiiiiliiliiiiil.num_agpr, max(0, .L_ZL14no_device_codePKciS0_iS0_.num_agpr)
	.set _ZL18flash_attn_ext_f16ILi80ELi80ELi64ELi1ELb1ELb0EEvPKcS1_S1_S1_S1_PKiPfP15HIP_vector_typeIfLj2EEffffjfiS5_IjLj3EEiiiiiiiiiiiliiliiiiil.numbered_sgpr, max(33, .L_ZL14no_device_codePKciS0_iS0_.numbered_sgpr)
	.set _ZL18flash_attn_ext_f16ILi80ELi80ELi64ELi1ELb1ELb0EEvPKcS1_S1_S1_S1_PKiPfP15HIP_vector_typeIfLj2EEffffjfiS5_IjLj3EEiiiiiiiiiiiliiliiiiil.num_named_barrier, max(0, .L_ZL14no_device_codePKciS0_iS0_.num_named_barrier)
	.set _ZL18flash_attn_ext_f16ILi80ELi80ELi64ELi1ELb1ELb0EEvPKcS1_S1_S1_S1_PKiPfP15HIP_vector_typeIfLj2EEffffjfiS5_IjLj3EEiiiiiiiiiiiliiliiiiil.private_seg_size, 0+max(.L_ZL14no_device_codePKciS0_iS0_.private_seg_size)
	.set _ZL18flash_attn_ext_f16ILi80ELi80ELi64ELi1ELb1ELb0EEvPKcS1_S1_S1_S1_PKiPfP15HIP_vector_typeIfLj2EEffffjfiS5_IjLj3EEiiiiiiiiiiiliiliiiiil.uses_vcc, or(1, .L_ZL14no_device_codePKciS0_iS0_.uses_vcc)
	.set _ZL18flash_attn_ext_f16ILi80ELi80ELi64ELi1ELb1ELb0EEvPKcS1_S1_S1_S1_PKiPfP15HIP_vector_typeIfLj2EEffffjfiS5_IjLj3EEiiiiiiiiiiiliiliiiiil.uses_flat_scratch, or(0, .L_ZL14no_device_codePKciS0_iS0_.uses_flat_scratch)
	.set _ZL18flash_attn_ext_f16ILi80ELi80ELi64ELi1ELb1ELb0EEvPKcS1_S1_S1_S1_PKiPfP15HIP_vector_typeIfLj2EEffffjfiS5_IjLj3EEiiiiiiiiiiiliiliiiiil.has_dyn_sized_stack, or(0, .L_ZL14no_device_codePKciS0_iS0_.has_dyn_sized_stack)
	.set _ZL18flash_attn_ext_f16ILi80ELi80ELi64ELi1ELb1ELb0EEvPKcS1_S1_S1_S1_PKiPfP15HIP_vector_typeIfLj2EEffffjfiS5_IjLj3EEiiiiiiiiiiiliiliiiiil.has_recursion, or(0, .L_ZL14no_device_codePKciS0_iS0_.has_recursion)
	.set _ZL18flash_attn_ext_f16ILi80ELi80ELi64ELi1ELb1ELb0EEvPKcS1_S1_S1_S1_PKiPfP15HIP_vector_typeIfLj2EEffffjfiS5_IjLj3EEiiiiiiiiiiiliiliiiiil.has_indirect_call, or(0, .L_ZL14no_device_codePKciS0_iS0_.has_indirect_call)
	.section	.AMDGPU.csdata,"",@progbits
; Kernel info:
; codeLenInByte = 40
; TotalNumSgprs: 40
; NumVgprs: 50
; NumAgprs: 0
; TotalNumVgprs: 50
; ScratchSize: 16
; MemoryBound: 0
; FloatMode: 240
; IeeeMode: 1
; LDSByteSize: 0 bytes/workgroup (compile time only)
; SGPRBlocks: 4
; VGPRBlocks: 6
; NumSGPRsForWavesPerEU: 40
; NumVGPRsForWavesPerEU: 50
; AccumOffset: 52
; Occupancy: 8
; WaveLimiterHint : 1
; COMPUTE_PGM_RSRC2:SCRATCH_EN: 1
; COMPUTE_PGM_RSRC2:USER_SGPR: 2
; COMPUTE_PGM_RSRC2:TRAP_HANDLER: 0
; COMPUTE_PGM_RSRC2:TGID_X_EN: 1
; COMPUTE_PGM_RSRC2:TGID_Y_EN: 0
; COMPUTE_PGM_RSRC2:TGID_Z_EN: 0
; COMPUTE_PGM_RSRC2:TIDIG_COMP_CNT: 0
; COMPUTE_PGM_RSRC3_GFX90A:ACCUM_OFFSET: 12
; COMPUTE_PGM_RSRC3_GFX90A:TG_SPLIT: 0
	.section	.text._ZL33flash_attn_stream_k_fixup_uniformILi80ELi64ELi1EEvPfPK15HIP_vector_typeIfLj2EEiiiiiiS1_IjLj3EES5_S5_,"axG",@progbits,_ZL33flash_attn_stream_k_fixup_uniformILi80ELi64ELi1EEvPfPK15HIP_vector_typeIfLj2EEiiiiiiS1_IjLj3EES5_S5_,comdat
	.globl	_ZL33flash_attn_stream_k_fixup_uniformILi80ELi64ELi1EEvPfPK15HIP_vector_typeIfLj2EEiiiiiiS1_IjLj3EES5_S5_ ; -- Begin function _ZL33flash_attn_stream_k_fixup_uniformILi80ELi64ELi1EEvPfPK15HIP_vector_typeIfLj2EEiiiiiiS1_IjLj3EES5_S5_
	.p2align	8
	.type	_ZL33flash_attn_stream_k_fixup_uniformILi80ELi64ELi1EEvPfPK15HIP_vector_typeIfLj2EEiiiiiiS1_IjLj3EES5_S5_,@function
_ZL33flash_attn_stream_k_fixup_uniformILi80ELi64ELi1EEvPfPK15HIP_vector_typeIfLj2EEiiiiiiS1_IjLj3EES5_S5_: ; @_ZL33flash_attn_stream_k_fixup_uniformILi80ELi64ELi1EEvPfPK15HIP_vector_typeIfLj2EEiiiiiiS1_IjLj3EES5_S5_
; %bb.0:
	s_load_dwordx8 s[8:15], s[0:1], 0x1c
	s_load_dwordx2 s[6:7], s[0:1], 0x10
	s_load_dwordx4 s[16:19], s[0:1], 0x3c
	s_waitcnt lgkmcnt(0)
	s_mul_hi_u32 s5, s11, s2
	s_add_i32 s5, s2, s5
	s_lshr_b32 s5, s5, s12
	s_mul_i32 s11, s5, s13
	s_sub_i32 s12, s2, s11
	s_mul_hi_u32 s11, s12, s14
	s_add_i32 s11, s12, s11
	s_lshr_b32 s11, s11, s15
	s_mul_i32 s13, s11, s16
	s_sub_i32 s12, s12, s13
	;; [unrolled: 5-line block ×3, first 2 shown]
	s_lshl_b32 s12, s17, 6
	s_add_i32 s12, s12, s3
	s_cmp_lt_i32 s12, s6
	s_cselect_b64 s[12:13], -1, 0
	s_add_i32 s16, s16, s4
	s_cmp_lt_i32 s16, s9
	s_cselect_b64 s[14:15], -1, 0
	s_and_b64 s[12:13], s[12:13], s[14:15]
	s_andn2_b64 vcc, exec, s[12:13]
	s_cbranch_vccnz .LBB11_6
; %bb.1:
	s_load_dwordx4 s[12:15], s[0:1], 0x0
	s_mul_i32 s0, s5, s6
	s_mul_i32 s11, s11, s9
	s_add_i32 s0, s0, s3
	s_mul_i32 s1, s7, s17
	s_mul_i32 s0, s0, s7
	s_add_i32 s5, s16, s11
	s_mulk_i32 s1, 0x1400
	s_add_i32 s0, s5, s0
	s_mulk_i32 s0, 0x50
	v_or_b32_e32 v1, s1, v0
	v_add_u32_e32 v4, s0, v1
	s_waitcnt lgkmcnt(0)
	v_mov_b32_e32 v2, s12
	v_mov_b32_e32 v3, s13
	v_ashrrev_i32_e32 v5, 31, v4
	v_lshl_add_u64 v[2:3], v[4:5], 2, v[2:3]
	global_load_dword v5, v[2:3], off
	s_mul_i32 s6, s10, s2
	s_add_i32 s7, s6, s10
	s_add_i32 s3, s3, s4
	s_lshl_b32 s0, s7, 6
	s_add_i32 s0, s3, s0
	s_sub_i32 s0, s0, 64
	s_ashr_i32 s1, s0, 31
	s_lshl_b64 s[0:1], s[0:1], 3
	s_add_u32 s0, s14, s0
	s_addc_u32 s1, s15, s1
	s_load_dword s9, s[0:1], 0x4
	s_add_i32 s4, s7, -2
	s_cmp_lt_i32 s4, s6
	s_cbranch_scc1 .LBB11_4
; %bb.2:
	s_lshl_b32 s4, s8, 8
	s_ashr_i32 s5, s4, 31
	s_lshl_b64 s[4:5], s[4:5], 2
	s_add_u32 s4, s14, s4
	s_addc_u32 s5, s15, s5
	s_load_dword s0, s[0:1], 0x0
	s_add_i32 s2, s2, 1
	s_mul_i32 s10, s10, s2
	s_mul_i32 s1, s3, 0x50
	s_lshl_b32 s2, s10, 6
	s_mulk_i32 s10, 0x1400
	s_add_i32 s2, s3, s2
	s_lshl_b32 s3, s8, 6
	s_add_i32 s1, s1, s10
	s_add_i32 s2, s2, s3
	v_add_u32_e32 v0, s1, v0
	s_add_i32 s7, s7, -1
	s_addk_i32 s2, 0xff80
	v_add_u32_e32 v0, 0xffffd800, v0
	s_waitcnt lgkmcnt(0)
	v_mov_b32_e32 v7, s0
	v_mov_b32_e32 v4, s9
	s_mov_b32 s8, 0x3fb8aa3b
	s_mov_b32 s9, 0xc2ce8ed0
	;; [unrolled: 1-line block ×3, first 2 shown]
	v_mov_b32_e32 v6, 0x7f800000
	s_mov_b32 s11, 0xc1a00000
.LBB11_3:                               ; =>This Inner Loop Header: Depth=1
	v_ashrrev_i32_e32 v1, 31, v0
	v_lshl_add_u64 v[8:9], v[0:1], 2, s[4:5]
	global_load_dword v9, v[8:9], off
	s_ashr_i32 s3, s2, 31
	s_lshl_b64 s[0:1], s[2:3], 3
	s_add_u32 s0, s14, s0
	s_addc_u32 s1, s15, s1
	s_load_dwordx2 s[0:1], s[0:1], 0x0
	v_max_f32_e32 v1, v7, v7
	s_add_i32 s7, s7, -1
	s_sub_i32 s2, s2, 64
	v_add_u32_e32 v0, 0xffffec00, v0
	s_waitcnt lgkmcnt(0)
	v_max_f32_e64 v10, s0, s0
	v_max_f32_e32 v1, v1, v10
	v_sub_f32_e32 v11, s0, v1
	v_sub_f32_e32 v10, v7, v1
	v_mul_f32_e32 v12, 0x3fb8aa3b, v11
	v_mov_b32_e32 v7, v1
	v_mul_f32_e32 v1, 0x3fb8aa3b, v10
	v_fma_f32 v15, v11, s8, -v12
	v_rndne_f32_e32 v16, v12
	v_fma_f32 v13, v10, s8, -v1
	v_rndne_f32_e32 v14, v1
	v_fmac_f32_e32 v15, 0x32a5705f, v11
	v_sub_f32_e32 v12, v12, v16
	v_fmac_f32_e32 v13, 0x32a5705f, v10
	v_sub_f32_e32 v1, v1, v14
	v_add_f32_e32 v12, v12, v15
	v_cvt_i32_f32_e32 v16, v16
	v_add_f32_e32 v1, v1, v13
	v_exp_f32_e32 v12, v12
	v_cvt_i32_f32_e32 v14, v14
	v_exp_f32_e32 v1, v1
	v_cmp_ngt_f32_e32 vcc, s9, v11
	v_ldexp_f32 v12, v12, v16
	v_mov_b32_e32 v8, s1
	v_ldexp_f32 v1, v1, v14
	v_cmp_ngt_f32_e64 s[0:1], s9, v10
	v_cndmask_b32_e32 v12, 0, v12, vcc
	v_cmp_nlt_f32_e32 vcc, s10, v11
	v_cndmask_b32_e64 v1, 0, v1, s[0:1]
	v_cmp_nlt_f32_e64 s[0:1], s10, v10
	v_cndmask_b32_e32 v12, v6, v12, vcc
	v_cmp_le_f32_e32 vcc, s11, v11
	v_cndmask_b32_e64 v1, v6, v1, s[0:1]
	v_cmp_le_f32_e64 s[0:1], s11, v10
	v_cndmask_b32_e32 v12, 0, v12, vcc
	s_cmp_le_i32 s7, s6
	v_cndmask_b32_e64 v10, 0, v1, s[0:1]
	s_waitcnt vmcnt(0)
	v_pk_mul_f32 v[8:9], v[8:9], v[12:13] op_sel_hi:[1,0]
	s_nop 0
	v_pk_fma_f32 v[4:5], v[4:5], v[10:11], v[8:9] op_sel_hi:[1,0,1]
	s_cbranch_scc0 .LBB11_3
	s_branch .LBB11_5
.LBB11_4:
	s_waitcnt lgkmcnt(0)
	v_mov_b32_e32 v4, s9
.LBB11_5:
	s_waitcnt vmcnt(0)
	v_div_scale_f32 v0, s[0:1], v4, v4, v5
	v_rcp_f32_e32 v1, v0
	v_div_scale_f32 v6, vcc, v5, v4, v5
	v_fma_f32 v7, -v0, v1, 1.0
	v_fmac_f32_e32 v1, v7, v1
	v_mul_f32_e32 v7, v6, v1
	v_fma_f32 v8, -v0, v7, v6
	v_fmac_f32_e32 v7, v8, v1
	v_fma_f32 v0, -v0, v7, v6
	v_div_fmas_f32 v0, v0, v1, v7
	v_div_fixup_f32 v0, v0, v4, v5
	global_store_dword v[2:3], v0, off
.LBB11_6:
	s_endpgm
	.section	.rodata,"a",@progbits
	.p2align	6, 0x0
	.amdhsa_kernel _ZL33flash_attn_stream_k_fixup_uniformILi80ELi64ELi1EEvPfPK15HIP_vector_typeIfLj2EEiiiiiiS1_IjLj3EES5_S5_
		.amdhsa_group_segment_fixed_size 0
		.amdhsa_private_segment_fixed_size 0
		.amdhsa_kernarg_size 76
		.amdhsa_user_sgpr_count 2
		.amdhsa_user_sgpr_dispatch_ptr 0
		.amdhsa_user_sgpr_queue_ptr 0
		.amdhsa_user_sgpr_kernarg_segment_ptr 1
		.amdhsa_user_sgpr_dispatch_id 0
		.amdhsa_user_sgpr_kernarg_preload_length 0
		.amdhsa_user_sgpr_kernarg_preload_offset 0
		.amdhsa_user_sgpr_private_segment_size 0
		.amdhsa_uses_dynamic_stack 0
		.amdhsa_enable_private_segment 0
		.amdhsa_system_sgpr_workgroup_id_x 1
		.amdhsa_system_sgpr_workgroup_id_y 1
		.amdhsa_system_sgpr_workgroup_id_z 1
		.amdhsa_system_sgpr_workgroup_info 0
		.amdhsa_system_vgpr_workitem_id 0
		.amdhsa_next_free_vgpr 17
		.amdhsa_next_free_sgpr 20
		.amdhsa_accum_offset 20
		.amdhsa_reserve_vcc 1
		.amdhsa_float_round_mode_32 0
		.amdhsa_float_round_mode_16_64 0
		.amdhsa_float_denorm_mode_32 3
		.amdhsa_float_denorm_mode_16_64 3
		.amdhsa_dx10_clamp 1
		.amdhsa_ieee_mode 1
		.amdhsa_fp16_overflow 0
		.amdhsa_tg_split 0
		.amdhsa_exception_fp_ieee_invalid_op 0
		.amdhsa_exception_fp_denorm_src 0
		.amdhsa_exception_fp_ieee_div_zero 0
		.amdhsa_exception_fp_ieee_overflow 0
		.amdhsa_exception_fp_ieee_underflow 0
		.amdhsa_exception_fp_ieee_inexact 0
		.amdhsa_exception_int_div_zero 0
	.end_amdhsa_kernel
	.section	.text._ZL33flash_attn_stream_k_fixup_uniformILi80ELi64ELi1EEvPfPK15HIP_vector_typeIfLj2EEiiiiiiS1_IjLj3EES5_S5_,"axG",@progbits,_ZL33flash_attn_stream_k_fixup_uniformILi80ELi64ELi1EEvPfPK15HIP_vector_typeIfLj2EEiiiiiiS1_IjLj3EES5_S5_,comdat
.Lfunc_end11:
	.size	_ZL33flash_attn_stream_k_fixup_uniformILi80ELi64ELi1EEvPfPK15HIP_vector_typeIfLj2EEiiiiiiS1_IjLj3EES5_S5_, .Lfunc_end11-_ZL33flash_attn_stream_k_fixup_uniformILi80ELi64ELi1EEvPfPK15HIP_vector_typeIfLj2EEiiiiiiS1_IjLj3EES5_S5_
                                        ; -- End function
	.set _ZL33flash_attn_stream_k_fixup_uniformILi80ELi64ELi1EEvPfPK15HIP_vector_typeIfLj2EEiiiiiiS1_IjLj3EES5_S5_.num_vgpr, 17
	.set _ZL33flash_attn_stream_k_fixup_uniformILi80ELi64ELi1EEvPfPK15HIP_vector_typeIfLj2EEiiiiiiS1_IjLj3EES5_S5_.num_agpr, 0
	.set _ZL33flash_attn_stream_k_fixup_uniformILi80ELi64ELi1EEvPfPK15HIP_vector_typeIfLj2EEiiiiiiS1_IjLj3EES5_S5_.numbered_sgpr, 20
	.set _ZL33flash_attn_stream_k_fixup_uniformILi80ELi64ELi1EEvPfPK15HIP_vector_typeIfLj2EEiiiiiiS1_IjLj3EES5_S5_.num_named_barrier, 0
	.set _ZL33flash_attn_stream_k_fixup_uniformILi80ELi64ELi1EEvPfPK15HIP_vector_typeIfLj2EEiiiiiiS1_IjLj3EES5_S5_.private_seg_size, 0
	.set _ZL33flash_attn_stream_k_fixup_uniformILi80ELi64ELi1EEvPfPK15HIP_vector_typeIfLj2EEiiiiiiS1_IjLj3EES5_S5_.uses_vcc, 1
	.set _ZL33flash_attn_stream_k_fixup_uniformILi80ELi64ELi1EEvPfPK15HIP_vector_typeIfLj2EEiiiiiiS1_IjLj3EES5_S5_.uses_flat_scratch, 0
	.set _ZL33flash_attn_stream_k_fixup_uniformILi80ELi64ELi1EEvPfPK15HIP_vector_typeIfLj2EEiiiiiiS1_IjLj3EES5_S5_.has_dyn_sized_stack, 0
	.set _ZL33flash_attn_stream_k_fixup_uniformILi80ELi64ELi1EEvPfPK15HIP_vector_typeIfLj2EEiiiiiiS1_IjLj3EES5_S5_.has_recursion, 0
	.set _ZL33flash_attn_stream_k_fixup_uniformILi80ELi64ELi1EEvPfPK15HIP_vector_typeIfLj2EEiiiiiiS1_IjLj3EES5_S5_.has_indirect_call, 0
	.section	.AMDGPU.csdata,"",@progbits
; Kernel info:
; codeLenInByte = 816
; TotalNumSgprs: 26
; NumVgprs: 17
; NumAgprs: 0
; TotalNumVgprs: 17
; ScratchSize: 0
; MemoryBound: 0
; FloatMode: 240
; IeeeMode: 1
; LDSByteSize: 0 bytes/workgroup (compile time only)
; SGPRBlocks: 3
; VGPRBlocks: 2
; NumSGPRsForWavesPerEU: 26
; NumVGPRsForWavesPerEU: 17
; AccumOffset: 20
; Occupancy: 8
; WaveLimiterHint : 0
; COMPUTE_PGM_RSRC2:SCRATCH_EN: 0
; COMPUTE_PGM_RSRC2:USER_SGPR: 2
; COMPUTE_PGM_RSRC2:TRAP_HANDLER: 0
; COMPUTE_PGM_RSRC2:TGID_X_EN: 1
; COMPUTE_PGM_RSRC2:TGID_Y_EN: 1
; COMPUTE_PGM_RSRC2:TGID_Z_EN: 1
; COMPUTE_PGM_RSRC2:TIDIG_COMP_CNT: 0
; COMPUTE_PGM_RSRC3_GFX90A:ACCUM_OFFSET: 4
; COMPUTE_PGM_RSRC3_GFX90A:TG_SPLIT: 0
	.section	.text._ZL33flash_attn_stream_k_fixup_generalILi80ELi64ELi1EEvPfPK15HIP_vector_typeIfLj2EEiiiiS1_IjLj3EES5_S5_S5_,"axG",@progbits,_ZL33flash_attn_stream_k_fixup_generalILi80ELi64ELi1EEvPfPK15HIP_vector_typeIfLj2EEiiiiS1_IjLj3EES5_S5_S5_,comdat
	.globl	_ZL33flash_attn_stream_k_fixup_generalILi80ELi64ELi1EEvPfPK15HIP_vector_typeIfLj2EEiiiiS1_IjLj3EES5_S5_S5_ ; -- Begin function _ZL33flash_attn_stream_k_fixup_generalILi80ELi64ELi1EEvPfPK15HIP_vector_typeIfLj2EEiiiiS1_IjLj3EES5_S5_S5_
	.p2align	8
	.type	_ZL33flash_attn_stream_k_fixup_generalILi80ELi64ELi1EEvPfPK15HIP_vector_typeIfLj2EEiiiiS1_IjLj3EES5_S5_S5_,@function
_ZL33flash_attn_stream_k_fixup_generalILi80ELi64ELi1EEvPfPK15HIP_vector_typeIfLj2EEiiiiS1_IjLj3EES5_S5_S5_: ; @_ZL33flash_attn_stream_k_fixup_generalILi80ELi64ELi1EEvPfPK15HIP_vector_typeIfLj2EEiiiiS1_IjLj3EES5_S5_S5_
; %bb.0:
	s_load_dwordx4 s[8:11], s[0:1], 0x10
	s_load_dword s22, s[0:1], 0x50
	s_mov_b32 s12, 0
	s_waitcnt lgkmcnt(0)
	s_mul_hi_i32 s13, s11, s2
	s_cmp_lg_u64 s[12:13], 0
	s_mul_i32 s5, s11, s2
	s_cbranch_scc0 .LBB12_20
; %bb.1:
	s_add_u32 s6, s22, 0
	s_addc_u32 s7, 0, 0
	s_xor_b64 s[6:7], s[6:7], 0
	v_cvt_f32_u32_e32 v1, s6
	v_cvt_f32_u32_e32 v2, s7
	s_sub_u32 s12, 0, s6
	s_subb_u32 s18, 0, s7
	v_fmamk_f32 v1, v2, 0x4f800000, v1
	v_rcp_f32_e32 v1, v1
	s_nop 0
	v_mul_f32_e32 v1, 0x5f7ffffc, v1
	v_mul_f32_e32 v2, 0x2f800000, v1
	v_trunc_f32_e32 v2, v2
	v_fmamk_f32 v1, v2, 0xcf800000, v1
	v_cvt_u32_f32_e32 v2, v2
	v_cvt_u32_f32_e32 v1, v1
	v_readfirstlane_b32 s19, v2
	v_readfirstlane_b32 s14, v1
	s_mul_i32 s15, s12, s19
	s_mul_hi_u32 s21, s12, s14
	s_mul_i32 s20, s18, s14
	s_add_i32 s15, s21, s15
	s_add_i32 s15, s15, s20
	s_mul_i32 s23, s12, s14
	s_mul_i32 s21, s14, s15
	s_mul_hi_u32 s24, s14, s23
	s_mul_hi_u32 s20, s14, s15
	s_add_u32 s21, s24, s21
	s_addc_u32 s20, 0, s20
	s_mul_hi_u32 s25, s19, s23
	s_mul_i32 s23, s19, s23
	s_add_u32 s21, s21, s23
	s_mul_hi_u32 s24, s19, s15
	s_addc_u32 s20, s20, s25
	s_addc_u32 s21, s24, 0
	s_mul_i32 s15, s19, s15
	s_add_u32 s15, s20, s15
	s_addc_u32 s20, 0, s21
	s_add_u32 s21, s14, s15
	s_cselect_b64 s[14:15], -1, 0
	s_cmp_lg_u64 s[14:15], 0
	s_addc_u32 s19, s19, s20
	s_mul_i32 s14, s12, s19
	s_mul_hi_u32 s15, s12, s21
	s_add_i32 s14, s15, s14
	s_mul_i32 s18, s18, s21
	s_add_i32 s14, s14, s18
	s_mul_i32 s12, s12, s21
	s_mul_hi_u32 s18, s19, s12
	s_mul_i32 s20, s19, s12
	s_mul_i32 s24, s21, s14
	s_mul_hi_u32 s12, s21, s12
	s_mul_hi_u32 s23, s21, s14
	s_add_u32 s12, s12, s24
	s_addc_u32 s23, 0, s23
	s_add_u32 s12, s12, s20
	s_mul_hi_u32 s15, s19, s14
	s_addc_u32 s12, s23, s18
	s_addc_u32 s15, s15, 0
	s_mul_i32 s14, s19, s14
	s_add_u32 s12, s12, s14
	s_addc_u32 s18, 0, s15
	s_add_u32 s20, s21, s12
	s_cselect_b64 s[14:15], -1, 0
	s_cmp_lg_u64 s[14:15], 0
	s_addc_u32 s18, s19, s18
	s_ashr_i32 s14, s13, 31
	s_add_u32 s12, s5, s14
	s_mov_b32 s15, s14
	s_addc_u32 s13, s13, s14
	s_xor_b64 s[12:13], s[12:13], s[14:15]
	s_mul_i32 s21, s12, s18
	s_mul_hi_u32 s23, s12, s20
	s_mul_hi_u32 s19, s12, s18
	s_add_u32 s21, s23, s21
	s_addc_u32 s19, 0, s19
	s_mul_hi_u32 s24, s13, s20
	s_mul_i32 s20, s13, s20
	s_add_u32 s20, s21, s20
	s_mul_hi_u32 s23, s13, s18
	s_addc_u32 s19, s19, s24
	s_addc_u32 s20, s23, 0
	s_mul_i32 s18, s13, s18
	s_add_u32 s23, s19, s18
	s_addc_u32 s24, 0, s20
	s_mul_i32 s18, s6, s24
	s_mul_hi_u32 s19, s6, s23
	s_add_i32 s18, s19, s18
	s_mul_i32 s19, s7, s23
	s_add_i32 s25, s18, s19
	s_sub_i32 s20, s13, s25
	s_mul_i32 s18, s6, s23
	s_sub_u32 s12, s12, s18
	s_cselect_b64 s[18:19], -1, 0
	s_cmp_lg_u64 s[18:19], 0
	s_subb_u32 s26, s20, s7
	s_sub_u32 s27, s12, s6
	s_cselect_b64 s[20:21], -1, 0
	s_cmp_lg_u64 s[20:21], 0
	s_subb_u32 s20, s26, 0
	s_cmp_ge_u32 s20, s7
	s_cselect_b32 s21, -1, 0
	s_cmp_ge_u32 s27, s6
	s_cselect_b32 s26, -1, 0
	s_cmp_eq_u32 s20, s7
	s_cselect_b32 s20, s26, s21
	s_add_u32 s21, s23, 1
	s_addc_u32 s26, s24, 0
	s_add_u32 s27, s23, 2
	s_addc_u32 s28, s24, 0
	s_cmp_lg_u32 s20, 0
	s_cselect_b32 s20, s27, s21
	s_cselect_b32 s21, s28, s26
	s_cmp_lg_u64 s[18:19], 0
	s_subb_u32 s13, s13, s25
	s_cmp_ge_u32 s13, s7
	s_cselect_b32 s18, -1, 0
	s_cmp_ge_u32 s12, s6
	s_cselect_b32 s6, -1, 0
	s_cmp_eq_u32 s13, s7
	s_cselect_b32 s6, s6, s18
	s_cmp_lg_u32 s6, 0
	s_cselect_b32 s7, s21, s24
	s_cselect_b32 s6, s20, s23
	s_xor_b64 s[12:13], s[14:15], 0
	s_xor_b64 s[6:7], s[6:7], s[12:13]
	s_sub_u32 s6, s6, s12
	s_load_dwordx4 s[12:15], s[0:1], 0x44
	s_cbranch_execnz .LBB12_3
.LBB12_2:
	v_cvt_f32_u32_e32 v1, s22
	s_sub_i32 s6, 0, s22
	v_rcp_iflag_f32_e32 v1, v1
	s_nop 0
	v_mul_f32_e32 v1, 0x4f7ffffe, v1
	v_cvt_u32_f32_e32 v1, v1
	s_nop 0
	v_readfirstlane_b32 s7, v1
	s_mul_i32 s6, s6, s7
	s_mul_hi_u32 s6, s7, s6
	s_add_i32 s7, s7, s6
	s_mul_hi_u32 s6, s5, s7
	s_waitcnt lgkmcnt(0)
	s_mul_i32 s15, s6, s22
	s_sub_i32 s5, s5, s15
	s_add_i32 s7, s6, 1
	s_sub_i32 s15, s5, s22
	s_cmp_ge_u32 s5, s22
	s_cselect_b32 s6, s7, s6
	s_cselect_b32 s5, s15, s5
	s_add_i32 s7, s6, 1
	s_cmp_ge_u32 s5, s22
	s_cselect_b32 s6, s7, s6
.LBB12_3:
	s_add_i32 s5, s2, 1
	s_mul_hi_i32 s21, s11, s5
	s_mov_b32 s20, 0
	s_cmp_lg_u64 s[20:21], 0
	s_mul_i32 s5, s11, s5
	s_cbranch_scc0 .LBB12_21
; %bb.4:
	s_add_u32 s16, s22, 0
	s_addc_u32 s17, 0, 0
	s_xor_b64 s[18:19], s[16:17], 0
	v_cvt_f32_u32_e32 v1, s18
	v_cvt_f32_u32_e32 v2, s19
	s_sub_u32 s7, 0, s18
	s_waitcnt lgkmcnt(0)
	s_subb_u32 s15, 0, s19
	v_fmamk_f32 v1, v2, 0x4f800000, v1
	v_rcp_f32_e32 v1, v1
	s_nop 0
	v_mul_f32_e32 v1, 0x5f7ffffc, v1
	v_mul_f32_e32 v2, 0x2f800000, v1
	v_trunc_f32_e32 v2, v2
	v_fmamk_f32 v1, v2, 0xcf800000, v1
	v_cvt_u32_f32_e32 v2, v2
	v_cvt_u32_f32_e32 v1, v1
	v_readfirstlane_b32 s20, v2
	v_readfirstlane_b32 s23, v1
	s_mul_i32 s24, s7, s20
	s_mul_hi_u32 s26, s7, s23
	s_mul_i32 s25, s15, s23
	s_add_i32 s24, s26, s24
	s_add_i32 s24, s24, s25
	s_mul_i32 s27, s7, s23
	s_mul_i32 s26, s23, s24
	s_mul_hi_u32 s28, s23, s27
	s_mul_hi_u32 s25, s23, s24
	s_add_u32 s26, s28, s26
	s_addc_u32 s25, 0, s25
	s_mul_hi_u32 s29, s20, s27
	s_mul_i32 s27, s20, s27
	s_add_u32 s26, s26, s27
	s_mul_hi_u32 s28, s20, s24
	s_addc_u32 s25, s25, s29
	s_addc_u32 s26, s28, 0
	s_mul_i32 s24, s20, s24
	s_add_u32 s24, s25, s24
	s_addc_u32 s26, 0, s26
	s_add_u32 s23, s23, s24
	s_cselect_b64 s[24:25], -1, 0
	s_cmp_lg_u64 s[24:25], 0
	s_addc_u32 s20, s20, s26
	s_mul_i32 s24, s7, s20
	s_mul_hi_u32 s25, s7, s23
	s_add_i32 s24, s25, s24
	s_mul_i32 s15, s15, s23
	s_add_i32 s24, s24, s15
	s_mul_i32 s7, s7, s23
	s_mul_hi_u32 s25, s20, s7
	s_mul_i32 s26, s20, s7
	s_mul_i32 s28, s23, s24
	s_mul_hi_u32 s7, s23, s7
	s_mul_hi_u32 s27, s23, s24
	s_add_u32 s7, s7, s28
	s_addc_u32 s27, 0, s27
	s_add_u32 s7, s7, s26
	s_mul_hi_u32 s15, s20, s24
	s_addc_u32 s7, s27, s25
	s_addc_u32 s15, s15, 0
	s_mul_i32 s24, s20, s24
	s_add_u32 s7, s7, s24
	s_addc_u32 s15, 0, s15
	s_add_u32 s7, s23, s7
	s_cselect_b64 s[24:25], -1, 0
	s_cmp_lg_u64 s[24:25], 0
	s_addc_u32 s15, s20, s15
	s_ashr_i32 s24, s21, 31
	s_add_u32 s20, s5, s24
	s_mov_b32 s25, s24
	s_addc_u32 s21, s21, s24
	s_xor_b64 s[20:21], s[20:21], s[24:25]
	s_mul_i32 s26, s20, s15
	s_mul_hi_u32 s27, s20, s7
	s_mul_hi_u32 s23, s20, s15
	s_add_u32 s26, s27, s26
	s_addc_u32 s23, 0, s23
	s_mul_hi_u32 s28, s21, s7
	s_mul_i32 s7, s21, s7
	s_add_u32 s7, s26, s7
	s_mul_hi_u32 s27, s21, s15
	s_addc_u32 s7, s23, s28
	s_addc_u32 s23, s27, 0
	s_mul_i32 s15, s21, s15
	s_add_u32 s7, s7, s15
	s_addc_u32 s15, 0, s23
	s_mul_i32 s23, s18, s15
	s_mul_hi_u32 s26, s18, s7
	s_add_i32 s23, s26, s23
	s_mul_i32 s26, s19, s7
	s_add_i32 s23, s23, s26
	s_sub_i32 s28, s21, s23
	s_mul_i32 s26, s18, s7
	s_sub_u32 s20, s20, s26
	s_cselect_b64 s[26:27], -1, 0
	s_cmp_lg_u64 s[26:27], 0
	s_subb_u32 s30, s28, s19
	s_sub_u32 s31, s20, s18
	s_cselect_b64 s[28:29], -1, 0
	s_cmp_lg_u64 s[28:29], 0
	s_subb_u32 s28, s30, 0
	s_cmp_ge_u32 s28, s19
	s_cselect_b32 s29, -1, 0
	s_cmp_ge_u32 s31, s18
	s_cselect_b32 s30, -1, 0
	s_cmp_eq_u32 s28, s19
	s_cselect_b32 s28, s30, s29
	s_add_u32 s29, s7, 1
	s_addc_u32 s30, s15, 0
	s_add_u32 s31, s7, 2
	s_addc_u32 s33, s15, 0
	s_cmp_lg_u32 s28, 0
	s_cselect_b32 s28, s31, s29
	s_cselect_b32 s29, s33, s30
	s_cmp_lg_u64 s[26:27], 0
	s_subb_u32 s21, s21, s23
	s_cmp_ge_u32 s21, s19
	s_cselect_b32 s23, -1, 0
	s_cmp_ge_u32 s20, s18
	s_cselect_b32 s18, -1, 0
	s_cmp_eq_u32 s21, s19
	s_cselect_b32 s18, s18, s23
	s_cmp_lg_u32 s18, 0
	s_cselect_b32 s19, s29, s15
	s_cselect_b32 s18, s28, s7
	s_xor_b64 s[20:21], s[24:25], 0
	s_xor_b64 s[18:19], s[18:19], s[20:21]
	s_sub_u32 s18, s18, s20
	s_cbranch_execnz .LBB12_6
.LBB12_5:
	v_cvt_f32_u32_e32 v1, s22
	s_sub_i32 s7, 0, s22
	v_rcp_iflag_f32_e32 v1, v1
	s_nop 0
	v_mul_f32_e32 v1, 0x4f7ffffe, v1
	v_cvt_u32_f32_e32 v1, v1
	s_waitcnt lgkmcnt(0)
	v_readfirstlane_b32 s15, v1
	s_mul_i32 s7, s7, s15
	s_mul_hi_u32 s7, s15, s7
	s_add_i32 s15, s15, s7
	s_mul_hi_u32 s7, s5, s15
	s_mul_i32 s16, s7, s22
	s_sub_i32 s5, s5, s16
	s_add_i32 s15, s7, 1
	s_sub_i32 s16, s5, s22
	s_cmp_ge_u32 s5, s22
	s_cselect_b32 s7, s15, s7
	s_cselect_b32 s5, s16, s5
	s_add_i32 s15, s7, 1
	s_cmp_ge_u32 s5, s22
	s_cselect_b32 s18, s15, s7
.LBB12_6:
	s_cmp_eq_u32 s6, s18
	s_waitcnt lgkmcnt(0)
	s_mul_hi_u32 s5, s6, s12
	s_cselect_b64 s[16:17], -1, 0
	s_add_i32 s5, s5, s6
	s_lshr_b32 s7, s5, s13
	s_mul_i32 s5, s7, s14
	s_cmp_eq_u32 s5, s6
	s_mul_hi_u32 s5, s18, s12
	s_cselect_b64 s[20:21], -1, 0
	s_add_i32 s5, s5, s18
	s_lshr_b32 s5, s5, s13
	s_cmp_eq_u32 s7, s5
	s_mul_i32 s5, s5, s14
	s_cselect_b64 s[24:25], -1, 0
	s_cmp_lg_u32 s5, s18
	s_cselect_b64 s[18:19], -1, 0
	s_and_b64 s[18:19], s[24:25], s[18:19]
	s_or_b64 s[16:17], s[16:17], s[20:21]
	s_or_b64 s[16:17], s[16:17], s[18:19]
	s_and_b64 vcc, exec, s[16:17]
	s_cbranch_vccnz .LBB12_23
; %bb.7:
	s_load_dwordx8 s[24:31], s[0:1], 0x20
	s_load_dword s5, s[0:1], 0x40
	s_waitcnt lgkmcnt(0)
	s_mul_hi_u32 s15, s6, s24
	s_add_i32 s15, s15, s6
	s_lshr_b32 s20, s15, s25
	s_mul_i32 s15, s20, s26
	s_sub_i32 s15, s6, s15
	s_mul_hi_u32 s16, s15, s27
	s_add_i32 s16, s15, s16
	s_lshr_b32 s21, s16, s28
	s_mul_i32 s16, s21, s29
	s_sub_i32 s15, s15, s16
	;; [unrolled: 5-line block ×3, first 2 shown]
	s_mul_hi_u32 s15, s5, s12
	s_add_i32 s5, s5, s15
	s_lshr_b32 s23, s5, s13
	s_lshl_b32 s5, s23, 6
	s_add_i32 s5, s5, s3
	s_cmp_lt_i32 s5, s8
	s_cselect_b64 s[16:17], -1, 0
	s_add_i32 s24, s24, s4
	s_cmp_lt_i32 s24, s10
	s_cselect_b64 s[18:19], -1, 0
	s_and_b64 s[16:17], s[16:17], s[18:19]
	s_andn2_b64 vcc, exec, s[16:17]
	s_cbranch_vccnz .LBB12_23
; %bb.8:
	s_load_dwordx4 s[16:19], s[0:1], 0x0
	s_mov_b32 s0, 0
	s_add_i32 s15, s3, s4
	s_lshl_b32 s4, s22, 8
	s_mov_b32 s5, s0
	s_lshl_b64 s[4:5], s[4:5], 2
	s_waitcnt lgkmcnt(0)
	s_add_u32 s4, s18, s4
	s_mul_i32 s1, s20, s8
	s_addc_u32 s5, s19, s5
	s_mul_i32 s21, s21, s10
	s_add_i32 s1, s1, s3
	s_mul_i32 s1, s1, s9
	s_add_i32 s3, s24, s21
	;; [unrolled: 2-line block ×3, first 2 shown]
	s_mulk_i32 s8, 0x1400
	s_mulk_i32 s1, 0x50
	s_add_i32 s8, s8, s1
	v_add_u32_e32 v4, s8, v0
	v_mov_b32_e32 v2, s16
	v_mov_b32_e32 v3, s17
	v_ashrrev_i32_e32 v5, 31, v4
	v_lshl_add_u64 v[2:3], v[4:5], 2, v[2:3]
	global_load_dword v1, v[2:3], off
	v_cvt_f32_u32_e32 v4, s22
	s_lshl_b32 s1, s2, 6
	s_add_i32 s8, s1, s15
	s_ashr_i32 s9, s8, 31
	s_lshl_b64 s[8:9], s[8:9], 3
	v_rcp_iflag_f32_e32 v4, v4
	s_add_u32 s8, s18, s8
	s_addc_u32 s9, s19, s9
	s_load_dwordx2 s[8:9], s[8:9], 0x0
	v_mul_f32_e32 v4, 0x4f7ffffe, v4
	v_cvt_u32_f32_e32 v7, v4
	s_mul_i32 s1, s15, 0x50
	s_add_i32 s21, s2, -1
	v_add_u32_e32 v6, s1, v0
	s_waitcnt lgkmcnt(0)
	v_mov_b32_e32 v0, s9
	v_mov_b32_e32 v9, s8
	s_mov_b32 s10, 0x3fb8aa3b
	s_mov_b32 s20, 0xc2ce8ed0
	s_mov_b32 s23, 0x42b17218
	s_mov_b32 s24, 0xc1a00000
	v_mov_b32_e32 v8, 0x7f800000
	s_mul_hi_i32 s1, s21, s11
	s_cmp_lg_u64 s[0:1], 0
	s_mul_i32 s16, s21, s11
	s_cbranch_scc0 .LBB12_19
.LBB12_9:
	s_add_u32 s2, s22, 0
	s_addc_u32 s3, 0, 0
	s_xor_b64 s[2:3], s[2:3], 0
	v_cvt_f32_u32_e32 v4, s2
	v_cvt_f32_u32_e32 v5, s3
	s_sub_u32 s17, 0, s2
	s_subb_u32 s25, 0, s3
	v_fmac_f32_e32 v4, 0x4f800000, v5
	v_rcp_f32_e32 v4, v4
	s_nop 0
	v_mul_f32_e32 v4, 0x5f7ffffc, v4
	v_mul_f32_e32 v5, 0x2f800000, v4
	v_trunc_f32_e32 v5, v5
	v_fmac_f32_e32 v4, 0xcf800000, v5
	v_cvt_u32_f32_e32 v5, v5
	v_cvt_u32_f32_e32 v4, v4
	v_readfirstlane_b32 s26, v5
	v_readfirstlane_b32 s8, v4
	s_mul_i32 s9, s17, s26
	s_mul_hi_u32 s28, s17, s8
	s_mul_i32 s27, s25, s8
	s_add_i32 s9, s28, s9
	s_mul_i32 s29, s17, s8
	s_add_i32 s9, s9, s27
	s_mul_i32 s28, s8, s9
	s_mul_hi_u32 s30, s8, s29
	s_mul_hi_u32 s27, s8, s9
	s_add_u32 s28, s30, s28
	s_addc_u32 s27, 0, s27
	s_mul_hi_u32 s31, s26, s29
	s_mul_i32 s29, s26, s29
	s_add_u32 s28, s28, s29
	s_mul_hi_u32 s30, s26, s9
	s_addc_u32 s27, s27, s31
	s_addc_u32 s28, s30, 0
	s_mul_i32 s9, s26, s9
	s_add_u32 s9, s27, s9
	s_addc_u32 s27, 0, s28
	s_add_u32 s28, s8, s9
	s_cselect_b64 s[8:9], -1, 0
	s_cmp_lg_u64 s[8:9], 0
	s_addc_u32 s26, s26, s27
	s_mul_i32 s8, s17, s26
	s_mul_hi_u32 s9, s17, s28
	s_add_i32 s8, s9, s8
	s_mul_i32 s25, s25, s28
	s_add_i32 s8, s8, s25
	s_mul_i32 s17, s17, s28
	s_mul_hi_u32 s25, s26, s17
	s_mul_i32 s27, s26, s17
	s_mul_i32 s30, s28, s8
	s_mul_hi_u32 s17, s28, s17
	s_mul_hi_u32 s29, s28, s8
	s_add_u32 s17, s17, s30
	s_addc_u32 s29, 0, s29
	s_add_u32 s17, s17, s27
	s_mul_hi_u32 s9, s26, s8
	s_addc_u32 s17, s29, s25
	s_addc_u32 s9, s9, 0
	s_mul_i32 s8, s26, s8
	s_add_u32 s8, s17, s8
	s_addc_u32 s17, 0, s9
	s_add_u32 s25, s28, s8
	s_cselect_b64 s[8:9], -1, 0
	s_cmp_lg_u64 s[8:9], 0
	s_addc_u32 s17, s26, s17
	s_ashr_i32 s8, s1, 31
	s_add_u32 s26, s16, s8
	s_mov_b32 s9, s8
	s_addc_u32 s27, s1, s8
	s_xor_b64 s[26:27], s[26:27], s[8:9]
	s_mul_i32 s28, s26, s17
	s_mul_hi_u32 s29, s26, s25
	s_mul_hi_u32 s1, s26, s17
	s_add_u32 s28, s29, s28
	s_addc_u32 s1, 0, s1
	s_mul_hi_u32 s30, s27, s25
	s_mul_i32 s25, s27, s25
	s_add_u32 s25, s28, s25
	s_mul_hi_u32 s29, s27, s17
	s_addc_u32 s1, s1, s30
	s_addc_u32 s25, s29, 0
	s_mul_i32 s17, s27, s17
	s_add_u32 s1, s1, s17
	s_addc_u32 s17, 0, s25
	s_mul_i32 s25, s2, s17
	s_mul_hi_u32 s28, s2, s1
	s_add_i32 s25, s28, s25
	s_mul_i32 s28, s3, s1
	s_add_i32 s25, s25, s28
	s_sub_i32 s30, s27, s25
	s_mul_i32 s28, s2, s1
	s_sub_u32 s26, s26, s28
	s_cselect_b64 s[28:29], -1, 0
	s_cmp_lg_u64 s[28:29], 0
	s_subb_u32 s33, s30, s3
	s_sub_u32 s34, s26, s2
	s_cselect_b64 s[30:31], -1, 0
	s_cmp_lg_u64 s[30:31], 0
	s_subb_u32 s30, s33, 0
	s_cmp_ge_u32 s30, s3
	s_cselect_b32 s31, -1, 0
	s_cmp_ge_u32 s34, s2
	s_cselect_b32 s33, -1, 0
	s_cmp_eq_u32 s30, s3
	s_cselect_b32 s30, s33, s31
	s_add_u32 s31, s1, 1
	s_addc_u32 s33, s17, 0
	s_add_u32 s34, s1, 2
	s_addc_u32 s35, s17, 0
	s_cmp_lg_u32 s30, 0
	s_cselect_b32 s30, s34, s31
	s_cselect_b32 s31, s35, s33
	s_cmp_lg_u64 s[28:29], 0
	s_subb_u32 s25, s27, s25
	s_cmp_ge_u32 s25, s3
	s_cselect_b32 s27, -1, 0
	s_cmp_ge_u32 s26, s2
	s_cselect_b32 s2, -1, 0
	s_cmp_eq_u32 s25, s3
	s_cselect_b32 s2, s2, s27
	s_cmp_lg_u32 s2, 0
	s_cselect_b32 s3, s31, s17
	s_cselect_b32 s2, s30, s1
	s_xor_b64 s[8:9], s[8:9], 0
	s_xor_b64 s[2:3], s[2:3], s[8:9]
	s_sub_u32 s8, s2, s8
	s_cbranch_execnz .LBB12_11
.LBB12_10:
	s_sub_i32 s1, 0, s22
	v_readfirstlane_b32 s2, v7
	s_mul_i32 s1, s1, s2
	s_mul_hi_u32 s1, s2, s1
	s_add_i32 s2, s2, s1
	s_mul_hi_u32 s1, s16, s2
	s_mul_i32 s3, s1, s22
	s_sub_i32 s3, s16, s3
	s_add_i32 s2, s1, 1
	s_sub_i32 s8, s3, s22
	s_cmp_ge_u32 s3, s22
	s_cselect_b32 s1, s2, s1
	s_cselect_b32 s3, s8, s3
	s_add_i32 s2, s1, 1
	s_cmp_ge_u32 s3, s22
	s_cselect_b32 s8, s2, s1
.LBB12_11:
	s_cmp_lg_u32 s6, s8
	s_cbranch_scc0 .LBB12_15
; %bb.12:
	s_add_i32 s1, s21, s22
	s_lshl_b32 s1, s1, 6
	s_add_i32 s2, s1, s15
	s_mov_b32 s3, s0
	s_lshl_b64 s[2:3], s[2:3], 3
	s_add_u32 s16, s18, s2
	s_mul_hi_u32 s1, s8, s12
	s_addc_u32 s17, s19, s3
	s_add_i32 s1, s1, s8
	s_lshr_b32 s1, s1, s13
	s_mul_i32 s2, s1, s14
	s_cmp_eq_u32 s2, s8
	s_cselect_b64 s[2:3], -1, 0
	s_cmp_lt_u32 s1, s7
	s_cselect_b64 s[26:27], -1, 0
	s_or_b64 s[26:27], s[26:27], s[2:3]
	s_mov_b64 s[2:3], -1
	s_and_b64 vcc, exec, s[26:27]
	s_mov_b32 s1, s21
	s_mov_b32 s25, s6
	s_cbranch_vccnz .LBB12_14
; %bb.13:
	s_add_i32 s1, s21, -1
	s_mov_b64 s[2:3], 0
	s_mov_b32 s25, s8
.LBB12_14:
	s_mul_i32 s8, s21, 0x1400
	v_add_u32_e32 v4, s8, v6
	v_ashrrev_i32_e32 v5, 31, v4
	v_lshl_add_u64 v[4:5], v[4:5], 2, s[4:5]
	global_load_dword v5, v[4:5], off
	s_load_dwordx2 s[8:9], s[16:17], 0x0
	v_max_f32_e32 v4, v9, v9
	s_waitcnt lgkmcnt(0)
	v_max_f32_e64 v10, s8, s8
	v_max_f32_e32 v10, v4, v10
	v_sub_f32_e32 v11, v9, v10
	v_sub_f32_e32 v13, s8, v10
	v_mul_f32_e32 v4, 0x3fb8aa3b, v11
	v_mul_f32_e32 v12, 0x3fb8aa3b, v13
	v_fma_f32 v14, v11, s10, -v4
	v_rndne_f32_e32 v15, v4
	v_fma_f32 v16, v13, s10, -v12
	v_rndne_f32_e32 v17, v12
	v_fmac_f32_e32 v14, 0x32a5705f, v11
	v_sub_f32_e32 v4, v4, v15
	v_fmac_f32_e32 v16, 0x32a5705f, v13
	v_sub_f32_e32 v12, v12, v17
	v_add_f32_e32 v4, v4, v14
	v_cvt_i32_f32_e32 v15, v15
	v_add_f32_e32 v12, v12, v16
	v_exp_f32_e32 v14, v4
	v_cvt_i32_f32_e32 v17, v17
	v_exp_f32_e32 v12, v12
	v_cmp_ngt_f32_e32 vcc, s20, v11
	v_ldexp_f32 v14, v14, v15
	v_mov_b32_e32 v4, s9
	v_ldexp_f32 v12, v12, v17
	v_cndmask_b32_e32 v14, 0, v14, vcc
	v_cmp_ngt_f32_e32 vcc, s20, v13
	s_nop 1
	v_cndmask_b32_e32 v12, 0, v12, vcc
	v_cmp_nlt_f32_e32 vcc, s23, v11
	s_nop 1
	v_cndmask_b32_e32 v14, v8, v14, vcc
	v_cmp_nlt_f32_e32 vcc, s23, v13
	s_nop 1
	v_cndmask_b32_e32 v15, v8, v12, vcc
	v_cmp_le_f32_e32 vcc, s24, v11
	s_nop 1
	v_cndmask_b32_e32 v12, 0, v14, vcc
	v_cmp_le_f32_e32 vcc, s24, v13
	s_nop 1
	v_cndmask_b32_e32 v14, 0, v15, vcc
	s_waitcnt vmcnt(0)
	v_pk_mul_f32 v[4:5], v[4:5], v[14:15] op_sel_hi:[1,0]
	s_nop 0
	v_pk_fma_f32 v[4:5], v[0:1], v[12:13], v[4:5] op_sel_hi:[1,0,1]
	s_cbranch_execz .LBB12_16
	s_branch .LBB12_17
.LBB12_15:
                                        ; implicit-def: $vgpr4_vgpr5
                                        ; implicit-def: $sgpr2_sgpr3
                                        ; implicit-def: $vgpr10
                                        ; implicit-def: $sgpr1
                                        ; implicit-def: $sgpr25
.LBB12_16:
	s_add_i32 s1, s21, -1
	s_mov_b64 s[2:3], 0
	s_mov_b32 s25, s6
	v_mov_b32_e32 v10, v9
	s_waitcnt vmcnt(0)
	v_mov_b64_e32 v[4:5], v[0:1]
.LBB12_17:
	s_andn2_b64 vcc, exec, s[2:3]
	s_cbranch_vccz .LBB12_22
; %bb.18:
	s_mov_b32 s6, s25
	s_mov_b32 s21, s1
	v_mov_b32_e32 v9, v10
	s_waitcnt vmcnt(0)
	v_mov_b64_e32 v[0:1], v[4:5]
	s_mul_hi_i32 s1, s21, s11
	s_cmp_lg_u64 s[0:1], 0
	s_mul_i32 s16, s21, s11
	s_cbranch_scc1 .LBB12_9
.LBB12_19:
                                        ; implicit-def: $sgpr8_sgpr9
	s_branch .LBB12_10
.LBB12_20:
                                        ; implicit-def: $sgpr6_sgpr7
	s_load_dwordx4 s[12:15], s[0:1], 0x44
	s_branch .LBB12_2
.LBB12_21:
                                        ; implicit-def: $sgpr18_sgpr19
	s_branch .LBB12_5
.LBB12_22:
	v_div_scale_f32 v0, s[0:1], v4, v4, v5
	s_waitcnt vmcnt(0)
	v_rcp_f32_e32 v1, v0
	v_div_scale_f32 v6, vcc, v5, v4, v5
	v_fma_f32 v7, -v0, v1, 1.0
	v_fmac_f32_e32 v1, v7, v1
	v_mul_f32_e32 v7, v6, v1
	v_fma_f32 v8, -v0, v7, v6
	v_fmac_f32_e32 v7, v8, v1
	v_fma_f32 v0, -v0, v7, v6
	v_div_fmas_f32 v0, v0, v1, v7
	v_div_fixup_f32 v0, v0, v4, v5
	global_store_dword v[2:3], v0, off
.LBB12_23:
	s_endpgm
	.section	.rodata,"a",@progbits
	.p2align	6, 0x0
	.amdhsa_kernel _ZL33flash_attn_stream_k_fixup_generalILi80ELi64ELi1EEvPfPK15HIP_vector_typeIfLj2EEiiiiS1_IjLj3EES5_S5_S5_
		.amdhsa_group_segment_fixed_size 0
		.amdhsa_private_segment_fixed_size 0
		.amdhsa_kernarg_size 336
		.amdhsa_user_sgpr_count 2
		.amdhsa_user_sgpr_dispatch_ptr 0
		.amdhsa_user_sgpr_queue_ptr 0
		.amdhsa_user_sgpr_kernarg_segment_ptr 1
		.amdhsa_user_sgpr_dispatch_id 0
		.amdhsa_user_sgpr_kernarg_preload_length 0
		.amdhsa_user_sgpr_kernarg_preload_offset 0
		.amdhsa_user_sgpr_private_segment_size 0
		.amdhsa_uses_dynamic_stack 0
		.amdhsa_enable_private_segment 0
		.amdhsa_system_sgpr_workgroup_id_x 1
		.amdhsa_system_sgpr_workgroup_id_y 1
		.amdhsa_system_sgpr_workgroup_id_z 1
		.amdhsa_system_sgpr_workgroup_info 0
		.amdhsa_system_vgpr_workitem_id 0
		.amdhsa_next_free_vgpr 18
		.amdhsa_next_free_sgpr 36
		.amdhsa_accum_offset 20
		.amdhsa_reserve_vcc 1
		.amdhsa_float_round_mode_32 0
		.amdhsa_float_round_mode_16_64 0
		.amdhsa_float_denorm_mode_32 3
		.amdhsa_float_denorm_mode_16_64 3
		.amdhsa_dx10_clamp 1
		.amdhsa_ieee_mode 1
		.amdhsa_fp16_overflow 0
		.amdhsa_tg_split 0
		.amdhsa_exception_fp_ieee_invalid_op 0
		.amdhsa_exception_fp_denorm_src 0
		.amdhsa_exception_fp_ieee_div_zero 0
		.amdhsa_exception_fp_ieee_overflow 0
		.amdhsa_exception_fp_ieee_underflow 0
		.amdhsa_exception_fp_ieee_inexact 0
		.amdhsa_exception_int_div_zero 0
	.end_amdhsa_kernel
	.section	.text._ZL33flash_attn_stream_k_fixup_generalILi80ELi64ELi1EEvPfPK15HIP_vector_typeIfLj2EEiiiiS1_IjLj3EES5_S5_S5_,"axG",@progbits,_ZL33flash_attn_stream_k_fixup_generalILi80ELi64ELi1EEvPfPK15HIP_vector_typeIfLj2EEiiiiS1_IjLj3EES5_S5_S5_,comdat
.Lfunc_end12:
	.size	_ZL33flash_attn_stream_k_fixup_generalILi80ELi64ELi1EEvPfPK15HIP_vector_typeIfLj2EEiiiiS1_IjLj3EES5_S5_S5_, .Lfunc_end12-_ZL33flash_attn_stream_k_fixup_generalILi80ELi64ELi1EEvPfPK15HIP_vector_typeIfLj2EEiiiiS1_IjLj3EES5_S5_S5_
                                        ; -- End function
	.set _ZL33flash_attn_stream_k_fixup_generalILi80ELi64ELi1EEvPfPK15HIP_vector_typeIfLj2EEiiiiS1_IjLj3EES5_S5_S5_.num_vgpr, 18
	.set _ZL33flash_attn_stream_k_fixup_generalILi80ELi64ELi1EEvPfPK15HIP_vector_typeIfLj2EEiiiiS1_IjLj3EES5_S5_S5_.num_agpr, 0
	.set _ZL33flash_attn_stream_k_fixup_generalILi80ELi64ELi1EEvPfPK15HIP_vector_typeIfLj2EEiiiiS1_IjLj3EES5_S5_S5_.numbered_sgpr, 36
	.set _ZL33flash_attn_stream_k_fixup_generalILi80ELi64ELi1EEvPfPK15HIP_vector_typeIfLj2EEiiiiS1_IjLj3EES5_S5_S5_.num_named_barrier, 0
	.set _ZL33flash_attn_stream_k_fixup_generalILi80ELi64ELi1EEvPfPK15HIP_vector_typeIfLj2EEiiiiS1_IjLj3EES5_S5_S5_.private_seg_size, 0
	.set _ZL33flash_attn_stream_k_fixup_generalILi80ELi64ELi1EEvPfPK15HIP_vector_typeIfLj2EEiiiiS1_IjLj3EES5_S5_S5_.uses_vcc, 1
	.set _ZL33flash_attn_stream_k_fixup_generalILi80ELi64ELi1EEvPfPK15HIP_vector_typeIfLj2EEiiiiS1_IjLj3EES5_S5_S5_.uses_flat_scratch, 0
	.set _ZL33flash_attn_stream_k_fixup_generalILi80ELi64ELi1EEvPfPK15HIP_vector_typeIfLj2EEiiiiS1_IjLj3EES5_S5_S5_.has_dyn_sized_stack, 0
	.set _ZL33flash_attn_stream_k_fixup_generalILi80ELi64ELi1EEvPfPK15HIP_vector_typeIfLj2EEiiiiS1_IjLj3EES5_S5_S5_.has_recursion, 0
	.set _ZL33flash_attn_stream_k_fixup_generalILi80ELi64ELi1EEvPfPK15HIP_vector_typeIfLj2EEiiiiS1_IjLj3EES5_S5_S5_.has_indirect_call, 0
	.section	.AMDGPU.csdata,"",@progbits
; Kernel info:
; codeLenInByte = 2936
; TotalNumSgprs: 42
; NumVgprs: 18
; NumAgprs: 0
; TotalNumVgprs: 18
; ScratchSize: 0
; MemoryBound: 0
; FloatMode: 240
; IeeeMode: 1
; LDSByteSize: 0 bytes/workgroup (compile time only)
; SGPRBlocks: 5
; VGPRBlocks: 2
; NumSGPRsForWavesPerEU: 42
; NumVGPRsForWavesPerEU: 18
; AccumOffset: 20
; Occupancy: 8
; WaveLimiterHint : 0
; COMPUTE_PGM_RSRC2:SCRATCH_EN: 0
; COMPUTE_PGM_RSRC2:USER_SGPR: 2
; COMPUTE_PGM_RSRC2:TRAP_HANDLER: 0
; COMPUTE_PGM_RSRC2:TGID_X_EN: 1
; COMPUTE_PGM_RSRC2:TGID_Y_EN: 1
; COMPUTE_PGM_RSRC2:TGID_Z_EN: 1
; COMPUTE_PGM_RSRC2:TIDIG_COMP_CNT: 0
; COMPUTE_PGM_RSRC3_GFX90A:ACCUM_OFFSET: 4
; COMPUTE_PGM_RSRC3_GFX90A:TG_SPLIT: 0
	.section	.text._ZL26flash_attn_combine_resultsILi80EEvPKfPK15HIP_vector_typeIfLj2EEPfi,"axG",@progbits,_ZL26flash_attn_combine_resultsILi80EEvPKfPK15HIP_vector_typeIfLj2EEPfi,comdat
	.globl	_ZL26flash_attn_combine_resultsILi80EEvPKfPK15HIP_vector_typeIfLj2EEPfi ; -- Begin function _ZL26flash_attn_combine_resultsILi80EEvPKfPK15HIP_vector_typeIfLj2EEPfi
	.p2align	8
	.type	_ZL26flash_attn_combine_resultsILi80EEvPKfPK15HIP_vector_typeIfLj2EEPfi,@function
_ZL26flash_attn_combine_resultsILi80EEvPKfPK15HIP_vector_typeIfLj2EEPfi: ; @_ZL26flash_attn_combine_resultsILi80EEvPKfPK15HIP_vector_typeIfLj2EEPfi
; %bb.0:
	s_load_dwordx2 s[6:7], s[0:1], 0x20
	s_load_dword s23, s[0:1], 0x18
	s_load_dwordx4 s[16:19], s[0:1], 0x0
	s_load_dwordx2 s[14:15], s[0:1], 0x10
	s_waitcnt lgkmcnt(0)
	s_mul_i32 s0, s6, s4
	s_add_i32 s0, s0, s2
	s_mul_i32 s22, s0, s7
	s_add_i32 s22, s22, s3
	s_lshl_b32 s12, s23, 1
	s_mul_i32 s2, s22, s23
	v_cmp_gt_i32_e32 vcc, s12, v0
	s_and_saveexec_b64 s[0:1], vcc
	s_cbranch_execz .LBB13_13
; %bb.1:
	v_xad_u32 v1, v0, -1, s12
	s_movk_i32 s4, 0x4f
	s_ashr_i32 s3, s2, 31
	v_cmp_lt_u32_e32 vcc, s4, v1
	s_mov_b64 s[6:7], -1
	v_mov_b32_e32 v2, v0
	s_and_saveexec_b64 s[4:5], vcc
	s_cbranch_execz .LBB13_10
; %bb.2:
	s_mov_b32 s6, 0xcccccccd
	v_mul_hi_u32 v1, v1, s6
	v_lshrrev_b32_e32 v6, 6, v1
	s_lshl_b64 s[6:7], s[2:3], 3
	v_add_u32_e32 v2, -1, v6
	s_add_u32 s6, s18, s6
	v_add_u32_e32 v1, 0x50, v0
	v_lshrrev_b32_e32 v3, 1, v2
	s_addc_u32 s7, s19, s7
	v_add_u32_e32 v7, 1, v3
	v_cmp_lt_u32_e32 vcc, 13, v2
	v_mov_b32_e32 v4, 0
	v_mov_b64_e32 v[2:3], v[0:1]
	s_and_saveexec_b64 s[8:9], vcc
	s_cbranch_execz .LBB13_6
; %bb.3:
	v_and_b32_e32 v8, -8, v7
	s_mov_b32 s13, 0
	v_lshl_add_u32 v9, v0, 2, 0
	s_mov_b64 s[10:11], 0
	v_mov_b32_e32 v5, 0
	v_mov_b64_e32 v[2:3], v[0:1]
.LBB13_4:                               ; =>This Inner Loop Header: Depth=1
	v_mov_b32_e32 v4, v2
	v_lshl_add_u64 v[24:25], v[4:5], 2, s[6:7]
	v_mov_b32_e32 v4, v3
	v_add_u32_e32 v10, 0xa0, v3
	v_mov_b32_e32 v11, v5
	v_lshl_add_u64 v[26:27], v[4:5], 2, s[6:7]
	v_add_u32_e32 v4, 0xa0, v2
	v_lshl_add_u64 v[10:11], v[10:11], 2, s[6:7]
	global_load_dword v1, v[24:25], off
	v_lshl_add_u64 v[24:25], v[4:5], 2, s[6:7]
	v_add_u32_e32 v4, 0x140, v2
	global_load_dword v28, v[26:27], off
	global_load_dword v29, v[24:25], off
	;; [unrolled: 1-line block ×3, first 2 shown]
	v_lshl_add_u64 v[10:11], v[4:5], 2, s[6:7]
	v_add_u32_e32 v4, 0x1e0, v2
	v_add_u32_e32 v12, 0x140, v3
	v_mov_b32_e32 v13, v5
	v_add_u32_e32 v14, 0x1e0, v3
	v_mov_b32_e32 v15, v5
	v_lshl_add_u64 v[24:25], v[4:5], 2, s[6:7]
	v_add_u32_e32 v4, 0x280, v2
	v_lshl_add_u64 v[12:13], v[12:13], 2, s[6:7]
	v_lshl_add_u64 v[14:15], v[14:15], 2, s[6:7]
	global_load_dword v26, v[10:11], off
	global_load_dword v27, v[12:13], off
	;; [unrolled: 1-line block ×4, first 2 shown]
	v_lshl_add_u64 v[10:11], v[4:5], 2, s[6:7]
	v_add_u32_e32 v4, 0x320, v2
	v_add_u32_e32 v16, 0x280, v3
	v_mov_b32_e32 v17, v5
	v_add_u32_e32 v18, 0x320, v3
	v_mov_b32_e32 v19, v5
	v_lshl_add_u64 v[12:13], v[4:5], 2, s[6:7]
	v_add_u32_e32 v4, 0x3c0, v2
	v_add_u32_e32 v20, 0x3c0, v3
	v_mov_b32_e32 v21, v5
	v_add_u32_e32 v22, 0x460, v3
	v_mov_b32_e32 v23, v5
	v_lshl_add_u64 v[16:17], v[16:17], 2, s[6:7]
	v_lshl_add_u64 v[18:19], v[18:19], 2, s[6:7]
	global_load_dword v14, v[10:11], off
	global_load_dword v15, v[16:17], off
	global_load_dword v24, v[12:13], off
	global_load_dword v25, v[18:19], off
	v_lshl_add_u64 v[10:11], v[4:5], 2, s[6:7]
	v_add_u32_e32 v4, 0x460, v2
	v_lshl_add_u64 v[20:21], v[20:21], 2, s[6:7]
	v_lshl_add_u64 v[22:23], v[22:23], 2, s[6:7]
	;; [unrolled: 1-line block ×3, first 2 shown]
	global_load_dword v16, v[10:11], off
	global_load_dword v17, v[20:21], off
	;; [unrolled: 1-line block ×4, first 2 shown]
	v_add_u32_e32 v8, -8, v8
	s_add_i32 s13, s13, 16
	v_cmp_eq_u32_e32 vcc, 0, v8
	v_add_u32_e32 v10, 0x400, v9
	v_add_u32_e32 v11, 0x600, v9
	;; [unrolled: 1-line block ×7, first 2 shown]
	v_mov_b32_e32 v4, s13
	s_or_b64 s[10:11], vcc, s[10:11]
	v_add_u32_e32 v2, 0x500, v2
	s_waitcnt vmcnt(14)
	ds_write2_b32 v9, v1, v28 offset1:80
	s_waitcnt vmcnt(12)
	ds_write2_b32 v9, v29, v30 offset0:160 offset1:240
	v_add_u32_e32 v9, 0x1400, v9
	s_waitcnt vmcnt(10)
	ds_write2_b32 v10, v26, v27 offset0:64 offset1:144
	s_waitcnt vmcnt(8)
	ds_write2_b32 v11, v31, v32 offset0:96 offset1:176
	;; [unrolled: 2-line block ×6, first 2 shown]
	s_andn2_b64 exec, exec, s[10:11]
	s_cbranch_execnz .LBB13_4
; %bb.5:
	s_or_b64 exec, exec, s[10:11]
.LBB13_6:
	s_or_b64 exec, exec, s[8:9]
	v_and_b32_e32 v1, 7, v7
	v_cmp_ne_u32_e32 vcc, 0, v1
	s_and_saveexec_b64 s[8:9], vcc
	s_cbranch_execz .LBB13_9
; %bb.7:
	s_movk_i32 s10, 0x140
	v_mul_lo_u32 v4, v4, s10
	v_lshlrev_b32_e32 v5, 2, v0
	v_add3_u32 v7, v4, v5, 0
	s_mov_b64 s[10:11], 0
	v_mov_b32_e32 v5, 0
.LBB13_8:                               ; =>This Inner Loop Header: Depth=1
	v_mov_b32_e32 v4, v2
	v_lshl_add_u64 v[8:9], v[4:5], 2, s[6:7]
	v_mov_b32_e32 v4, v3
	v_lshl_add_u64 v[10:11], v[4:5], 2, s[6:7]
	global_load_dword v4, v[8:9], off
	global_load_dword v12, v[10:11], off
	v_add_u32_e32 v1, -1, v1
	v_cmp_eq_u32_e32 vcc, 0, v1
	v_add_u32_e32 v2, 0xa0, v2
	v_add_u32_e32 v3, 0xa0, v3
	s_or_b64 s[10:11], vcc, s[10:11]
	s_waitcnt vmcnt(0)
	ds_write2_b32 v7, v4, v12 offset1:80
	v_add_u32_e32 v7, 0x280, v7
	s_andn2_b64 exec, exec, s[10:11]
	s_cbranch_execnz .LBB13_8
.LBB13_9:
	s_or_b64 exec, exec, s[8:9]
	v_add_u32_e32 v1, 1, v6
	v_and_b32_e32 v4, 0x7fffffe, v1
	s_movk_i32 s6, 0x50
	v_mad_u64_u32 v[2:3], s[6:7], v4, s6, v[0:1]
	v_cmp_ne_u32_e32 vcc, v1, v4
	s_orn2_b64 s[6:7], vcc, exec
.LBB13_10:
	s_or_b64 exec, exec, s[4:5]
	s_and_b64 exec, exec, s[6:7]
	s_cbranch_execz .LBB13_13
; %bb.11:
	s_lshl_b64 s[4:5], s[2:3], 3
	s_add_u32 s4, s18, s4
	v_mov_b32_e32 v3, 0
	s_addc_u32 s5, s19, s5
	v_lshl_add_u64 v[4:5], v[2:3], 2, s[4:5]
	v_lshl_add_u32 v1, v2, 2, 0
	s_mov_b64 s[4:5], 0
	s_mov_b64 s[6:7], 0x140
.LBB13_12:                              ; =>This Inner Loop Header: Depth=1
	global_load_dword v3, v[4:5], off
	v_add_u32_e32 v2, 0x50, v2
	v_cmp_le_i32_e32 vcc, s12, v2
	v_lshl_add_u64 v[4:5], v[4:5], 0, s[6:7]
	s_or_b64 s[4:5], vcc, s[4:5]
	s_waitcnt vmcnt(0)
	ds_write_b32 v1, v3
	v_add_u32_e32 v1, 0x140, v1
	s_andn2_b64 exec, exec, s[4:5]
	s_cbranch_execnz .LBB13_12
.LBB13_13:
	s_or_b64 exec, exec, s[0:1]
	v_mov_b32_e32 v1, 0
	s_waitcnt lgkmcnt(0)
	s_barrier
	ds_read_b32 v1, v1
	s_cmp_lt_i32 s23, 2
	s_cbranch_scc1 .LBB13_21
; %bb.14:
	s_cmp_eq_u32 s23, 2
	s_cbranch_scc1 .LBB13_18
; %bb.15:
	s_add_i32 s3, s23, -1
	s_and_b32 s4, s3, -2
	s_add_i32 s6, 0, 8
	s_mov_b32 s5, 2
	s_waitcnt lgkmcnt(0)
	v_mov_b32_e32 v4, v1
.LBB13_16:                              ; =>This Inner Loop Header: Depth=1
	v_mov_b32_e32 v2, v1
	v_mov_b32_e32 v1, s6
	;; [unrolled: 1-line block ×3, first 2 shown]
	ds_read2_b32 v[4:5], v1 offset1:2
	s_cmp_lg_u32 s4, s5
	s_cselect_b64 s[8:9], -1, 0
	v_max_f32_e32 v1, v3, v3
	v_max_f32_e32 v6, v2, v2
	s_waitcnt lgkmcnt(0)
	v_cmp_u_f32_e32 vcc, v5, v5
	v_max_f32_e32 v7, v5, v5
	v_max_f32_e32 v8, v4, v4
	v_cndmask_b32_e64 v5, 0, 1, vcc
	v_cmp_u_f32_e32 vcc, v4, v4
	v_readfirstlane_b32 s0, v5
	s_lshl_b32 s0, s0, 1
	v_cndmask_b32_e64 v9, 0, 1, vcc
	v_max_f32_e32 v4, v1, v7
	v_readfirstlane_b32 s1, v9
	s_or_b32 s0, s1, s0
	s_and_b32 s7, s0, 3
	s_cmp_lg_u32 s7, 0
	s_cselect_b64 s[0:1], -1, 0
	s_cmp_eq_u32 s7, 0
	s_cselect_b64 s[10:11], -1, 0
	s_and_b64 s[8:9], s[10:11], s[8:9]
	v_max_f32_e32 v1, v6, v8
	s_add_i32 s5, s5, 2
	s_add_i32 s6, s6, 16
	s_and_b64 vcc, exec, s[8:9]
	s_cbranch_vccnz .LBB13_16
; %bb.17:
	s_add_i32 s5, s5, -4
	s_and_b64 s[6:7], s[0:1], exec
	s_cselect_b32 s5, s5, s3
	s_or_b32 s5, s5, 1
	v_cndmask_b32_e64 v1, v1, v2, s[0:1]
	v_cndmask_b32_e64 v2, v4, v3, s[0:1]
	s_cmp_lg_u32 s3, s4
	v_max_f32_e32 v2, v2, v2
	v_max_f32_e32 v1, v1, v1
	s_cselect_b64 s[6:7], -1, 0
	v_max_f32_e32 v1, v1, v2
	s_or_b64 s[0:1], s[6:7], s[0:1]
	s_and_b64 vcc, exec, s[0:1]
	s_cbranch_vccnz .LBB13_19
	s_branch .LBB13_21
.LBB13_18:
	s_mov_b32 s5, 1
	s_cbranch_execz .LBB13_21
.LBB13_19:
	s_lshl_b32 s1, s5, 3
	s_sub_i32 s0, s23, s5
	s_add_i32 s1, s1, 0
.LBB13_20:                              ; =>This Inner Loop Header: Depth=1
	v_mov_b32_e32 v2, s1
	ds_read_b32 v2, v2
	s_waitcnt lgkmcnt(1)
	v_max_f32_e32 v1, v1, v1
	s_add_i32 s0, s0, -1
	s_add_i32 s1, s1, 8
	s_cmp_eq_u32 s0, 0
	s_waitcnt lgkmcnt(0)
	v_max_f32_e32 v2, v2, v2
	v_max_f32_e32 v1, v1, v2
	s_cbranch_scc0 .LBB13_20
.LBB13_21:
	s_cmp_lt_i32 s23, 1
	s_cbranch_scc1 .LBB13_26
; %bb.22:
	s_mul_i32 s18, s2, 0x50
	s_ashr_i32 s19, s18, 31
	s_cmp_lt_u32 s23, 8
	s_cbranch_scc1 .LBB13_27
; %bb.23:
	s_lshl_b64 s[0:1], s[18:19], 2
	s_add_u32 s20, s16, s0
	v_mov_b32_e32 v7, 0
	s_addc_u32 s21, s17, s1
	s_and_b32 s24, s23, 0x7ffffff8
	v_add_u32_e32 v4, 0x140, v0
	s_mov_b32 s25, 0
	s_mov_b32 s26, 0x3fb8aa3b
	;; [unrolled: 1-line block ×4, first 2 shown]
	v_mov_b32_e32 v8, 0x7f800000
	s_mov_b32 s29, 0
	v_mov_b32_e32 v2, v7
	v_mov_b32_e32 v3, v7
.LBB13_24:                              ; =>This Inner Loop Header: Depth=1
	v_add_u32_e32 v6, 0xfffffec0, v4
	v_mov_b32_e32 v9, s25
	v_lshl_add_u64 v[26:27], v[6:7], 2, s[20:21]
	v_add_u32_e32 v6, 0xffffff10, v4
	ds_read2_b64 v[10:13], v9 offset1:1
	ds_read2_b64 v[14:17], v9 offset0:2 offset1:3
	ds_read2_b64 v[18:21], v9 offset0:4 offset1:5
	;; [unrolled: 1-line block ×3, first 2 shown]
	v_lshl_add_u64 v[30:31], v[6:7], 2, s[20:21]
	v_add_u32_e32 v6, 0xffffff60, v4
	global_load_dword v33, v[26:27], off
	global_load_dword v35, v[30:31], off
	v_lshl_add_u64 v[26:27], v[6:7], 2, s[20:21]
	v_add_u32_e32 v6, 0xffffffb0, v4
	v_mov_b32_e32 v5, v7
	v_lshl_add_u64 v[30:31], v[6:7], 2, s[20:21]
	v_add_u32_e32 v6, 0x50, v4
	v_lshl_add_u64 v[28:29], v[4:5], 2, s[20:21]
	global_load_dword v37, v[26:27], off
	global_load_dword v39, v[30:31], off
	;; [unrolled: 1-line block ×3, first 2 shown]
	v_lshl_add_u64 v[26:27], v[6:7], 2, s[20:21]
	v_add_u32_e32 v6, 0xa0, v4
	s_waitcnt lgkmcnt(3)
	v_mov_b32_e32 v32, v11
	v_sub_f32_e32 v9, v12, v1
	v_mov_b32_e32 v34, v13
	global_load_dword v11, v[26:27], off
	v_lshl_add_u64 v[12:13], v[6:7], 2, s[20:21]
	v_add_u32_e32 v6, 0xf0, v4
	s_waitcnt lgkmcnt(2)
	v_mov_b32_e32 v36, v15
	global_load_dword v15, v[12:13], off
	v_lshl_add_u64 v[12:13], v[6:7], 2, s[20:21]
	v_mov_b32_e32 v38, v17
	global_load_dword v17, v[12:13], off
	v_sub_f32_e32 v5, v10, v1
	s_waitcnt lgkmcnt(1)
	v_mov_b32_e32 v40, v19
	v_sub_f32_e32 v19, v20, v1
	s_waitcnt lgkmcnt(0)
	v_sub_f32_e32 v20, v22, v1
	v_mul_f32_e32 v22, 0x3fb8aa3b, v5
	v_sub_f32_e32 v28, v14, v1
	v_sub_f32_e32 v29, v16, v1
	v_mov_b32_e32 v14, v23
	v_mul_f32_e32 v23, 0x3fb8aa3b, v9
	v_fma_f32 v6, v5, s26, -v22
	v_rndne_f32_e32 v42, v22
	v_sub_f32_e32 v18, v18, v1
	v_mov_b32_e32 v10, v21
	v_sub_f32_e32 v21, v24, v1
	v_mov_b32_e32 v16, v25
	v_mul_f32_e32 v24, 0x3fb8aa3b, v28
	v_mul_f32_e32 v25, 0x3fb8aa3b, v29
	v_fma_f32 v43, v9, s26, -v23
	v_rndne_f32_e32 v44, v23
	v_fmac_f32_e32 v6, 0x32a5705f, v5
	v_sub_f32_e32 v12, v22, v42
	v_mul_f32_e32 v26, 0x3fb8aa3b, v18
	v_mul_f32_e32 v27, 0x3fb8aa3b, v19
	;; [unrolled: 1-line block ×3, first 2 shown]
	v_fma_f32 v45, v28, s26, -v24
	v_rndne_f32_e32 v46, v24
	v_fma_f32 v47, v29, s26, -v25
	v_rndne_f32_e32 v48, v25
	v_fmac_f32_e32 v43, 0x32a5705f, v9
	v_sub_f32_e32 v22, v23, v44
	v_add_f32_e32 v6, v12, v6
	v_fma_f32 v49, v18, s26, -v26
	v_rndne_f32_e32 v50, v26
	v_fma_f32 v51, v19, s26, -v27
	v_rndne_f32_e32 v52, v27
	;; [unrolled: 2-line block ×3, first 2 shown]
	v_cvt_i32_f32_e32 v13, v42
	v_fmac_f32_e32 v45, 0x32a5705f, v28
	v_sub_f32_e32 v24, v24, v46
	v_fmac_f32_e32 v47, 0x32a5705f, v29
	v_sub_f32_e32 v25, v25, v48
	v_add_f32_e32 v12, v22, v43
	v_exp_f32_e32 v6, v6
	v_cvt_i32_f32_e32 v23, v44
	v_fmac_f32_e32 v49, 0x32a5705f, v18
	v_sub_f32_e32 v26, v26, v50
	v_fmac_f32_e32 v51, 0x32a5705f, v19
	v_sub_f32_e32 v27, v27, v52
	;; [unrolled: 2-line block ×3, first 2 shown]
	v_add_f32_e32 v22, v24, v45
	v_add_f32_e32 v24, v25, v47
	v_exp_f32_e32 v12, v12
	v_mul_f32_e32 v31, 0x3fb8aa3b, v21
	v_cvt_i32_f32_e32 v42, v46
	v_cvt_i32_f32_e32 v44, v48
	v_add_f32_e32 v25, v26, v49
	v_add_f32_e32 v26, v27, v51
	;; [unrolled: 1-line block ×3, first 2 shown]
	v_exp_f32_e32 v22, v22
	v_exp_f32_e32 v24, v24
	v_fma_f32 v55, v21, s26, -v31
	v_rndne_f32_e32 v56, v31
	v_cvt_i32_f32_e32 v46, v50
	v_cvt_i32_f32_e32 v48, v52
	;; [unrolled: 1-line block ×3, first 2 shown]
	v_exp_f32_e32 v25, v25
	v_exp_f32_e32 v26, v26
	;; [unrolled: 1-line block ×3, first 2 shown]
	v_fmac_f32_e32 v55, 0x32a5705f, v21
	v_sub_f32_e32 v31, v31, v56
	v_ldexp_f32 v6, v6, v13
	v_cmp_ngt_f32_e64 s[12:13], s27, v5
	v_add_f32_e32 v30, v31, v55
	v_ldexp_f32 v12, v12, v23
	v_cmp_ngt_f32_e32 vcc, s27, v9
	v_cndmask_b32_e64 v6, 0, v6, s[12:13]
	v_cmp_nlt_f32_e64 s[12:13], s28, v5
	v_cvt_i32_f32_e32 v52, v56
	v_exp_f32_e32 v30, v30
	v_ldexp_f32 v13, v22, v42
	v_cmp_ngt_f32_e64 s[0:1], s27, v28
	v_ldexp_f32 v22, v24, v44
	v_cmp_ngt_f32_e64 s[2:3], s27, v29
	v_cndmask_b32_e32 v12, 0, v12, vcc
	v_cmp_nlt_f32_e32 vcc, s28, v9
	v_cndmask_b32_e64 v6, v8, v6, s[12:13]
	v_ldexp_f32 v23, v25, v46
	v_cmp_ngt_f32_e64 s[4:5], s27, v18
	v_ldexp_f32 v24, v26, v48
	v_cmp_ngt_f32_e64 s[6:7], s27, v19
	;; [unrolled: 2-line block ×3, first 2 shown]
	v_cndmask_b32_e64 v9, 0, v13, s[0:1]
	v_cmp_nlt_f32_e64 s[0:1], s28, v28
	v_cndmask_b32_e64 v13, 0, v22, s[2:3]
	v_cndmask_b32_e32 v12, v8, v12, vcc
	s_waitcnt vmcnt(7)
	v_pk_fma_f32 v[2:3], v[6:7], v[32:33], v[2:3] op_sel_hi:[0,1,1]
	v_cmp_nlt_f32_e64 s[2:3], s28, v29
	v_cndmask_b32_e64 v22, 0, v23, s[4:5]
	v_cmp_nlt_f32_e64 s[4:5], s28, v18
	v_cndmask_b32_e64 v23, 0, v24, s[6:7]
	;; [unrolled: 2-line block ×3, first 2 shown]
	v_cndmask_b32_e64 v18, v8, v9, s[0:1]
	s_waitcnt vmcnt(6)
	v_pk_fma_f32 v[2:3], v[12:13], v[34:35], v[2:3] op_sel_hi:[0,1,1]
	v_cmp_nlt_f32_e64 s[8:9], s28, v20
	v_cndmask_b32_e64 v20, v8, v13, s[2:3]
	s_waitcnt vmcnt(5)
	v_pk_fma_f32 v[2:3], v[18:19], v[36:37], v[2:3] op_sel_hi:[0,1,1]
	v_ldexp_f32 v26, v30, v52
	v_cmp_ngt_f32_e64 s[10:11], s27, v21
	v_cndmask_b32_e64 v22, v8, v22, s[4:5]
	s_waitcnt vmcnt(4)
	v_pk_fma_f32 v[2:3], v[20:21], v[38:39], v[2:3] op_sel_hi:[0,1,1]
	v_cndmask_b32_e64 v25, 0, v26, s[10:11]
	v_cndmask_b32_e64 v24, v8, v23, s[6:7]
	s_waitcnt vmcnt(3)
	v_pk_fma_f32 v[2:3], v[22:23], v[40:41], v[2:3] op_sel_hi:[0,1,1]
	v_cmp_nlt_f32_e64 s[10:11], s28, v21
	v_cndmask_b32_e64 v26, v8, v19, s[8:9]
	s_waitcnt vmcnt(2)
	v_pk_fma_f32 v[2:3], v[24:25], v[10:11], v[2:3] op_sel_hi:[0,1,1]
	s_add_i32 s29, s29, 8
	s_add_i32 s25, s25, 64
	v_cndmask_b32_e64 v28, v8, v25, s[10:11]
	s_waitcnt vmcnt(1)
	v_pk_fma_f32 v[2:3], v[26:27], v[14:15], v[2:3] op_sel_hi:[0,1,1]
	s_cmp_eq_u32 s24, s29
	v_add_u32_e32 v4, 0x280, v4
	s_waitcnt vmcnt(0)
	v_pk_fma_f32 v[2:3], v[28:29], v[16:17], v[2:3] op_sel_hi:[0,1,1]
	s_cbranch_scc0 .LBB13_24
; %bb.25:
	s_and_b32 s2, s23, 7
	s_cmp_eq_u32 s2, 0
	s_cbranch_scc0 .LBB13_28
	s_branch .LBB13_30
.LBB13_26:
	s_waitcnt lgkmcnt(0)
	v_mov_b32_e32 v1, 0x7fc00000
	s_branch .LBB13_31
.LBB13_27:
	v_mov_b32_e32 v2, 0
	s_mov_b32 s24, 0
	v_mov_b32_e32 v3, v2
	s_and_b32 s2, s23, 7
	s_cmp_eq_u32 s2, 0
	s_cbranch_scc1 .LBB13_30
.LBB13_28:
	s_lshl_b64 s[0:1], s[18:19], 2
	s_mul_i32 s3, s24, 0x50
	s_add_u32 s0, s16, s0
	v_add_u32_e32 v4, s3, v0
	v_mov_b32_e32 v5, 0
	s_addc_u32 s1, s17, s1
	v_lshl_add_u64 v[4:5], v[4:5], 2, s[0:1]
	s_lshl_b32 s0, s24, 3
	s_add_i32 s3, s0, 0
	s_mov_b32 s4, 0x3fb8aa3b
	s_mov_b32 s5, 0xc2ce8ed0
	;; [unrolled: 1-line block ×3, first 2 shown]
	v_mov_b32_e32 v6, 0x7f800000
	s_mov_b64 s[0:1], 0x140
.LBB13_29:                              ; =>This Inner Loop Header: Depth=1
	global_load_dword v9, v[4:5], off
	v_mov_b32_e32 v7, s3
	ds_read_b64 v[10:11], v7
	s_add_i32 s3, s3, 8
	s_add_i32 s2, s2, -1
	v_lshl_add_u64 v[4:5], v[4:5], 0, s[0:1]
	s_cmp_lg_u32 s2, 0
	s_waitcnt lgkmcnt(0)
	v_sub_f32_e32 v7, v10, v1
	v_mul_f32_e32 v8, 0x3fb8aa3b, v7
	v_fma_f32 v10, v7, s4, -v8
	v_rndne_f32_e32 v12, v8
	v_fmac_f32_e32 v10, 0x32a5705f, v7
	v_sub_f32_e32 v8, v8, v12
	v_add_f32_e32 v8, v8, v10
	v_cvt_i32_f32_e32 v12, v12
	v_exp_f32_e32 v10, v8
	v_cmp_ngt_f32_e32 vcc, s5, v7
	v_mov_b32_e32 v8, v11
	v_ldexp_f32 v10, v10, v12
	v_cndmask_b32_e32 v10, 0, v10, vcc
	v_cmp_nlt_f32_e32 vcc, s6, v7
	s_nop 1
	v_cndmask_b32_e32 v10, v6, v10, vcc
	s_waitcnt vmcnt(0)
	v_pk_fma_f32 v[2:3], v[10:11], v[8:9], v[2:3] op_sel_hi:[0,1,1]
	s_cbranch_scc1 .LBB13_29
.LBB13_30:
	s_waitcnt lgkmcnt(0)
	v_div_scale_f32 v1, s[0:1], v2, v2, v3
	v_rcp_f32_e32 v4, v1
	v_div_scale_f32 v5, vcc, v3, v2, v3
	v_fma_f32 v6, -v1, v4, 1.0
	v_fmac_f32_e32 v4, v6, v4
	v_mul_f32_e32 v6, v5, v4
	v_fma_f32 v7, -v1, v6, v5
	v_fmac_f32_e32 v6, v7, v4
	v_fma_f32 v1, -v1, v6, v5
	v_div_fmas_f32 v1, v1, v4, v6
	v_div_fixup_f32 v1, v1, v2, v3
.LBB13_31:
	s_mul_i32 s0, s22, 0x50
	s_ashr_i32 s1, s0, 31
	s_lshl_b64 s[0:1], s[0:1], 2
	s_add_u32 s0, s14, s0
	s_addc_u32 s1, s15, s1
	v_lshlrev_b32_e32 v0, 2, v0
	global_store_dword v0, v1, s[0:1]
	s_endpgm
	.section	.rodata,"a",@progbits
	.p2align	6, 0x0
	.amdhsa_kernel _ZL26flash_attn_combine_resultsILi80EEvPKfPK15HIP_vector_typeIfLj2EEPfi
		.amdhsa_group_segment_fixed_size 0
		.amdhsa_private_segment_fixed_size 0
		.amdhsa_kernarg_size 288
		.amdhsa_user_sgpr_count 2
		.amdhsa_user_sgpr_dispatch_ptr 0
		.amdhsa_user_sgpr_queue_ptr 0
		.amdhsa_user_sgpr_kernarg_segment_ptr 1
		.amdhsa_user_sgpr_dispatch_id 0
		.amdhsa_user_sgpr_kernarg_preload_length 0
		.amdhsa_user_sgpr_kernarg_preload_offset 0
		.amdhsa_user_sgpr_private_segment_size 0
		.amdhsa_uses_dynamic_stack 0
		.amdhsa_enable_private_segment 0
		.amdhsa_system_sgpr_workgroup_id_x 1
		.amdhsa_system_sgpr_workgroup_id_y 1
		.amdhsa_system_sgpr_workgroup_id_z 1
		.amdhsa_system_sgpr_workgroup_info 0
		.amdhsa_system_vgpr_workitem_id 0
		.amdhsa_next_free_vgpr 57
		.amdhsa_next_free_sgpr 30
		.amdhsa_accum_offset 60
		.amdhsa_reserve_vcc 1
		.amdhsa_float_round_mode_32 0
		.amdhsa_float_round_mode_16_64 0
		.amdhsa_float_denorm_mode_32 3
		.amdhsa_float_denorm_mode_16_64 3
		.amdhsa_dx10_clamp 1
		.amdhsa_ieee_mode 1
		.amdhsa_fp16_overflow 0
		.amdhsa_tg_split 0
		.amdhsa_exception_fp_ieee_invalid_op 0
		.amdhsa_exception_fp_denorm_src 0
		.amdhsa_exception_fp_ieee_div_zero 0
		.amdhsa_exception_fp_ieee_overflow 0
		.amdhsa_exception_fp_ieee_underflow 0
		.amdhsa_exception_fp_ieee_inexact 0
		.amdhsa_exception_int_div_zero 0
	.end_amdhsa_kernel
	.section	.text._ZL26flash_attn_combine_resultsILi80EEvPKfPK15HIP_vector_typeIfLj2EEPfi,"axG",@progbits,_ZL26flash_attn_combine_resultsILi80EEvPKfPK15HIP_vector_typeIfLj2EEPfi,comdat
.Lfunc_end13:
	.size	_ZL26flash_attn_combine_resultsILi80EEvPKfPK15HIP_vector_typeIfLj2EEPfi, .Lfunc_end13-_ZL26flash_attn_combine_resultsILi80EEvPKfPK15HIP_vector_typeIfLj2EEPfi
                                        ; -- End function
	.set _ZL26flash_attn_combine_resultsILi80EEvPKfPK15HIP_vector_typeIfLj2EEPfi.num_vgpr, 57
	.set _ZL26flash_attn_combine_resultsILi80EEvPKfPK15HIP_vector_typeIfLj2EEPfi.num_agpr, 0
	.set _ZL26flash_attn_combine_resultsILi80EEvPKfPK15HIP_vector_typeIfLj2EEPfi.numbered_sgpr, 30
	.set _ZL26flash_attn_combine_resultsILi80EEvPKfPK15HIP_vector_typeIfLj2EEPfi.num_named_barrier, 0
	.set _ZL26flash_attn_combine_resultsILi80EEvPKfPK15HIP_vector_typeIfLj2EEPfi.private_seg_size, 0
	.set _ZL26flash_attn_combine_resultsILi80EEvPKfPK15HIP_vector_typeIfLj2EEPfi.uses_vcc, 1
	.set _ZL26flash_attn_combine_resultsILi80EEvPKfPK15HIP_vector_typeIfLj2EEPfi.uses_flat_scratch, 0
	.set _ZL26flash_attn_combine_resultsILi80EEvPKfPK15HIP_vector_typeIfLj2EEPfi.has_dyn_sized_stack, 0
	.set _ZL26flash_attn_combine_resultsILi80EEvPKfPK15HIP_vector_typeIfLj2EEPfi.has_recursion, 0
	.set _ZL26flash_attn_combine_resultsILi80EEvPKfPK15HIP_vector_typeIfLj2EEPfi.has_indirect_call, 0
	.section	.AMDGPU.csdata,"",@progbits
; Kernel info:
; codeLenInByte = 3032
; TotalNumSgprs: 36
; NumVgprs: 57
; NumAgprs: 0
; TotalNumVgprs: 57
; ScratchSize: 0
; MemoryBound: 0
; FloatMode: 240
; IeeeMode: 1
; LDSByteSize: 0 bytes/workgroup (compile time only)
; SGPRBlocks: 4
; VGPRBlocks: 7
; NumSGPRsForWavesPerEU: 36
; NumVGPRsForWavesPerEU: 57
; AccumOffset: 60
; Occupancy: 8
; WaveLimiterHint : 0
; COMPUTE_PGM_RSRC2:SCRATCH_EN: 0
; COMPUTE_PGM_RSRC2:USER_SGPR: 2
; COMPUTE_PGM_RSRC2:TRAP_HANDLER: 0
; COMPUTE_PGM_RSRC2:TGID_X_EN: 1
; COMPUTE_PGM_RSRC2:TGID_Y_EN: 1
; COMPUTE_PGM_RSRC2:TGID_Z_EN: 1
; COMPUTE_PGM_RSRC2:TIDIG_COMP_CNT: 0
; COMPUTE_PGM_RSRC3_GFX90A:ACCUM_OFFSET: 14
; COMPUTE_PGM_RSRC3_GFX90A:TG_SPLIT: 0
	.section	.text._ZL18flash_attn_ext_f16ILi96ELi96ELi64ELi1ELb0ELb0EEvPKcS1_S1_S1_S1_PKiPfP15HIP_vector_typeIfLj2EEffffjfiS5_IjLj3EEiiiiiiiiiiiliiliiiiil,"axG",@progbits,_ZL18flash_attn_ext_f16ILi96ELi96ELi64ELi1ELb0ELb0EEvPKcS1_S1_S1_S1_PKiPfP15HIP_vector_typeIfLj2EEffffjfiS5_IjLj3EEiiiiiiiiiiiliiliiiiil,comdat
	.globl	_ZL18flash_attn_ext_f16ILi96ELi96ELi64ELi1ELb0ELb0EEvPKcS1_S1_S1_S1_PKiPfP15HIP_vector_typeIfLj2EEffffjfiS5_IjLj3EEiiiiiiiiiiiliiliiiiil ; -- Begin function _ZL18flash_attn_ext_f16ILi96ELi96ELi64ELi1ELb0ELb0EEvPKcS1_S1_S1_S1_PKiPfP15HIP_vector_typeIfLj2EEffffjfiS5_IjLj3EEiiiiiiiiiiiliiliiiiil
	.p2align	8
	.type	_ZL18flash_attn_ext_f16ILi96ELi96ELi64ELi1ELb0ELb0EEvPKcS1_S1_S1_S1_PKiPfP15HIP_vector_typeIfLj2EEffffjfiS5_IjLj3EEiiiiiiiiiiiliiliiiiil,@function
_ZL18flash_attn_ext_f16ILi96ELi96ELi64ELi1ELb0ELb0EEvPKcS1_S1_S1_S1_PKiPfP15HIP_vector_typeIfLj2EEffffjfiS5_IjLj3EEiiiiiiiiiiiliiliiiiil: ; @_ZL18flash_attn_ext_f16ILi96ELi96ELi64ELi1ELb0ELb0EEvPKcS1_S1_S1_S1_PKiPfP15HIP_vector_typeIfLj2EEffffjfiS5_IjLj3EEiiiiiiiiiiiliiliiiiil
; %bb.0:
	s_load_dwordx2 s[10:11], s[0:1], 0x80
	s_load_dwordx4 s[48:51], s[0:1], 0x64
	s_mov_b32 s23, s2
                                        ; implicit-def: $vgpr254 : SGPR spill to VGPR lane
	s_load_dword s24, s[0:1], 0xd0
	s_mov_b32 s4, 0
	s_waitcnt lgkmcnt(0)
	s_abs_i32 s2, s11
	v_cvt_f32_u32_e32 v1, s2
	s_sub_i32 s6, 0, s2
	s_abs_i32 s5, s49
	s_xor_b32 s3, s49, s11
	v_rcp_iflag_f32_e32 v1, v1
	s_ashr_i32 s3, s3, 31
	v_mul_f32_e32 v1, 0x4f7ffffe, v1
	v_cvt_u32_f32_e32 v1, v1
	s_nop 0
	v_readfirstlane_b32 s7, v1
	s_mul_i32 s6, s6, s7
	s_mul_hi_u32 s6, s7, s6
	s_add_i32 s7, s7, s6
	s_mul_hi_u32 s6, s5, s7
	s_mul_i32 s7, s6, s2
	s_sub_i32 s5, s5, s7
	s_add_i32 s8, s6, 1
	s_sub_i32 s7, s5, s2
	s_cmp_ge_u32 s5, s2
	s_cselect_b32 s6, s8, s6
	s_cselect_b32 s5, s7, s5
	s_add_i32 s7, s6, 1
	s_cmp_ge_u32 s5, s2
	s_cselect_b32 s2, s7, s6
	s_add_i32 s5, s10, 63
	s_xor_b32 s2, s2, s3
	s_ashr_i32 s6, s5, 31
	s_sub_i32 s3, s2, s3
	s_lshr_b32 s2, s6, 26
	s_add_i32 s5, s5, s2
	s_add_i32 s2, s48, 63
	s_lshr_b32 s2, s2, 6
	s_ashr_i32 s5, s5, 6
	v_writelane_b32 v254, s2, 0
	v_writelane_b32 v254, s5, 1
	s_mul_i32 s2, s2, s5
	v_writelane_b32 v254, s3, 2
	v_writelane_b32 v254, s2, 3
	s_mul_i32 s3, s2, s3
	s_mov_b32 s2, s10
	v_writelane_b32 v254, s2, 4
	s_nop 1
	v_writelane_b32 v254, s3, 5
	s_mul_i32 s2, s3, s11
	s_mul_i32 s8, s2, s50
	v_writelane_b32 v254, s3, 6
	s_ashr_i32 s9, s8, 31
	v_writelane_b32 v254, s2, 7
	s_mul_i32 s2, s9, s23
	s_mul_hi_u32 s3, s8, s23
	s_add_i32 s5, s3, s2
	s_add_u32 s2, s0, 0xd0
	s_addc_u32 s3, s1, 0
	v_writelane_b32 v254, s2, 8
	s_cmp_lg_u64 s[4:5], 0
	s_mul_i32 s4, s8, s23
	v_writelane_b32 v254, s3, 9
	s_cbranch_scc0 .LBB14_2
; %bb.1:
	s_add_u32 s2, s24, 0
	s_addc_u32 s3, 0, 0
	s_xor_b64 s[6:7], s[2:3], 0
	v_cvt_f32_u32_e32 v1, s6
	v_cvt_f32_u32_e32 v2, s7
	s_sub_u32 s12, 0, s6
	s_subb_u32 s13, 0, s7
	s_mov_b64 s[2:3], 0
	v_fmamk_f32 v1, v2, 0x4f800000, v1
	v_rcp_f32_e32 v1, v1
	s_nop 0
	v_mul_f32_e32 v1, 0x5f7ffffc, v1
	v_mul_f32_e32 v2, 0x2f800000, v1
	v_trunc_f32_e32 v2, v2
	v_fmamk_f32 v1, v2, 0xcf800000, v1
	v_cvt_u32_f32_e32 v2, v2
	v_cvt_u32_f32_e32 v1, v1
	v_readfirstlane_b32 s14, v2
	v_readfirstlane_b32 s10, v1
	s_mul_i32 s11, s12, s14
	s_mul_hi_u32 s16, s12, s10
	s_mul_i32 s15, s13, s10
	s_add_i32 s11, s16, s11
	s_add_i32 s11, s11, s15
	s_mul_i32 s17, s12, s10
	s_mul_i32 s16, s10, s11
	s_mul_hi_u32 s18, s10, s17
	s_mul_hi_u32 s15, s10, s11
	s_add_u32 s16, s18, s16
	s_addc_u32 s15, 0, s15
	s_mul_hi_u32 s19, s14, s17
	s_mul_i32 s17, s14, s17
	s_add_u32 s16, s16, s17
	s_mul_hi_u32 s18, s14, s11
	s_addc_u32 s15, s15, s19
	s_addc_u32 s16, s18, 0
	s_mul_i32 s11, s14, s11
	s_add_u32 s11, s15, s11
	s_addc_u32 s15, 0, s16
	s_add_u32 s16, s10, s11
	s_cselect_b64 s[10:11], -1, 0
	s_cmp_lg_u64 s[10:11], 0
	s_addc_u32 s14, s14, s15
	s_mul_i32 s10, s12, s14
	s_mul_hi_u32 s11, s12, s16
	s_add_i32 s10, s11, s10
	s_mul_i32 s13, s13, s16
	s_add_i32 s10, s10, s13
	s_mul_i32 s12, s12, s16
	s_mul_hi_u32 s13, s14, s12
	s_mul_i32 s15, s14, s12
	s_mul_i32 s18, s16, s10
	s_mul_hi_u32 s12, s16, s12
	s_mul_hi_u32 s17, s16, s10
	s_add_u32 s12, s12, s18
	s_addc_u32 s17, 0, s17
	s_add_u32 s12, s12, s15
	s_mul_hi_u32 s11, s14, s10
	s_addc_u32 s12, s17, s13
	s_addc_u32 s11, s11, 0
	s_mul_i32 s10, s14, s10
	s_add_u32 s10, s12, s10
	s_addc_u32 s12, 0, s11
	s_add_u32 s15, s16, s10
	s_cselect_b64 s[10:11], -1, 0
	s_cmp_lg_u64 s[10:11], 0
	s_addc_u32 s14, s14, s12
	s_ashr_i32 s10, s5, 31
	s_add_u32 s12, s4, s10
	s_mov_b32 s11, s10
	s_addc_u32 s13, s5, s10
	s_xor_b64 s[12:13], s[12:13], s[10:11]
	s_mul_i32 s16, s12, s14
	s_mul_hi_u32 s17, s12, s15
	s_mul_hi_u32 s5, s12, s14
	s_add_u32 s16, s17, s16
	s_addc_u32 s5, 0, s5
	s_mul_hi_u32 s18, s13, s15
	s_mul_i32 s15, s13, s15
	s_add_u32 s15, s16, s15
	s_mul_hi_u32 s17, s13, s14
	s_addc_u32 s5, s5, s18
	s_addc_u32 s15, s17, 0
	s_mul_i32 s14, s13, s14
	s_add_u32 s5, s5, s14
	s_addc_u32 s18, 0, s15
	s_mul_i32 s14, s6, s18
	s_mul_hi_u32 s15, s6, s5
	s_add_i32 s14, s15, s14
	s_mul_i32 s15, s7, s5
	s_add_i32 s19, s14, s15
	s_sub_i32 s16, s13, s19
	s_mul_i32 s14, s6, s5
	s_sub_u32 s12, s12, s14
	s_cselect_b64 s[14:15], -1, 0
	s_cmp_lg_u64 s[14:15], 0
	s_subb_u32 s20, s16, s7
	s_sub_u32 s21, s12, s6
	s_cselect_b64 s[16:17], -1, 0
	s_cmp_lg_u64 s[16:17], 0
	s_subb_u32 s16, s20, 0
	s_cmp_ge_u32 s16, s7
	s_cselect_b32 s17, -1, 0
	s_cmp_ge_u32 s21, s6
	s_cselect_b32 s20, -1, 0
	s_cmp_eq_u32 s16, s7
	s_cselect_b32 s16, s20, s17
	s_add_u32 s17, s5, 1
	s_addc_u32 s20, s18, 0
	s_add_u32 s21, s5, 2
	s_addc_u32 s22, s18, 0
	s_cmp_lg_u32 s16, 0
	s_cselect_b32 s16, s21, s17
	s_cselect_b32 s17, s22, s20
	s_cmp_lg_u64 s[14:15], 0
	s_subb_u32 s13, s13, s19
	s_cmp_ge_u32 s13, s7
	s_cselect_b32 s14, -1, 0
	s_cmp_ge_u32 s12, s6
	s_cselect_b32 s6, -1, 0
	s_cmp_eq_u32 s13, s7
	s_cselect_b32 s6, s6, s14
	s_cmp_lg_u32 s6, 0
	s_cselect_b32 s7, s17, s18
	s_cselect_b32 s6, s16, s5
	s_xor_b64 s[10:11], s[10:11], 0
	s_xor_b64 s[6:7], s[6:7], s[10:11]
	s_sub_u32 s92, s6, s10
	s_branch .LBB14_3
.LBB14_2:
	s_mov_b64 s[2:3], -1
                                        ; implicit-def: $sgpr92_sgpr93
.LBB14_3:
	s_load_dwordx2 s[6:7], s[0:1], 0x74
	v_cvt_f32_u32_e32 v1, s24
	s_andn2_b64 vcc, exec, s[2:3]
	s_waitcnt lgkmcnt(0)
	v_writelane_b32 v254, s6, 10
	s_nop 1
	v_writelane_b32 v254, s7, 11
	s_cbranch_vccnz .LBB14_5
; %bb.4:
	v_rcp_iflag_f32_e32 v2, v1
	s_sub_i32 s2, 0, s24
	v_mul_f32_e32 v2, 0x4f7ffffe, v2
	v_cvt_u32_f32_e32 v2, v2
	s_nop 0
	v_readfirstlane_b32 s3, v2
	s_mul_i32 s2, s2, s3
	s_mul_hi_u32 s2, s3, s2
	s_add_i32 s3, s3, s2
	s_mul_hi_u32 s2, s4, s3
	s_mul_i32 s5, s2, s24
	s_sub_i32 s4, s4, s5
	s_add_i32 s3, s2, 1
	s_sub_i32 s5, s4, s24
	s_cmp_ge_u32 s4, s24
	s_cselect_b32 s2, s3, s2
	s_cselect_b32 s4, s5, s4
	s_add_i32 s3, s2, 1
	s_cmp_ge_u32 s4, s24
	s_cselect_b32 s92, s3, s2
.LBB14_5:
	s_add_i32 s2, s23, 1
	s_mul_i32 s3, s9, s2
	s_mul_hi_u32 s4, s8, s2
	s_add_i32 s7, s4, s3
	s_mov_b32 s6, 0
	s_cmp_lg_u64 s[6:7], 0
	s_mul_i32 s6, s8, s2
	v_writelane_b32 v254, s23, 12
	s_cbranch_scc0 .LBB14_390
; %bb.6:
	s_add_u32 s2, s24, 0
	s_addc_u32 s3, 0, 0
	s_xor_b64 s[4:5], s[2:3], 0
	v_cvt_f32_u32_e32 v2, s4
	v_cvt_f32_u32_e32 v3, s5
	s_sub_u32 s10, 0, s4
	s_subb_u32 s11, 0, s5
	v_fmamk_f32 v2, v3, 0x4f800000, v2
	v_rcp_f32_e32 v2, v2
	s_nop 0
	v_mul_f32_e32 v2, 0x5f7ffffc, v2
	v_mul_f32_e32 v3, 0x2f800000, v2
	v_trunc_f32_e32 v3, v3
	v_fmamk_f32 v2, v3, 0xcf800000, v2
	v_cvt_u32_f32_e32 v3, v3
	v_cvt_u32_f32_e32 v2, v2
	v_readfirstlane_b32 s12, v3
	v_readfirstlane_b32 s8, v2
	s_mul_i32 s9, s10, s12
	s_mul_hi_u32 s14, s10, s8
	s_mul_i32 s13, s11, s8
	s_add_i32 s9, s14, s9
	s_add_i32 s9, s9, s13
	s_mul_i32 s15, s10, s8
	s_mul_i32 s14, s8, s9
	s_mul_hi_u32 s16, s8, s15
	s_mul_hi_u32 s13, s8, s9
	s_add_u32 s14, s16, s14
	s_addc_u32 s13, 0, s13
	s_mul_hi_u32 s17, s12, s15
	s_mul_i32 s15, s12, s15
	s_add_u32 s14, s14, s15
	s_mul_hi_u32 s16, s12, s9
	s_addc_u32 s13, s13, s17
	s_addc_u32 s14, s16, 0
	s_mul_i32 s9, s12, s9
	s_add_u32 s9, s13, s9
	s_addc_u32 s13, 0, s14
	s_add_u32 s14, s8, s9
	s_cselect_b64 s[8:9], -1, 0
	s_cmp_lg_u64 s[8:9], 0
	s_addc_u32 s12, s12, s13
	s_mul_i32 s8, s10, s12
	s_mul_hi_u32 s9, s10, s14
	s_add_i32 s8, s9, s8
	s_mul_i32 s11, s11, s14
	s_add_i32 s8, s8, s11
	s_mul_i32 s10, s10, s14
	s_mul_hi_u32 s11, s12, s10
	s_mul_i32 s13, s12, s10
	s_mul_i32 s16, s14, s8
	s_mul_hi_u32 s10, s14, s10
	s_mul_hi_u32 s15, s14, s8
	s_add_u32 s10, s10, s16
	s_addc_u32 s15, 0, s15
	s_add_u32 s10, s10, s13
	s_mul_hi_u32 s9, s12, s8
	s_addc_u32 s10, s15, s11
	s_addc_u32 s9, s9, 0
	s_mul_i32 s8, s12, s8
	s_add_u32 s8, s10, s8
	s_addc_u32 s10, 0, s9
	s_add_u32 s13, s14, s8
	s_cselect_b64 s[8:9], -1, 0
	s_cmp_lg_u64 s[8:9], 0
	s_addc_u32 s12, s12, s10
	s_ashr_i32 s8, s7, 31
	s_add_u32 s10, s6, s8
	s_mov_b32 s9, s8
	s_addc_u32 s11, s7, s8
	s_xor_b64 s[10:11], s[10:11], s[8:9]
	s_mul_i32 s14, s10, s12
	s_mul_hi_u32 s15, s10, s13
	s_mul_hi_u32 s7, s10, s12
	s_add_u32 s14, s15, s14
	s_addc_u32 s7, 0, s7
	s_mul_hi_u32 s16, s11, s13
	s_mul_i32 s13, s11, s13
	s_add_u32 s13, s14, s13
	s_mul_hi_u32 s15, s11, s12
	s_addc_u32 s7, s7, s16
	s_addc_u32 s13, s15, 0
	s_mul_i32 s12, s11, s12
	s_add_u32 s7, s7, s12
	s_addc_u32 s16, 0, s13
	s_mul_i32 s12, s4, s16
	s_mul_hi_u32 s13, s4, s7
	s_add_i32 s12, s13, s12
	s_mul_i32 s13, s5, s7
	s_add_i32 s17, s12, s13
	s_sub_i32 s14, s11, s17
	s_mul_i32 s12, s4, s7
	s_sub_u32 s10, s10, s12
	s_cselect_b64 s[12:13], -1, 0
	s_cmp_lg_u64 s[12:13], 0
	s_subb_u32 s18, s14, s5
	s_sub_u32 s19, s10, s4
	s_cselect_b64 s[14:15], -1, 0
	s_cmp_lg_u64 s[14:15], 0
	s_subb_u32 s14, s18, 0
	s_cmp_ge_u32 s14, s5
	s_cselect_b32 s15, -1, 0
	s_cmp_ge_u32 s19, s4
	s_cselect_b32 s18, -1, 0
	s_cmp_eq_u32 s14, s5
	s_cselect_b32 s14, s18, s15
	s_add_u32 s15, s7, 1
	s_addc_u32 s18, s16, 0
	s_add_u32 s19, s7, 2
	s_addc_u32 s20, s16, 0
	s_cmp_lg_u32 s14, 0
	s_cselect_b32 s14, s19, s15
	s_cselect_b32 s15, s20, s18
	s_cmp_lg_u64 s[12:13], 0
	s_subb_u32 s11, s11, s17
	s_cmp_ge_u32 s11, s5
	s_cselect_b32 s12, -1, 0
	s_cmp_ge_u32 s10, s4
	s_cselect_b32 s4, -1, 0
	s_cmp_eq_u32 s11, s5
	s_cselect_b32 s4, s4, s12
	s_cmp_lg_u32 s4, 0
	s_cselect_b32 s5, s15, s16
	s_cselect_b32 s4, s14, s7
	s_xor_b64 s[8:9], s[8:9], 0
	s_xor_b64 s[4:5], s[4:5], s[8:9]
	s_sub_u32 s4, s4, s8
	v_writelane_b32 v254, s4, 13
	s_nop 1
	v_writelane_b32 v254, s5, 14
	s_load_dwordx2 s[42:43], s[0:1], 0x5c
	s_cbranch_execnz .LBB14_8
.LBB14_7:
	v_rcp_iflag_f32_e32 v1, v1
	s_sub_i32 s2, 0, s24
	v_mul_f32_e32 v1, 0x4f7ffffe, v1
	v_cvt_u32_f32_e32 v1, v1
	s_nop 0
	v_readfirstlane_b32 s3, v1
	s_mul_i32 s2, s2, s3
	s_mul_hi_u32 s2, s3, s2
	s_add_i32 s3, s3, s2
	s_mul_hi_u32 s2, s6, s3
	s_mul_i32 s4, s2, s24
	s_sub_i32 s4, s6, s4
	s_add_i32 s3, s2, 1
	s_sub_i32 s5, s4, s24
	s_cmp_ge_u32 s4, s24
	s_cselect_b32 s2, s3, s2
	s_cselect_b32 s4, s5, s4
	s_add_i32 s3, s2, 1
	s_cmp_ge_u32 s4, s24
	s_cselect_b32 s2, s3, s2
	v_writelane_b32 v254, s2, 13
	s_nop 1
	v_writelane_b32 v254, s3, 14
.LBB14_8:
	s_load_dwordx16 s[68:83], s[0:1], 0x0
	s_load_dwordx4 s[88:91], s[0:1], 0x40
	s_load_dword s2, s[0:1], 0x50
	v_writelane_b32 v254, s24, 15
	s_ashr_i32 s86, s51, 3
	v_bfe_u32 v144, v0, 10, 10
	s_waitcnt lgkmcnt(0)
	v_cvt_f16_f32_e32 v104, s88
	v_writelane_b32 v254, s2, 16
	s_load_dwordx2 s[2:3], s[0:1], 0x8c
	s_load_dwordx4 s[4:7], s[0:1], 0x98
	s_load_dwordx2 s[8:9], s[0:1], 0xa8
	s_load_dwordx2 s[96:97], s[0:1], 0xb8
	s_nop 0
	s_load_dwordx2 s[0:1], s[0:1], 0xc8
	s_mov_b32 s61, 0
	s_waitcnt lgkmcnt(0)
	s_ashr_i32 s56, s2, 2
	s_ashr_i32 s50, s6, 2
	v_writelane_b32 v254, s8, 17
	s_ashr_i32 s84, s97, 1
	v_and_b32_e32 v34, 31, v0
	v_writelane_b32 v254, s9, 18
	v_writelane_b32 v254, s0, 19
	v_lshlrev_b32_e32 v132, 4, v144
	v_mbcnt_lo_u32_b32 v122, -1, 0
	v_writelane_b32 v254, s1, 20
	s_mov_b32 s1, s3
	v_readlane_b32 s9, v254, 1
	s_abs_i32 s8, s9
	v_cvt_f32_u32_e32 v1, s8
	v_writelane_b32 v254, s0, 21
	s_mov_b32 s3, s7
	v_rcp_iflag_f32_e32 v1, v1
	v_writelane_b32 v254, s1, 22
	s_mov_b64 s[0:1], s[4:5]
	v_writelane_b32 v254, s0, 23
	v_mul_f32_e32 v1, 0x4f7ffffe, v1
	v_cvt_u32_f32_e32 v1, v1
	v_writelane_b32 v254, s1, 24
	v_writelane_b32 v254, s2, 25
	v_writelane_b32 v254, s3, 26
	s_sub_i32 s2, 0, s8
	v_readfirstlane_b32 s3, v1
	s_mul_i32 s2, s2, s3
	s_ashr_i32 s1, s9, 31
	s_mul_hi_u32 s2, s3, s2
	v_writelane_b32 v254, s1, 27
	s_abs_i32 s1, s92
	s_add_i32 s2, s3, s2
	v_writelane_b32 v254, s2, 28
	s_mul_hi_u32 s2, s1, s2
	s_mul_i32 s2, s2, s8
	s_sub_i32 s1, s1, s2
	s_ashr_i32 s0, s92, 31
	s_sub_i32 s2, s1, s8
	s_cmp_ge_u32 s1, s8
	s_cselect_b32 s1, s2, s1
	s_sub_i32 s2, s1, s8
	s_cmp_ge_u32 s1, s8
	s_cselect_b32 s1, s2, s1
	v_writelane_b32 v254, s8, 29
	s_xor_b32 s1, s1, s0
	s_sub_i32 s66, s1, s0
	v_readlane_b32 s0, v254, 13
	s_mov_b32 s6, s0
	s_sub_i32 s0, s0, s92
	s_add_i32 s4, s0, s66
	s_min_i32 s58, s9, s4
	s_cmp_gt_i32 s6, s92
	v_readlane_b32 s1, v254, 14
	s_cselect_b64 s[2:3], -1, 0
	s_cmp_le_i32 s6, s92
	s_cselect_b64 s[0:1], -1, 0
	s_cmp_gt_i32 s9, s4
	s_cselect_b64 s[4:5], -1, 0
	s_or_b64 s[0:1], s[4:5], s[0:1]
	v_bfe_u32 v1, v0, 5, 5
	s_and_b64 vcc, exec, s[0:1]
	v_lshl_add_u32 v35, v144, 1, v1
	s_cbranch_vccnz .LBB14_319
; %bb.9:
	s_cmp_lg_u64 s[74:75], 0
	s_cselect_b64 s[0:1], -1, 0
	v_writelane_b32 v254, s0, 30
	s_cmp_eq_u64 s[76:77], 0
	v_bfe_u32 v3, v0, 3, 7
	v_writelane_b32 v254, s1, 31
	s_mul_i32 s0, s48, s49
	v_writelane_b32 v254, s0, 32
	s_cselect_b64 s[0:1], -1, 0
	v_writelane_b32 v254, s0, 33
	s_cmp_lg_u64 s[78:79], 0
	v_bfe_u32 v1, v0, 4, 6
	v_writelane_b32 v254, s1, 34
	v_cmp_nle_f32_e64 s[0:1], s89, 0
	v_and_b32_e32 v36, 15, v0
	v_lshlrev_b32_e32 v4, 2, v3
	v_writelane_b32 v254, s0, 35
	v_and_b32_e32 v38, 0x3ff, v0
	v_lshl_add_u32 v47, v144, 2, v1
	v_writelane_b32 v254, s1, 36
	s_cselect_b64 s[0:1], -1, 0
	v_writelane_b32 v254, s0, 37
	v_mul_u32_u24_e32 v2, 0xd0, v36
	v_and_b32_e32 v5, 0x78, v4
	v_writelane_b32 v254, s1, 38
	s_movk_i32 s0, 0xd00
	v_mad_u32_u24 v1, v144, s0, 0
	v_mul_i32_i24_e32 v6, 0xfffff390, v144
	v_lshlrev_b32_e32 v42, 1, v38
	v_add3_u32 v49, v1, v2, v5
	v_add3_u32 v145, v1, v6, v42
	v_bfe_u32 v1, v0, 2, 8
	v_lshlrev_b32_e32 v7, 2, v38
	v_readlane_b32 s14, v254, 12
	s_movk_i32 s3, 0xd0
	v_add_u32_e32 v146, v1, v132
	v_and_b32_e32 v46, 12, v7
	s_lshl_b32 s60, s14, 6
	s_ashr_i32 s85, s84, 31
	s_ashr_i32 s57, s56, 31
	s_ashr_i32 s51, s50, 31
	v_mad_u32_u24 v6, v146, s3, 0
	v_lshlrev_b32_e32 v8, 2, v46
	s_movk_i32 s20, 0x80
	v_lshl_add_u32 v148, v144, 3, v3
	v_and_b32_e32 v48, 28, v7
	s_lshl_b64 s[14:15], s[60:61], 3
	v_add3_u32 v147, v6, v8, s20
	v_mul_u32_u24_e32 v6, 0xd0, v148
	v_lshlrev_b32_e32 v7, 2, v48
	v_add3_u32 v150, 0, v2, v5
	v_and_b32_e32 v151, 60, v1
	v_or_b32_e32 v2, v36, v132
	s_movk_i32 s10, 0x90
	s_add_u32 s18, s82, s14
	v_readlane_b32 s29, v254, 7
	v_add3_u32 v149, 0, v6, v7
	v_mad_u32_u24 v6, v2, s10, 0
	v_or_b32_e32 v4, 4, v4
	v_add_u32_e32 v154, 16, v151
	v_add_u32_e32 v156, 32, v151
	;; [unrolled: 1-line block ×3, first 2 shown]
	s_addc_u32 s19, s83, s15
	s_abs_i32 s21, s29
	v_lshl_add_u32 v152, v151, 1, v6
	v_add_u32_e32 v153, v6, v4
	v_lshl_add_u32 v155, v154, 1, v6
	v_lshl_add_u32 v157, v156, 1, v6
	;; [unrolled: 1-line block ×3, first 2 shown]
	v_or_b32_e32 v6, v132, v38
	v_readlane_b32 s28, v254, 6
	v_writelane_b32 v254, s21, 39
	v_mov_b32_e32 v41, 0
	v_cvt_f32_u32_e32 v4, s21
	s_abs_i32 s22, s28
	v_lshlrev_b32_e32 v40, 3, v6
	v_readlane_b32 s27, v254, 3
	v_cvt_f32_u32_e32 v7, s22
	v_lshl_add_u64 v[8:9], s[18:19], 0, v[40:41]
	s_abs_i32 s19, s27
	scratch_store_dwordx2 off, v[8:9], off offset:16 ; 8-byte Folded Spill
	s_sub_i32 s18, 0, s21
	v_cvt_f32_u32_e32 v8, s19
	s_abs_i32 s21, s96
	v_cvt_f32_u32_e32 v9, s21
	v_rcp_iflag_f32_e32 v4, v4
	v_rcp_iflag_f32_e32 v6, v7
	;; [unrolled: 1-line block ×4, first 2 shown]
	v_mul_f32_e32 v4, 0x4f7ffffe, v4
	v_cvt_u32_f32_e32 v4, v4
	v_mul_f32_e32 v6, 0x4f7ffffe, v6
	v_cvt_u32_f32_e32 v6, v6
	;; [unrolled: 2-line block ×4, first 2 shown]
	v_lshlrev_b32_e32 v3, 1, v3
	v_mul_lo_u32 v7, s18, v4
	s_sub_i32 s18, 0, s22
	v_and_b32_e32 v13, 60, v3
	v_or_b32_e32 v14, 2, v3
	v_or_b32_e32 v3, 3, v3
	v_mul_lo_u32 v10, s18, v6
	s_sub_i32 s18, 0, s19
	v_mul_u32_u24_e32 v3, 0xd0, v3
	v_lshlrev_b32_e32 v15, 1, v36
	v_mul_lo_u32 v11, s18, v8
	s_sub_i32 s18, 0, s21
	v_add3_u32 v162, 0, v3, v15
	v_mul_hi_u32 v3, v6, v10
	v_mul_lo_u32 v12, s18, v9
	v_add_u32_e32 v165, v6, v3
	v_mul_hi_u32 v3, v8, v11
	v_mul_u32_u24_e32 v2, 0xd0, v2
	v_add_u32_e32 v167, v8, v3
	v_mul_hi_u32 v3, v9, v12
	v_add3_u32 v163, 0, v2, v5
	v_mul_hi_u32 v2, v4, v7
	v_add_u32_e32 v169, v9, v3
	v_and_b32_e32 v3, 3, v0
	v_add_u32_e32 v164, v4, v2
	v_add_u32_e32 v2, v132, v38
	;; [unrolled: 1-line block ×4, first 2 shown]
	v_lshlrev_b32_e32 v40, 4, v3
	v_add_u32_e32 v170, 48, v35
	v_and_b32_e32 v3, 15, v35
	s_movk_i32 s26, 0x7f0
	v_and_or_b32 v4, v166, s26, v3
	v_or_b32_e32 v171, 3, v1
	v_and_or_b32 v1, v168, s26, v3
	v_mul_u32_u24_e32 v5, 0xd0, v2
	v_and_or_b32 v2, v170, s26, v3
	v_mul_u32_u24_e32 v8, 0xd0, v4
	v_mad_u32_u24 v12, v4, s3, 0
	v_mul_u32_u24_e32 v4, 0xd0, v1
	v_mad_u32_u24 v9, v1, s3, 0
	;; [unrolled: 2-line block ×3, first 2 shown]
	v_lshlrev_b32_e32 v2, 2, v34
	v_mad_u32_u24 v179, v35, s3, 0
	v_add_u32_e32 v11, v179, v2
	scratch_store_dword off, v11, off offset:24 ; 4-byte Folded Spill
	v_add_u32_e32 v11, 0x680, v179
	v_add_u32_e32 v11, v11, v2
	scratch_store_dword off, v11, off offset:84 ; 4-byte Folded Spill
	scratch_store_dword off, v12, off offset:108 ; 4-byte Folded Spill
	v_add_u32_e32 v11, v12, v2
	scratch_store_dword off, v11, off offset:104 ; 4-byte Folded Spill
	v_add_u32_e32 v11, 0x1380, v179
	v_add_u32_e32 v11, v11, v2
	scratch_store_dword off, v11, off offset:124 ; 4-byte Folded Spill
	scratch_store_dword off, v9, off offset:140 ; 4-byte Folded Spill
	;; [unrolled: 6-line block ×3, first 2 shown]
	v_add_u32_e32 v9, v10, v2
	s_movk_i32 s26, 0xff0
	v_add_u32_e32 v172, 16, v47
	v_and_b32_e32 v3, 15, v47
	scratch_store_dword off, v9, off offset:160 ; 4-byte Folded Spill
	v_add_u32_e32 v9, 0x2d80, v179
	v_add_u32_e32 v173, 32, v47
	;; [unrolled: 1-line block ×3, first 2 shown]
	v_and_or_b32 v6, v172, s26, v3
	v_add_u32_e32 v178, 0, v2
	v_add_u32_e32 v2, v9, v2
	v_and_or_b32 v7, v173, s26, v3
	v_and_or_b32 v3, v174, s26, v3
	scratch_store_dword off, v2, off offset:164 ; 4-byte Folded Spill
	v_mad_u32_u24 v10, v6, s3, 0
	v_lshlrev_b32_e32 v2, 2, v36
	v_mul_lo_u32 v56, s50, v146
	v_mul_u32_u24_e32 v9, 0xd0, v6
	v_mul_u32_u24_e32 v6, 0xd0, v7
	v_mad_u32_u24 v11, v7, s3, 0
	v_mul_u32_u24_e32 v7, 0xd0, v3
	v_mad_u32_u24 v3, v3, s3, 0
	v_mad_u32_u24 v12, v47, s3, 0
	scratch_store_dword off, v10, off offset:88 ; 4-byte Folded Spill
	v_add_u32_e32 v10, v10, v2
	v_ashrrev_i32_e32 v57, 31, v56
	v_add_u32_e32 v195, 0, v2
	v_add_u32_e32 v197, v12, v2
	scratch_store_dword off, v10, off offset:92 ; 4-byte Folded Spill
	scratch_store_dword off, v11, off offset:112 ; 4-byte Folded Spill
	v_add_u32_e32 v10, v11, v2
	v_add_u32_e32 v2, v3, v2
	scratch_store_dword off, v10, off offset:116 ; 4-byte Folded Spill
	scratch_store_dword off, v3, off offset:128 ; 4-byte Folded Spill
	;; [unrolled: 1-line block ×3, first 2 shown]
	v_lshl_add_u64 v[2:3], v[56:57], 2, v[40:41]
	v_lshl_add_u64 v[2:3], s[72:73], 0, v[2:3]
	s_mov_b64 s[52:53], 0x80
	v_mul_lo_u32 v44, s56, v146
	v_lshl_add_u64 v[2:3], v[2:3], 0, s[52:53]
	v_ashrrev_i32_e32 v45, 31, v44
	v_writelane_b32 v254, s22, 40
	scratch_store_dwordx2 off, v[2:3], off offset:28 ; 8-byte Folded Spill
	v_and_b32_e32 v2, 7, v0
	v_writelane_b32 v254, s19, 41
	v_lshlrev_b32_e32 v64, 4, v2
	v_lshl_add_u64 v[2:3], v[44:45], 2, v[40:41]
	v_writelane_b32 v254, s21, 42
	s_ashr_i32 s3, s29, 31
	v_lshl_add_u64 v[2:3], s[70:71], 0, v[2:3]
	v_writelane_b32 v254, s3, 43
	s_ashr_i32 s3, s28, 31
	v_lshl_add_u64 v[2:3], v[2:3], 0, s[52:53]
	s_mov_b32 s2, 0x10001
	v_writelane_b32 v254, s3, 44
	s_ashr_i32 s3, s27, 31
	scratch_store_dwordx2 off, v[2:3], off offset:36 ; 8-byte Folded Spill
                                        ; implicit-def: $vgpr2
	v_mul_lo_u32 v58, s50, v148
	v_writelane_b32 v254, s3, 45
	v_add_u32_e32 v2, v178, v8
	v_mul_lo_u32 v208, v104, s2
	v_cmp_gt_u32_e64 s[2:3], 16, v38
	v_lshl_add_u32 v60, s50, 5, v58
	v_ashrrev_i32_e32 v59, 31, v58
	scratch_store_dword off, v2, off offset:96 ; 4-byte Folded Spill
	v_add_u32_e32 v2, v178, v4
	v_writelane_b32 v254, s2, 46
	v_mul_lo_u32 v50, s56, v148
	v_ashrrev_i32_e32 v61, 31, v60
	scratch_store_dword off, v2, off offset:136 ; 4-byte Folded Spill
	v_lshl_add_u64 v[2:3], v[58:59], 2, s[72:73]
	v_writelane_b32 v254, s3, 47
	s_lshl_b64 s[2:3], s[84:85], 1
	v_ashrrev_i32_e32 v51, 31, v50
	v_lshl_add_u32 v52, s56, 5, v50
	scratch_store_dwordx2 off, v[2:3], off offset:48 ; 8-byte Folded Spill
	v_lshl_add_u64 v[2:3], v[60:61], 2, s[72:73]
	v_writelane_b32 v254, s2, 48
	v_ashrrev_i32_e32 v53, 31, v52
	scratch_store_dwordx2 off, v[2:3], off offset:56 ; 8-byte Folded Spill
	v_lshl_add_u64 v[2:3], v[50:51], 2, s[70:71]
	v_writelane_b32 v254, s3, 49
	scratch_store_dwordx2 off, v[2:3], off offset:64 ; 8-byte Folded Spill
	v_lshl_add_u64 v[2:3], v[52:53], 2, s[70:71]
	v_writelane_b32 v254, s68, 50
                                        ; implicit-def: $vgpr255 : SGPR spill to VGPR lane
	s_mov_b32 s2, s84
	s_mov_b64 s[94:95], s[90:91]
	v_writelane_b32 v254, s69, 51
	v_writelane_b32 v254, s70, 52
	;; [unrolled: 1-line block ×11, first 2 shown]
	s_mov_b32 s93, s89
	v_writelane_b32 v254, s75, 57
	v_writelane_b32 v255, s92, 5
	;; [unrolled: 1-line block ×3, first 2 shown]
	v_add_u32_e32 v1, v178, v1
	v_writelane_b32 v255, s93, 6
	v_writelane_b32 v254, s77, 59
	;; [unrolled: 1-line block ×3, first 2 shown]
	scratch_store_dword off, v1, off offset:152 ; 4-byte Folded Spill
	v_add_u32_e32 v1, v195, v9
	v_writelane_b32 v254, s78, 60
	v_writelane_b32 v255, s95, 8
	s_mov_b32 s2, s96
	scratch_store_dword off, v1, off offset:80 ; 4-byte Folded Spill
	v_add_u32_e32 v1, v195, v6
	v_writelane_b32 v254, s79, 61
	v_writelane_b32 v255, s2, 9
	s_mov_b64 s[36:37], src_private_base
	s_movk_i32 s10, 0x100
	s_movk_i32 s12, 0xc0
	v_mul_u32_u24_e32 v13, 0xd0, v13
	v_mul_u32_u24_e32 v14, 0xd0, v14
	s_mul_i32 s60, s49, 48
	scratch_store_dword off, v1, off offset:100 ; 4-byte Folded Spill
	v_add_u32_e32 v1, v195, v7
	v_writelane_b32 v254, s80, 62
	v_writelane_b32 v255, s3, 10
	v_cmp_gt_u32_e64 s[0:1], 64, v38
	v_cmp_lt_u32_e64 s[98:99], 63, v38
	v_cmp_gt_u32_e64 s[4:5], 64, v146
	v_cmp_gt_u32_e64 s[6:7], 64, v148
	;; [unrolled: 1-line block ×8, first 2 shown]
	v_add3_u32 v160, 0, v13, v15
	v_add3_u32 v161, 0, v14, v15
	v_cmp_gt_u32_e64 s[20:21], s20, v38
	v_cmp_gt_u32_e64 s[22:23], 31, v151
	;; [unrolled: 1-line block ×3, first 2 shown]
	v_mov_b32_e32 v55, v12
	v_mov_b32_e32 v37, v41
	;; [unrolled: 1-line block ×4, first 2 shown]
	s_mov_b32 s49, 0x42b17218
	s_mov_b32 s36, 0x3fb8aa3b
	;; [unrolled: 1-line block ×3, first 2 shown]
	scratch_store_dword off, v1, off offset:120 ; 4-byte Folded Spill
	v_add_u32_e32 v1, 0, v5
	v_mov_b32_e32 v72, v41
	v_mov_b32_e32 v73, v41
	;; [unrolled: 1-line block ×4, first 2 shown]
	s_mov_b32 s59, 0x5040100
	v_add_u32_e32 v209, 4, v144
	v_add_u32_e32 v210, 0x240, v145
	;; [unrolled: 1-line block ×35, first 2 shown]
	v_or_b32_e32 v184, 1, v151
	v_or_b32_e32 v196, 2, v151
	v_add_u32_e32 v246, 17, v151
	v_add_u32_e32 v247, 19, v151
	;; [unrolled: 1-line block ×6, first 2 shown]
	v_mul_u32_u24_e32 v252, 0xd0, v35
	v_add_u32_e32 v253, 8, v35
	v_add_u32_e32 v190, 24, v35
	;; [unrolled: 1-line block ×4, first 2 shown]
	v_mul_u32_u24_e32 v189, 0xd0, v47
	v_mov_b32_e32 v186, 0x7f800000
	v_mov_b32_e32 v202, 0x7fc00000
	v_mbcnt_hi_u32_b32 v143, -1, v122
	v_mov_b32_e32 v185, 0
	v_cmp_gt_u32_e64 s[26:27], 29, v151
	v_cmp_gt_u32_e64 s[28:29], 15, v151
	;; [unrolled: 1-line block ×4, first 2 shown]
	s_lshl_b64 s[54:55], s[50:51], 8
	s_lshl_b64 s[44:45], s[56:57], 8
	v_writelane_b32 v254, s81, 63
	s_mov_b32 s93, 0xc1a00000
	v_writelane_b32 v255, s60, 11
	v_mov_b32_e32 v54, v104
	scratch_store_dword off, v1, off offset:44 ; 4-byte Folded Spill
	scratch_store_dwordx2 off, v[2:3], off offset:72 ; 8-byte Folded Spill
	s_branch .LBB14_11
.LBB14_10:                              ;   in Loop: Header=BB14_11 Depth=1
	s_or_b64 exec, exec, s[2:3]
	v_readlane_b32 s41, v254, 1
	s_add_i32 s2, s92, s41
	s_abs_i32 s38, s2
	v_readlane_b32 s39, v254, 28
	s_mul_hi_u32 s39, s38, s39
	v_readlane_b32 s40, v254, 29
	s_mul_i32 s39, s39, s40
	s_sub_i32 s38, s38, s39
	s_ashr_i32 s3, s2, 31
	s_sub_i32 s39, s38, s40
	s_cmp_ge_u32 s38, s40
	s_cselect_b32 s38, s39, s38
	s_sub_i32 s39, s38, s40
	s_cmp_ge_u32 s38, s40
	s_cselect_b32 s38, s39, s38
	s_xor_b32 s38, s38, s3
	s_sub_i32 s3, s3, s38
	s_add_i32 s92, s2, s3
	v_readlane_b32 s2, v254, 13
	s_sub_i32 s38, s2, s92
	s_min_i32 s58, s41, s38
	v_readlane_b32 s3, v254, 14
	s_cmp_gt_i32 s2, s92
	s_cselect_b64 s[2:3], -1, 0
	s_cmp_le_i32 s41, s38
	s_cselect_b64 s[38:39], -1, 0
	s_and_b64 s[38:39], s[38:39], s[2:3]
	s_mov_b32 s66, 0
	s_and_b64 vcc, exec, s[38:39]
	s_cbranch_vccz .LBB14_319
.LBB14_11:                              ; =>This Loop Header: Depth=1
                                        ;     Child Loop BB14_69 Depth 2
                                        ;     Child Loop BB14_228 Depth 2
	s_ashr_i32 s2, s92, 31
	v_readlane_b32 s3, v254, 43
	s_xor_b32 s2, s2, s3
	s_abs_i32 s3, s92
	v_mul_hi_u32 v1, s3, v164
	v_readlane_b32 s38, v254, 39
	v_add_u32_e32 v3, 1, v1
	s_nop 0
	v_mul_lo_u32 v2, v1, s38
	v_sub_u32_e32 v2, s3, v2
	v_subrev_u32_e32 v4, s38, v2
	v_cmp_le_u32_e32 vcc, s38, v2
	s_nop 1
	v_cndmask_b32_e32 v1, v1, v3, vcc
	v_cndmask_b32_e32 v2, v2, v4, vcc
	v_add_u32_e32 v3, 1, v1
	v_cmp_le_u32_e32 vcc, s38, v2
	s_nop 1
	v_cndmask_b32_e32 v1, v1, v3, vcc
	v_xor_b32_e32 v1, s2, v1
	v_subrev_u32_e32 v1, s2, v1
	v_readlane_b32 s2, v254, 30
	v_readlane_b32 s3, v254, 31
	s_andn2_b64 vcc, exec, s[2:3]
	v_ashrrev_i32_e32 v4, 31, v1
	s_cbranch_vccnz .LBB14_13
; %bb.12:                               ;   in Loop: Header=BB14_11 Depth=1
	v_sub_u32_e32 v2, 0, v1
	v_max_i32_e32 v2, v1, v2
	v_mul_hi_u32 v3, v2, v169
	v_readlane_b32 s2, v254, 42
	s_nop 1
	v_mul_lo_u32 v3, v3, s2
	v_sub_u32_e32 v2, v2, v3
	v_subrev_u32_e32 v3, s2, v2
	v_cmp_le_u32_e32 vcc, s2, v2
	s_nop 1
	v_cndmask_b32_e32 v2, v2, v3, vcc
	v_subrev_u32_e32 v3, s2, v2
	v_cmp_le_u32_e32 vcc, s2, v2
	v_readlane_b32 s2, v254, 19
	v_readlane_b32 s3, v254, 20
	v_cndmask_b32_e32 v2, v2, v3, vcc
	v_xor_b32_e32 v2, v2, v4
	v_sub_u32_e32 v2, v2, v4
	v_ashrrev_i32_e32 v3, 31, v2
	v_mul_lo_u32 v3, s2, v3
	v_mul_hi_u32 v5, s2, v2
	v_add_u32_e32 v3, v5, v3
	v_mul_lo_u32 v5, s3, v2
	v_add_u32_e32 v3, v3, v5
	v_mul_lo_u32 v2, s2, v2
	v_lshl_add_u64 v[86:87], s[74:75], 0, v[2:3]
	s_branch .LBB14_14
.LBB14_13:                              ;   in Loop: Header=BB14_11 Depth=1
	v_mov_b64_e32 v[86:87], 0
.LBB14_14:                              ;   in Loop: Header=BB14_11 Depth=1
	v_readlane_b32 s2, v254, 7
	v_mov_b32_e32 v82, 1.0
	s_nop 0
	v_mul_lo_u32 v2, v1, s2
	v_sub_u32_e32 v2, s92, v2
	v_sub_u32_e32 v5, 0, v2
	v_ashrrev_i32_e32 v3, 31, v2
	v_readlane_b32 s2, v254, 44
	v_max_i32_e32 v5, v2, v5
	v_mul_hi_u32 v6, v5, v165
	v_xor_b32_e32 v3, s2, v3
	v_readlane_b32 s2, v254, 40
	s_nop 1
	v_mul_lo_u32 v7, v6, s2
	v_sub_u32_e32 v5, v5, v7
	v_add_u32_e32 v7, 1, v6
	v_subrev_u32_e32 v8, s2, v5
	v_cmp_le_u32_e32 vcc, s2, v5
	s_nop 1
	v_cndmask_b32_e32 v6, v6, v7, vcc
	v_cndmask_b32_e32 v5, v5, v8, vcc
	v_add_u32_e32 v7, 1, v6
	v_cmp_le_u32_e32 vcc, s2, v5
	v_readlane_b32 s2, v254, 6
	s_nop 0
	v_cndmask_b32_e32 v5, v6, v7, vcc
	v_xor_b32_e32 v5, v5, v3
	v_sub_u32_e32 v5, v5, v3
	v_mul_lo_u32 v3, v5, s2
	v_sub_u32_e32 v3, v2, v3
	v_sub_u32_e32 v6, 0, v3
	v_ashrrev_i32_e32 v2, 31, v3
	v_readlane_b32 s2, v254, 45
	v_max_i32_e32 v6, v3, v6
	v_mul_hi_u32 v7, v6, v167
	v_xor_b32_e32 v2, s2, v2
	v_readlane_b32 s2, v254, 41
	s_nop 1
	v_mul_lo_u32 v8, v7, s2
	v_sub_u32_e32 v6, v6, v8
	v_add_u32_e32 v8, 1, v7
	v_subrev_u32_e32 v9, s2, v6
	v_cmp_le_u32_e32 vcc, s2, v6
	s_nop 1
	v_cndmask_b32_e32 v7, v7, v8, vcc
	v_cndmask_b32_e32 v6, v6, v9, vcc
	v_add_u32_e32 v8, 1, v7
	v_cmp_le_u32_e32 vcc, s2, v6
	v_readlane_b32 s2, v254, 2
	s_nop 0
	v_cndmask_b32_e32 v6, v7, v8, vcc
	v_xor_b32_e32 v6, v6, v2
	v_sub_u32_e32 v6, v6, v2
	v_mul_lo_u32 v2, v5, s2
	v_readlane_b32 s2, v254, 35
	v_readlane_b32 s3, v254, 36
	v_add_u32_e32 v2, v2, v6
	s_andn2_b64 vcc, exec, s[2:3]
	s_cbranch_vccnz .LBB14_16
; %bb.15:                               ;   in Loop: Header=BB14_11 Depth=1
	v_readlane_b32 s2, v254, 16
	v_mov_b32_e32 v7, s91
	v_mov_b32_e32 v8, s90
	v_subrev_co_u32_e32 v9, vcc, s2, v2
	v_lshlrev_b32_e32 v9, 1, v9
	s_nop 0
	v_cndmask_b32_e32 v7, v7, v8, vcc
	v_add_u32_e32 v8, 1, v2
	v_or_b32_e32 v9, 1, v9
	v_cndmask_b32_e32 v8, v9, v8, vcc
	v_cvt_f32_i32_e32 v8, v8
	v_cmp_neq_f32_e32 vcc, 1.0, v7
	s_mov_b32 s2, 0x3f2aaaab
	s_movk_i32 s3, 0x204
	v_cndmask_b32_e32 v24, 1.0, v8, vcc
	v_cmp_neq_f32_e32 vcc, 0, v24
	s_brev_b32 s46, -2
	v_cmp_gt_f32_e64 s[40:41], 0, v24
	v_cndmask_b32_e32 v7, 1.0, v7, vcc
	v_frexp_mant_f32_e64 v8, |v7|
	v_cmp_gt_f32_e32 vcc, s2, v8
	s_mov_b32 s2, 0x3f317218
	s_nop 0
	v_cndmask_b32_e64 v9, 1.0, 2.0, vcc
	v_mul_f32_e32 v8, v8, v9
	v_add_f32_e32 v11, 1.0, v8
	v_rcp_f32_e32 v16, v11
	v_add_f32_e32 v9, -1.0, v11
	v_sub_f32_e32 v13, v8, v9
	v_add_f32_e32 v9, -1.0, v8
	v_mul_f32_e32 v17, v9, v16
	v_mul_f32_e32 v10, v11, v17
	v_fma_f32 v12, v17, v11, -v10
	v_fmac_f32_e32 v12, v17, v13
	v_add_f32_e32 v8, v10, v12
	v_sub_f32_e32 v11, v9, v8
	v_pk_add_f32 v[14:15], v[8:9], v[10:11] neg_lo:[0,1] neg_hi:[0,1]
	v_mov_b32_e32 v13, v8
	v_pk_add_f32 v[8:9], v[14:15], v[12:13] neg_lo:[0,1] neg_hi:[0,1]
	v_mov_b32_e32 v12, 0x3e91f4c4
	v_add_f32_e32 v8, v8, v9
	v_add_f32_e32 v8, v11, v8
	v_mul_f32_e32 v9, v16, v8
	v_add_f32_e32 v8, v17, v9
	v_sub_f32_e32 v10, v8, v17
	v_sub_f32_e32 v18, v9, v10
	v_mul_f32_e32 v9, v8, v8
	v_fma_f32 v11, v8, v8, -v9
	v_add_f32_e32 v10, v18, v18
	v_fmac_f32_e32 v11, v8, v10
	v_add_f32_e32 v10, v9, v11
	v_fmamk_f32 v12, v10, 0x3e76c4e1, v12
	v_fmaak_f32 v12, v10, v12, 0x3ecccdef
	v_sub_f32_e32 v9, v10, v9
	v_sub_f32_e32 v19, v11, v9
	v_mul_f32_e32 v9, v10, v12
	v_fma_f32 v11, v10, v12, -v9
	v_fmac_f32_e32 v11, v19, v12
	v_add_f32_e32 v12, v9, v11
	v_add_f32_e32 v13, 0x3f2aaaaa, v12
	v_sub_f32_e32 v9, v12, v9
	v_sub_f32_e32 v9, v11, v9
	v_add_f32_e32 v11, 0xbf2aaaaa, v13
	v_add_f32_e32 v9, 0x31739010, v9
	v_sub_f32_e32 v11, v12, v11
	v_pk_mul_f32 v[14:15], v[8:9], v[10:11]
	v_pk_add_f32 v[16:17], v[8:9], v[10:11]
	v_fma_f32 v12, v10, v8, -v14
	v_fmac_f32_e32 v12, v10, v18
	v_mov_b32_e32 v15, v17
	v_fmac_f32_e32 v12, v19, v8
	v_pk_add_f32 v[10:11], v[14:15], v[12:13]
	v_ldexp_f32 v20, v18, 1
	v_sub_f32_e32 v9, v10, v14
	v_sub_f32_e32 v9, v12, v9
	;; [unrolled: 1-line block ×3, first 2 shown]
	v_add_f32_e32 v16, v17, v12
	v_pk_mul_f32 v[12:13], v[10:11], v[10:11] op_sel:[0,1] op_sel_hi:[1,0]
	v_cvt_f64_f32_e64 v[14:15], |v7|
	v_frexp_exp_i32_f64_e32 v13, v[14:15]
	v_subbrev_co_u32_e32 v13, vcc, 0, v13, vcc
	v_cvt_f32_i32_e32 v13, v13
	v_fma_f32 v14, v10, v11, -v12
	v_fmac_f32_e32 v14, v10, v16
	v_fmac_f32_e32 v14, v9, v11
	v_mul_f32_e32 v10, 0x3f317218, v13
	v_fma_f32 v16, v13, s2, -v10
	v_fmac_f32_e32 v16, 0xb102e308, v13
	v_ldexp_f32 v17, v8, 1
	v_add_f32_e32 v11, v12, v14
	v_pk_add_f32 v[8:9], v[10:11], v[16:17]
	v_mov_b32_e32 v18, v11
	v_mov_b32_e32 v19, v9
	v_mov_b32_e32 v13, v17
	v_pk_add_f32 v[12:13], v[18:19], v[12:13] neg_lo:[0,1] neg_hi:[0,1]
	v_mov_b32_e32 v15, v11
	v_pk_add_f32 v[12:13], v[14:15], v[12:13] neg_lo:[0,1] neg_hi:[0,1]
	v_mov_b32_e32 v17, v8
	v_add_f32_e32 v11, v20, v12
	v_add_f32_e32 v11, v11, v13
	v_pk_add_f32 v[12:13], v[8:9], v[10:11] neg_lo:[0,1] neg_hi:[0,1]
	v_pk_add_f32 v[14:15], v[8:9], v[10:11]
	v_mov_b32_e32 v22, v9
	v_mov_b32_e32 v13, v15
	v_pk_add_f32 v[18:19], v[16:17], v[12:13] neg_lo:[0,1] neg_hi:[0,1]
	v_pk_add_f32 v[12:13], v[16:17], v[12:13]
	v_mov_b32_e32 v10, v11
	v_pk_add_f32 v[16:17], v[12:13], v[8:9] op_sel:[1,0] op_sel_hi:[0,1] neg_lo:[0,1] neg_hi:[0,1]
	v_pk_add_f32 v[20:21], v[14:15], v[16:17] op_sel_hi:[1,0] neg_lo:[0,1] neg_hi:[0,1]
	v_mov_b32_e32 v14, v15
	v_mov_b32_e32 v15, v13
	;; [unrolled: 1-line block ×3, first 2 shown]
	v_pk_add_f32 v[14:15], v[14:15], v[22:23] neg_lo:[0,1] neg_hi:[0,1]
	v_mov_b32_e32 v11, v8
	v_pk_add_f32 v[8:9], v[10:11], v[14:15] neg_lo:[0,1] neg_hi:[0,1]
	v_mov_b32_e32 v20, v18
	v_pk_add_f32 v[10:11], v[20:21], v[8:9]
	v_mov_b32_e32 v19, v13
	v_pk_add_f32 v[14:15], v[10:11], v[10:11] op_sel:[0,1] op_sel_hi:[1,0]
	s_mov_b32 s2, 0x7f800000
	v_pk_add_f32 v[12:13], v[12:13], v[14:15] op_sel:[1,0] op_sel_hi:[0,1]
	v_mov_b32_e32 v11, v12
	v_pk_add_f32 v[16:17], v[10:11], v[18:19] neg_lo:[0,1] neg_hi:[0,1]
	v_mov_b32_e32 v9, v14
	v_sub_f32_e32 v10, v10, v16
	v_pk_add_f32 v[8:9], v[8:9], v[16:17] neg_lo:[0,1] neg_hi:[0,1]
	v_sub_f32_e32 v10, v18, v10
	v_add_f32_e32 v8, v8, v10
	v_add_f32_e32 v8, v8, v9
	;; [unrolled: 1-line block ×3, first 2 shown]
	v_sub_f32_e32 v10, v9, v12
	v_sub_f32_e32 v8, v8, v10
	v_mul_f32_e32 v10, v24, v9
	v_fma_f32 v9, v24, v9, -v10
	v_fmac_f32_e32 v9, v24, v8
	v_add_f32_e32 v8, v10, v9
	v_cmp_class_f32_e64 vcc, v10, s3
	v_sub_f32_e32 v11, v8, v10
	v_sub_f32_e32 v9, v9, v11
	v_cndmask_b32_e32 v8, v8, v10, vcc
	v_cmp_eq_f32_e32 vcc, s49, v8
	v_mov_b32_e32 v10, 0x37000000
	s_nop 0
	v_cndmask_b32_e32 v10, 0, v10, vcc
	v_sub_f32_e32 v11, v8, v10
	v_mul_f32_e32 v12, 0x3fb8aa3b, v11
	v_fma_f32 v13, v11, s36, -v12
	v_rndne_f32_e32 v14, v12
	v_fmac_f32_e32 v13, 0x32a5705f, v11
	v_sub_f32_e32 v12, v12, v14
	v_add_f32_e32 v12, v12, v13
	v_exp_f32_e32 v12, v12
	v_cvt_i32_f32_e32 v13, v14
	v_cmp_neq_f32_e64 vcc, |v8|, s2
	s_nop 1
	v_cndmask_b32_e32 v8, 0, v9, vcc
	v_ldexp_f32 v9, v12, v13
	v_cmp_ngt_f32_e32 vcc, s33, v11
	v_add_f32_e32 v8, v10, v8
	s_nop 0
	v_cndmask_b32_e32 v9, 0, v9, vcc
	v_cmp_nlt_f32_e32 vcc, s49, v11
	s_nop 1
	v_cndmask_b32_e32 v9, v186, v9, vcc
	v_fma_f32 v8, v9, v8, v9
	v_cmp_class_f32_e64 vcc, v9, s3
	v_cmp_class_f32_e64 s[2:3], v7, s3
	s_nop 0
	v_cndmask_b32_e32 v8, v8, v9, vcc
	v_trunc_f32_e32 v9, v24
	v_cmp_eq_f32_e32 vcc, v9, v24
	v_mul_f32_e32 v9, 0.5, v24
	v_trunc_f32_e32 v10, v9
	v_cmp_neq_f32_e64 s[38:39], v10, v9
	s_and_b64 s[38:39], vcc, s[38:39]
	s_nop 0
	v_cndmask_b32_e64 v9, 1.0, v7, s[38:39]
	v_bfi_b32 v8, s46, v8, v9
	v_cndmask_b32_e32 v9, v202, v8, vcc
	v_cmp_gt_f32_e32 vcc, 0, v7
	v_cndmask_b32_e64 v10, 0, v7, s[38:39]
	s_nop 0
	v_cndmask_b32_e32 v8, v8, v9, vcc
	v_cmp_eq_f32_e32 vcc, 0, v7
	s_xor_b64 s[40:41], s[40:41], vcc
	v_cndmask_b32_e64 v9, v186, 0, s[40:41]
	v_bfi_b32 v9, s46, v9, v10
	s_or_b64 vcc, vcc, s[2:3]
	v_cndmask_b32_e32 v8, v8, v9, vcc
	v_cmp_o_f32_e32 vcc, v7, v7
	s_nop 1
	v_cndmask_b32_e32 v82, v202, v8, vcc
.LBB14_16:                              ;   in Loop: Header=BB14_11 Depth=1
	v_readlane_b32 s2, v254, 3
	s_nop 1
	v_mul_lo_u32 v6, v6, s2
	v_sub_u32_e32 v3, v3, v6
	v_ashrrev_i32_e32 v6, 31, v3
	v_readlane_b32 s2, v254, 27
	v_sub_u32_e32 v7, 0, v3
	v_max_i32_e32 v3, v3, v7
	v_xor_b32_e32 v6, s2, v6
	v_readlane_b32 s2, v254, 28
	s_nop 1
	v_mul_hi_u32 v7, v3, s2
	v_readlane_b32 s2, v254, 29
	s_nop 1
	v_mul_lo_u32 v8, v7, s2
	v_sub_u32_e32 v3, v3, v8
	v_add_u32_e32 v8, 1, v7
	v_subrev_u32_e32 v9, s2, v3
	v_cmp_le_u32_e32 vcc, s2, v3
	s_nop 1
	v_cndmask_b32_e32 v7, v7, v8, vcc
	v_cndmask_b32_e32 v3, v3, v9, vcc
	v_add_u32_e32 v8, 1, v7
	v_cmp_le_u32_e32 vcc, s2, v3
	v_readlane_b32 s2, v254, 37
	v_readlane_b32 s3, v254, 38
	v_cndmask_b32_e32 v3, v7, v8, vcc
	v_xor_b32_e32 v3, v3, v6
	s_andn2_b64 vcc, exec, s[2:3]
	v_sub_u32_e32 v6, v3, v6
	s_cbranch_vccnz .LBB14_18
; %bb.17:                               ;   in Loop: Header=BB14_11 Depth=1
	v_readlane_b32 s2, v254, 0
	s_nop 1
	v_mul_lo_u32 v3, v1, s2
	v_add_u32_e32 v8, v6, v3
	v_ashrrev_i32_e32 v9, 31, v8
	v_lshlrev_b64 v[8:9], 2, v[8:9]
	v_lshl_add_u64 v[8:9], s[78:79], 0, v[8:9]
	global_load_dword v3, v[8:9], off
	s_waitcnt vmcnt(0)
	v_readfirstlane_b32 s2, v3
	s_ashr_i32 s3, s2, 31
	s_lshr_b32 s3, s3, 26
	s_add_i32 s2, s2, s3
	s_ashr_i32 s2, s2, 6
	s_min_i32 s58, s58, s2
.LBB14_18:                              ;   in Loop: Header=BB14_11 Depth=1
	v_readlane_b32 s2, v254, 32
	v_readlane_b32 s88, v254, 23
	;; [unrolled: 1-line block ×3, first 2 shown]
	v_mul_lo_u32 v3, s2, v1
	v_add_u32_e32 v3, v2, v3
	v_readlane_b32 s2, v254, 17
	v_mul_lo_u32 v40, v3, 48
	v_readlane_b32 s3, v254, 18
	v_mul_lo_u32 v3, s2, v4
	v_mul_hi_u32 v7, s2, v1
	v_add_u32_e32 v3, v7, v3
	v_mul_lo_u32 v7, s3, v1
	s_mov_b32 s67, s91
	v_lshlrev_b64 v[8:9], 3, v[40:41]
	v_add_u32_e32 v89, v3, v7
	v_mul_lo_u32 v88, s2, v1
	v_mul_lo_u32 v90, v5, s67
	v_lshl_add_u64 v[76:77], s[80:81], 0, v[8:9]
	v_lshl_add_u64 v[8:9], s[72:73], 0, v[88:89]
	v_ashrrev_i32_e32 v91, 31, v90
	v_ashrrev_i32_e32 v3, 31, v2
	v_lshl_add_u64 v[80:81], v[8:9], 0, v[90:91]
	v_lshlrev_b64 v[8:9], 2, v[2:3]
	v_readlane_b32 s2, v254, 33
	v_lshl_add_u64 v[8:9], s[76:77], 0, v[8:9]
	v_readlane_b32 s3, v254, 34
	v_readlane_b32 s89, v254, 24
	s_mov_b64 s[64:65], s[88:89]
	v_cndmask_b32_e64 v79, v9, 0, s[2:3]
	v_cndmask_b32_e64 v78, v8, 0, s[2:3]
	v_readlane_b32 s2, v254, 10
	v_readlane_b32 s3, v254, 11
	v_mul_lo_u32 v92, s64, v1
	v_mul_lo_u32 v2, v2, s2
	;; [unrolled: 1-line block ×3, first 2 shown]
	v_ashrrev_i32_e32 v9, 31, v8
	v_lshl_add_u64 v[8:9], s[68:69], 0, v[8:9]
	v_ashrrev_i32_e32 v3, 31, v2
	v_lshl_add_u64 v[96:97], v[8:9], 0, v[2:3]
	v_mul_lo_u32 v2, s64, v4
	v_mul_hi_u32 v3, s64, v1
	v_readlane_b32 s2, v254, 21
	v_add_u32_e32 v2, v3, v2
	v_mul_lo_u32 v3, s65, v1
	v_readlane_b32 s3, v254, 22
	v_add_u32_e32 v93, v2, v3
	v_lshl_add_u64 v[2:3], s[70:71], 0, v[92:93]
	v_mul_lo_u32 v94, v5, s3
	v_ashrrev_i32_e32 v95, 31, v94
	v_lshlrev_b32_e32 v206, 6, v6
	v_lshl_add_u64 v[84:85], v[2:3], 0, v[94:95]
	s_cmp_lg_u32 s66, 0
	v_add_u32_e32 v177, v35, v206
	v_readlane_b32 s90, v254, 25
	s_cbranch_scc0 .LBB14_83
; %bb.19:                               ;   in Loop: Header=BB14_11 Depth=1
	v_cmp_gt_i32_e64 s[38:39], s48, v177
	v_cmp_le_i32_e32 vcc, s48, v177
	s_and_saveexec_b64 s[2:3], vcc
	s_xor_b64 s[2:3], exec, s[2:3]
; %bb.20:                               ;   in Loop: Header=BB14_11 Depth=1
	v_add_u32_e32 v1, v178, v252
	ds_write_b32 v1, v41
; %bb.21:                               ;   in Loop: Header=BB14_11 Depth=1
	s_andn2_saveexec_b64 s[2:3], s[2:3]
	s_cbranch_execz .LBB14_23
; %bb.22:                               ;   in Loop: Header=BB14_11 Depth=1
	v_mad_u64_u32 v[2:3], s[40:41], v177, s86, v[34:35]
	v_ashrrev_i32_e32 v3, 31, v2
	v_lshl_add_u64 v[2:3], v[2:3], 3, v[96:97]
	global_load_dwordx2 v[2:3], v[2:3], off
	s_waitcnt vmcnt(0)
	v_cvt_pk_f16_f32 v1, v2, v3
	v_pk_mul_f16 v1, v1, v208
	v_add_u32_e32 v2, v178, v252
	ds_write_b32 v2, v1
.LBB14_23:                              ;   in Loop: Header=BB14_11 Depth=1
	s_or_b64 exec, exec, s[2:3]
	v_add_u32_e32 v193, v253, v206
	v_cmp_gt_i32_e64 s[2:3], s48, v193
	v_cmp_le_i32_e32 vcc, s48, v193
	s_nop 0
	v_writelane_b32 v255, s2, 12
	s_nop 1
	v_writelane_b32 v255, s3, 13
	s_and_saveexec_b64 s[2:3], vcc
	s_xor_b64 s[2:3], exec, s[2:3]
; %bb.24:                               ;   in Loop: Header=BB14_11 Depth=1
	v_add_u32_e32 v1, v178, v252
	ds_write_b32 v1, v41 offset:1664
; %bb.25:                               ;   in Loop: Header=BB14_11 Depth=1
	s_andn2_saveexec_b64 s[2:3], s[2:3]
	s_cbranch_execz .LBB14_27
; %bb.26:                               ;   in Loop: Header=BB14_11 Depth=1
	v_mad_u64_u32 v[2:3], s[40:41], v193, s86, v[34:35]
	v_ashrrev_i32_e32 v3, 31, v2
	v_lshl_add_u64 v[2:3], v[2:3], 3, v[96:97]
	global_load_dwordx2 v[2:3], v[2:3], off
	s_waitcnt vmcnt(0)
	v_cvt_pk_f16_f32 v1, v2, v3
	v_pk_mul_f16 v1, v1, v208
	v_add_u32_e32 v2, v178, v252
	ds_write_b32 v2, v1 offset:1664
.LBB14_27:                              ;   in Loop: Header=BB14_11 Depth=1
	s_or_b64 exec, exec, s[2:3]
	v_add_u32_e32 v175, v166, v206
	v_cmp_gt_i32_e64 s[2:3], s48, v175
	v_cmp_le_i32_e32 vcc, s48, v175
	s_nop 0
	v_writelane_b32 v255, s2, 14
	s_nop 1
	v_writelane_b32 v255, s3, 15
	s_and_saveexec_b64 s[2:3], vcc
	s_xor_b64 s[2:3], exec, s[2:3]
; %bb.28:                               ;   in Loop: Header=BB14_11 Depth=1
	v_add_u32_e32 v1, v178, v252
	ds_write_b32 v1, v41 offset:3328
; %bb.29:                               ;   in Loop: Header=BB14_11 Depth=1
	s_andn2_saveexec_b64 s[2:3], s[2:3]
	s_cbranch_execz .LBB14_31
; %bb.30:                               ;   in Loop: Header=BB14_11 Depth=1
	v_mad_u64_u32 v[2:3], s[40:41], v175, s86, v[34:35]
	v_ashrrev_i32_e32 v3, 31, v2
	v_lshl_add_u64 v[2:3], v[2:3], 3, v[96:97]
	global_load_dwordx2 v[2:3], v[2:3], off
	s_waitcnt vmcnt(0)
	v_cvt_pk_f16_f32 v1, v2, v3
	v_pk_mul_f16 v1, v1, v208
	v_add_u32_e32 v2, v178, v252
	ds_write_b32 v2, v1 offset:3328
.LBB14_31:                              ;   in Loop: Header=BB14_11 Depth=1
	;; [unrolled: 27-line block ×7, first 2 shown]
	s_or_b64 exec, exec, s[2:3]
	v_add_u32_e32 v194, v47, v206
	v_cmp_gt_i32_e64 s[2:3], s48, v194
	v_cmp_le_i32_e32 vcc, s48, v194
	s_nop 0
	v_writelane_b32 v255, s2, 26
	s_nop 1
	v_writelane_b32 v255, s3, 27
	s_and_saveexec_b64 s[2:3], vcc
	s_xor_b64 s[2:3], exec, s[2:3]
; %bb.52:                               ;   in Loop: Header=BB14_11 Depth=1
	ds_write_b32 v197, v41 offset:128
; %bb.53:                               ;   in Loop: Header=BB14_11 Depth=1
	s_andn2_saveexec_b64 s[2:3], s[2:3]
	s_cbranch_execz .LBB14_55
; %bb.54:                               ;   in Loop: Header=BB14_11 Depth=1
	v_mul_lo_u32 v2, v194, s86
	v_ashrrev_i32_e32 v3, 31, v2
	v_lshl_add_u64 v[2:3], v[2:3], 0, v[36:37]
	v_lshl_add_u64 v[2:3], v[2:3], 3, v[96:97]
	global_load_dwordx2 v[2:3], v[2:3], off offset:256
	s_waitcnt vmcnt(0)
	v_cvt_pk_f16_f32 v1, v2, v3
	v_pk_mul_f16 v1, v1, v208
	v_add_u32_e32 v2, v195, v189
	ds_write_b32 v2, v1 offset:128
.LBB14_55:                              ;   in Loop: Header=BB14_11 Depth=1
	s_or_b64 exec, exec, s[2:3]
	v_add_u32_e32 v181, v172, v206
	v_cmp_gt_i32_e64 s[2:3], s48, v181
	v_cmp_le_i32_e32 vcc, s48, v181
	s_nop 0
	v_writelane_b32 v255, s2, 28
	s_nop 1
	v_writelane_b32 v255, s3, 29
	s_and_saveexec_b64 s[2:3], vcc
	s_xor_b64 s[2:3], exec, s[2:3]
; %bb.56:                               ;   in Loop: Header=BB14_11 Depth=1
	v_add_u32_e32 v1, 0xd00, v197
	ds_write_b32 v1, v41 offset:128
; %bb.57:                               ;   in Loop: Header=BB14_11 Depth=1
	s_andn2_saveexec_b64 s[2:3], s[2:3]
	s_cbranch_execz .LBB14_59
; %bb.58:                               ;   in Loop: Header=BB14_11 Depth=1
	v_mul_lo_u32 v2, v181, s86
	v_ashrrev_i32_e32 v3, 31, v2
	v_lshl_add_u64 v[2:3], v[2:3], 0, v[36:37]
	v_lshl_add_u64 v[2:3], v[2:3], 3, v[96:97]
	global_load_dwordx2 v[2:3], v[2:3], off offset:256
	s_waitcnt vmcnt(0)
	v_cvt_pk_f16_f32 v1, v2, v3
	v_pk_mul_f16 v1, v1, v208
	v_add_u32_e32 v2, v195, v189
	ds_write_b32 v2, v1 offset:3456
.LBB14_59:                              ;   in Loop: Header=BB14_11 Depth=1
	s_or_b64 exec, exec, s[2:3]
	v_add_u32_e32 v176, v173, v206
	v_cmp_gt_i32_e64 s[2:3], s48, v176
	v_cmp_le_i32_e32 vcc, s48, v176
	s_nop 0
	v_writelane_b32 v255, s2, 30
	s_nop 1
	v_writelane_b32 v255, s3, 31
	s_and_saveexec_b64 s[2:3], vcc
	s_xor_b64 s[2:3], exec, s[2:3]
; %bb.60:                               ;   in Loop: Header=BB14_11 Depth=1
	v_add_u32_e32 v1, 0x1a00, v197
	;; [unrolled: 28-line block ×3, first 2 shown]
	ds_write_b32 v1, v41 offset:128
; %bb.65:                               ;   in Loop: Header=BB14_11 Depth=1
	s_andn2_saveexec_b64 s[2:3], s[2:3]
	s_cbranch_execz .LBB14_67
; %bb.66:                               ;   in Loop: Header=BB14_11 Depth=1
	v_mul_lo_u32 v2, v200, s86
	v_ashrrev_i32_e32 v3, 31, v2
	v_lshl_add_u64 v[2:3], v[2:3], 0, v[36:37]
	v_lshl_add_u64 v[2:3], v[2:3], 3, v[96:97]
	global_load_dwordx2 v[2:3], v[2:3], off offset:256
	s_waitcnt vmcnt(0)
	v_cvt_pk_f16_f32 v1, v2, v3
	v_pk_mul_f16 v1, v1, v208
	v_add_u32_e32 v2, v195, v189
	ds_write_b32 v2, v1 offset:10112
.LBB14_67:                              ;   in Loop: Header=BB14_11 Depth=1
	s_or_b64 exec, exec, s[2:3]
	s_waitcnt lgkmcnt(0)
	s_barrier
	ds_read2_b64 v[10:13], v49 offset1:4
	ds_read2_b64 v[6:9], v49 offset0:8 offset1:12
	ds_read2_b64 v[2:5], v49 offset0:16 offset1:20
	s_add_i32 s60, s58, -1
	s_cmp_ge_i32 s66, s60
	s_waitcnt lgkmcnt(0)
	s_barrier
	s_cbranch_scc1 .LBB14_84
; %bb.68:                               ;   in Loop: Header=BB14_11 Depth=1
	v_add_u32_e32 v1, v206, v144
	v_mul_hi_u32 v14, s42, v1
	v_add_u32_e32 v14, v1, v14
	v_lshrrev_b32_e32 v14, s43, v14
	v_mul_lo_u32 v14, v14, s48
	v_sub_u32_e32 v1, v1, v14
	v_mad_i64_i32 v[100:101], s[2:3], v1, s84, 0
	v_add_u32_e32 v1, v206, v209
	v_mul_hi_u32 v14, s42, v1
	v_add_u32_e32 v14, v1, v14
	v_lshrrev_b32_e32 v14, s43, v14
	v_mul_lo_u32 v14, v14, s48
	v_sub_u32_e32 v1, v1, v14
	v_mad_i64_i32 v[102:103], s[2:3], v1, s84, 0
	v_add_u32_e32 v1, v206, v211
	v_mul_hi_u32 v14, s42, v1
	v_add_u32_e32 v14, v1, v14
	v_lshrrev_b32_e32 v14, s43, v14
	v_mul_lo_u32 v14, v14, s48
	v_sub_u32_e32 v1, v1, v14
	v_mad_i64_i32 v[104:105], s[2:3], v1, s84, 0
	v_add_u32_e32 v1, v206, v213
	v_mul_hi_u32 v14, s42, v1
	v_add_u32_e32 v14, v1, v14
	v_lshrrev_b32_e32 v14, s43, v14
	v_mul_lo_u32 v14, v14, s48
	v_sub_u32_e32 v1, v1, v14
	v_mad_i64_i32 v[106:107], s[2:3], v1, s84, 0
	v_add_u32_e32 v1, v206, v215
	v_mul_hi_u32 v14, s42, v1
	v_add_u32_e32 v14, v1, v14
	v_lshrrev_b32_e32 v14, s43, v14
	v_mul_lo_u32 v14, v14, s48
	v_sub_u32_e32 v1, v1, v14
	v_mad_i64_i32 v[108:109], s[2:3], v1, s84, 0
	v_add_u32_e32 v1, v206, v217
	v_mul_hi_u32 v14, s42, v1
	v_add_u32_e32 v14, v1, v14
	v_lshrrev_b32_e32 v14, s43, v14
	v_mul_lo_u32 v14, v14, s48
	v_sub_u32_e32 v1, v1, v14
	v_mad_i64_i32 v[110:111], s[2:3], v1, s84, 0
	v_add_u32_e32 v1, v206, v219
	v_mul_hi_u32 v14, s42, v1
	v_add_u32_e32 v14, v1, v14
	v_lshrrev_b32_e32 v14, s43, v14
	v_mul_lo_u32 v14, v14, s48
	v_sub_u32_e32 v1, v1, v14
	v_mad_i64_i32 v[112:113], s[2:3], v1, s84, 0
	v_add_u32_e32 v1, v206, v221
	v_mul_hi_u32 v14, s42, v1
	v_add_u32_e32 v14, v1, v14
	v_lshrrev_b32_e32 v14, s43, v14
	v_mul_lo_u32 v14, v14, s48
	v_sub_u32_e32 v1, v1, v14
	v_mad_i64_i32 v[114:115], s[2:3], v1, s84, 0
	v_add_u32_e32 v1, v206, v223
	v_mul_hi_u32 v14, s42, v1
	v_add_u32_e32 v14, v1, v14
	v_lshrrev_b32_e32 v14, s43, v14
	v_mul_lo_u32 v14, v14, s48
	v_sub_u32_e32 v1, v1, v14
	v_mad_i64_i32 v[116:117], s[2:3], v1, s84, 0
	v_add_u32_e32 v1, v206, v225
	v_mul_hi_u32 v14, s42, v1
	v_add_u32_e32 v14, v1, v14
	v_lshrrev_b32_e32 v14, s43, v14
	v_mul_lo_u32 v14, v14, s48
	v_sub_u32_e32 v1, v1, v14
	v_mad_i64_i32 v[118:119], s[2:3], v1, s84, 0
	v_add_u32_e32 v1, v206, v227
	v_mul_hi_u32 v14, s42, v1
	v_add_u32_e32 v14, v1, v14
	v_lshrrev_b32_e32 v14, s43, v14
	v_mul_lo_u32 v14, v14, s48
	v_sub_u32_e32 v1, v1, v14
	v_mad_i64_i32 v[120:121], s[2:3], v1, s84, 0
	v_add_u32_e32 v1, v206, v229
	v_mul_hi_u32 v14, s42, v1
	v_add_u32_e32 v14, v1, v14
	v_lshrrev_b32_e32 v14, s43, v14
	v_mul_lo_u32 v14, v14, s48
	v_sub_u32_e32 v1, v1, v14
	v_mad_i64_i32 v[122:123], s[2:3], v1, s84, 0
	v_add_u32_e32 v1, v206, v231
	v_mul_hi_u32 v14, s42, v1
	v_add_u32_e32 v14, v1, v14
	v_lshrrev_b32_e32 v14, s43, v14
	v_mul_lo_u32 v14, v14, s48
	v_sub_u32_e32 v1, v1, v14
	v_mad_i64_i32 v[124:125], s[2:3], v1, s84, 0
	v_add_u32_e32 v1, v206, v233
	v_mul_hi_u32 v14, s42, v1
	v_add_u32_e32 v14, v1, v14
	v_lshrrev_b32_e32 v14, s43, v14
	v_mul_lo_u32 v14, v14, s48
	v_sub_u32_e32 v1, v1, v14
	v_mad_i64_i32 v[126:127], s[2:3], v1, s84, 0
	v_add_u32_e32 v1, v206, v235
	v_mul_hi_u32 v14, s42, v1
	v_add_u32_e32 v14, v1, v14
	v_lshrrev_b32_e32 v14, s43, v14
	v_mul_lo_u32 v14, v14, s48
	v_sub_u32_e32 v1, v1, v14
	v_mad_i64_i32 v[128:129], s[2:3], v1, s84, 0
	v_add_u32_e32 v1, v206, v237
	v_mul_hi_u32 v14, s42, v1
	v_add_u32_e32 v14, v1, v14
	v_lshrrev_b32_e32 v14, s43, v14
	v_mul_lo_u32 v14, v14, s48
	v_sub_u32_e32 v1, v1, v14
	v_mad_i64_i32 v[130:131], s[2:3], v1, s84, 0
	v_and_b32_e32 v1, 64, v143
	v_add_u32_e32 v1, 64, v1
	v_xor_b32_e32 v14, 32, v143
	v_cmp_lt_i32_e32 vcc, v14, v1
	v_lshlrev_b32_e32 v40, 1, v38
	v_cmp_ne_u64_e64 s[62:63], 0, v[86:87]
	v_cndmask_b32_e32 v14, v143, v14, vcc
	v_lshlrev_b32_e32 v198, 2, v14
	v_xor_b32_e32 v14, 16, v143
	v_cmp_lt_i32_e32 vcc, v14, v1
	v_lshl_add_u64 v[98:99], v[86:87], 0, v[40:41]
	v_mov_b32_e32 v132, v82
	v_cndmask_b32_e32 v1, v143, v14, vcc
	v_lshlrev_b32_e32 v192, 2, v1
	v_mov_b32_e32 v133, v82
	s_lshl_b32 s2, s66, 6
	v_mov_b32_e32 v62, 0
	v_mov_b32_e32 v70, 0xfeffffff
	v_mov_b32_e32 v69, 0
	v_mov_b32_e32 v63, 0
	v_mov_b32_e32 v141, 0
	v_mov_b32_e32 v140, 0
	v_mov_b32_e32 v180, 0
	v_mov_b32_e32 v142, 0
	v_mov_b32_e32 v66, 0
	v_mov_b32_e32 v204, 0
	v_mov_b32_e32 v139, 0
	v_mov_b32_e32 v138, 0
	v_mov_b32_e32 v137, 0
	v_mov_b32_e32 v136, 0
.LBB14_69:                              ;   Parent Loop BB14_11 Depth=1
                                        ; =>  This Inner Loop Header: Depth=2
	v_cndmask_b32_e64 v1, 0, 1, s[62:63]
	v_cmp_ne_u32_e64 s[64:65], 1, v1
	s_andn2_b64 vcc, exec, s[62:63]
	s_ashr_i32 s3, s2, 31
	s_cbranch_vccnz .LBB14_79
; %bb.70:                               ;   in Loop: Header=BB14_69 Depth=2
	s_and_saveexec_b64 s[40:41], s[98:99]
	s_xor_b64 s[40:41], exec, s[40:41]
	s_cbranch_execz .LBB14_72
; %bb.71:                               ;   in Loop: Header=BB14_69 Depth=2
	ds_write_b16 v145, v41 offset:13312
	ds_write_b16 v210, v41 offset:13312
	;; [unrolled: 1-line block ×4, first 2 shown]
.LBB14_72:                              ;   in Loop: Header=BB14_69 Depth=2
	s_or_saveexec_b64 s[40:41], s[40:41]
	v_lshl_add_u64 v[14:15], s[2:3], 1, v[98:99]
	v_mov_b32_e32 v1, 0
	v_mov_b32_e32 v16, 0
	;; [unrolled: 1-line block ×4, first 2 shown]
	s_xor_b64 exec, exec, s[40:41]
	s_cbranch_execz .LBB14_74
; %bb.73:                               ;   in Loop: Header=BB14_69 Depth=2
	v_lshl_add_u64 v[16:17], v[100:101], 1, v[14:15]
	global_load_ushort v1, v[16:17], off
	v_lshl_add_u64 v[16:17], v[102:103], 1, v[14:15]
	global_load_ushort v18, v[16:17], off
	;; [unrolled: 2-line block ×4, first 2 shown]
	s_waitcnt vmcnt(3)
	ds_write_b16 v145, v1 offset:13312
	s_waitcnt vmcnt(2)
	ds_write_b16 v210, v18 offset:13312
	;; [unrolled: 2-line block ×4, first 2 shown]
	v_lshl_add_u64 v[16:17], v[108:109], 1, v[14:15]
	global_load_ushort v1, v[16:17], off
	v_lshl_add_u64 v[16:17], v[110:111], 1, v[14:15]
	v_lshl_add_u64 v[18:19], v[112:113], 1, v[14:15]
	global_load_ushort v16, v[16:17], off
	s_nop 0
	global_load_ushort v17, v[18:19], off
	v_lshl_add_u64 v[18:19], v[114:115], 1, v[14:15]
	global_load_ushort v18, v[18:19], off
.LBB14_74:                              ;   in Loop: Header=BB14_69 Depth=2
	s_or_b64 exec, exec, s[40:41]
	s_waitcnt vmcnt(3)
	ds_write_b16 v216, v1 offset:13312
	s_waitcnt vmcnt(2)
	ds_write_b16 v218, v16 offset:13312
	;; [unrolled: 2-line block ×4, first 2 shown]
	s_and_saveexec_b64 s[40:41], s[98:99]
	s_xor_b64 s[40:41], exec, s[40:41]
	s_cbranch_execz .LBB14_76
; %bb.75:                               ;   in Loop: Header=BB14_69 Depth=2
	ds_write_b16 v224, v41 offset:13312
	ds_write_b16 v226, v41 offset:13312
	;; [unrolled: 1-line block ×4, first 2 shown]
                                        ; implicit-def: $vgpr14_vgpr15
.LBB14_76:                              ;   in Loop: Header=BB14_69 Depth=2
	s_or_saveexec_b64 s[40:41], s[40:41]
	v_mov_b32_e32 v1, 0
	v_mov_b32_e32 v16, 0
	;; [unrolled: 1-line block ×4, first 2 shown]
	s_xor_b64 exec, exec, s[40:41]
	s_cbranch_execz .LBB14_78
; %bb.77:                               ;   in Loop: Header=BB14_69 Depth=2
	v_lshl_add_u64 v[16:17], v[116:117], 1, v[14:15]
	global_load_ushort v1, v[16:17], off
	v_lshl_add_u64 v[16:17], v[118:119], 1, v[14:15]
	global_load_ushort v18, v[16:17], off
	;; [unrolled: 2-line block ×4, first 2 shown]
	s_waitcnt vmcnt(3)
	ds_write_b16 v224, v1 offset:13312
	s_waitcnt vmcnt(2)
	ds_write_b16 v226, v18 offset:13312
	;; [unrolled: 2-line block ×4, first 2 shown]
	v_lshl_add_u64 v[16:17], v[124:125], 1, v[14:15]
	global_load_ushort v1, v[16:17], off
	v_lshl_add_u64 v[16:17], v[126:127], 1, v[14:15]
	v_lshl_add_u64 v[18:19], v[128:129], 1, v[14:15]
	;; [unrolled: 1-line block ×3, first 2 shown]
	global_load_ushort v16, v[16:17], off
	s_nop 0
	global_load_ushort v17, v[18:19], off
	s_nop 0
	global_load_ushort v18, v[14:15], off
.LBB14_78:                              ;   in Loop: Header=BB14_69 Depth=2
	s_or_b64 exec, exec, s[40:41]
	s_waitcnt vmcnt(3)
	ds_write_b16 v232, v1 offset:13312
	s_waitcnt vmcnt(2)
	ds_write_b16 v234, v16 offset:13312
	;; [unrolled: 2-line block ×4, first 2 shown]
.LBB14_79:                              ;   in Loop: Header=BB14_69 Depth=2
	s_mul_hi_i32 s41, s2, s56
	s_mul_i32 s40, s2, s56
	s_lshl_b64 s[40:41], s[40:41], 2
	v_lshl_add_u64 v[14:15], v[84:85], 0, s[40:41]
	v_lshl_add_u64 v[16:17], v[44:45], 2, v[14:15]
	v_lshlrev_b32_e32 v40, 2, v46
	v_lshl_add_u64 v[16:17], v[16:17], 0, v[40:41]
	v_lshl_add_u64 v[16:17], v[16:17], 0, s[52:53]
	v_mov_b32_e32 v1, s37
	v_lshl_add_u64 v[18:19], v[50:51], 2, v[14:15]
	v_lshlrev_b32_e32 v134, 2, v48
	v_mov_b32_e32 v135, v41
	v_lshl_add_u64 v[14:15], v[52:53], 2, v[14:15]
	v_cndmask_b32_e64 v17, v1, v17, s[4:5]
	v_cndmask_b32_e64 v16, v185, v16, s[4:5]
	v_lshl_add_u64 v[14:15], v[14:15], 0, v[134:135]
	scratch_store_dwordx4 off, v[72:75], off
	v_cndmask_b32_e64 v21, v1, v15, s[8:9]
	v_cndmask_b32_e64 v20, v185, v14, s[8:9]
	flat_load_dwordx4 v[14:17], v[16:17]
	v_lshl_add_u64 v[18:19], v[18:19], 0, v[134:135]
	v_cndmask_b32_e64 v19, v1, v19, s[6:7]
	v_cndmask_b32_e64 v18, v185, v18, s[6:7]
	v_add_u32_e32 v1, 0x800, v150
	s_and_b64 vcc, exec, s[64:65]
	s_waitcnt vmcnt(0) lgkmcnt(0)
	ds_write_b128 v147, v[14:17]
	flat_load_dwordx4 v[14:17], v[18:19]
	s_waitcnt vmcnt(0) lgkmcnt(0)
	ds_write_b128 v149, v[14:17]
	flat_load_dwordx4 v[14:17], v[20:21]
	s_waitcnt vmcnt(0) lgkmcnt(0)
	ds_write_b128 v240, v[14:17]
	s_waitcnt lgkmcnt(0)
	s_barrier
	ds_read2_b64 v[14:17], v150 offset1:4
	s_waitcnt lgkmcnt(0)
	v_mfma_f32_16x16x16_f16 v[18:21], v[14:15], v[10:11], 0
	v_mfma_f32_16x16x16_f16 v[14:17], v[16:17], v[12:13], v[18:21]
	s_nop 6
	ds_read2_b64 v[18:21], v150 offset0:8 offset1:12
	s_waitcnt lgkmcnt(0)
	v_mfma_f32_16x16x16_f16 v[14:17], v[18:19], v[6:7], v[14:17]
	v_mfma_f32_16x16x16_f16 v[14:17], v[20:21], v[8:9], v[14:17]
	ds_read2_b64 v[18:21], v150 offset0:16 offset1:20
	s_waitcnt lgkmcnt(0)
	v_mfma_f32_16x16x16_f16 v[14:17], v[18:19], v[2:3], v[14:17]
	v_mfma_f32_16x16x16_f16 v[26:29], v[20:21], v[4:5], v[14:17]
	s_nop 6
	ds_read2_b64 v[14:17], v1 offset0:160 offset1:164
	s_waitcnt lgkmcnt(0)
	v_mfma_f32_16x16x16_f16 v[18:21], v[14:15], v[10:11], 0
	v_mfma_f32_16x16x16_f16 v[14:17], v[16:17], v[12:13], v[18:21]
	s_nop 6
	ds_read2_b64 v[18:21], v1 offset0:168 offset1:172
	s_waitcnt lgkmcnt(0)
	v_mfma_f32_16x16x16_f16 v[14:17], v[18:19], v[6:7], v[14:17]
	v_mfma_f32_16x16x16_f16 v[14:17], v[20:21], v[8:9], v[14:17]
	ds_read2_b64 v[18:21], v1 offset0:176 offset1:180
	v_add_u32_e32 v1, 0x1800, v150
	s_waitcnt lgkmcnt(0)
	v_mfma_f32_16x16x16_f16 v[14:17], v[18:19], v[2:3], v[14:17]
	v_mfma_f32_16x16x16_f16 v[16:19], v[20:21], v[4:5], v[14:17]
	ds_read2_b64 v[20:23], v1 offset0:64 offset1:68
	s_waitcnt lgkmcnt(0)
	v_mfma_f32_16x16x16_f16 v[30:33], v[20:21], v[10:11], 0
	v_mfma_f32_16x16x16_f16 v[20:23], v[22:23], v[12:13], v[30:33]
	s_nop 6
	ds_read2_b64 v[30:33], v1 offset0:72 offset1:76
	s_waitcnt lgkmcnt(0)
	v_mfma_f32_16x16x16_f16 v[20:23], v[30:31], v[6:7], v[20:23]
	v_mfma_f32_16x16x16_f16 v[20:23], v[32:33], v[8:9], v[20:23]
	ds_read2_b64 v[30:33], v1 offset0:80 offset1:84
	v_add_u32_e32 v1, 0x2000, v150
	s_waitcnt lgkmcnt(0)
	v_mfma_f32_16x16x16_f16 v[20:23], v[30:31], v[2:3], v[20:23]
	v_mfma_f32_16x16x16_f16 v[22:25], v[32:33], v[4:5], v[20:23]
	ds_read2_b64 v[30:33], v1 offset0:224 offset1:228
	s_waitcnt lgkmcnt(0)
	v_mfma_f32_16x16x16_f16 v[242:245], v[30:31], v[10:11], 0
	v_mfma_f32_16x16x16_f16 v[30:33], v[32:33], v[12:13], v[242:245]
	s_nop 6
	ds_read2_b64 v[242:245], v1 offset0:232 offset1:236
	s_waitcnt lgkmcnt(0)
	v_mfma_f32_16x16x16_f16 v[30:33], v[242:243], v[6:7], v[30:33]
	v_mfma_f32_16x16x16_f16 v[30:33], v[244:245], v[8:9], v[30:33]
	ds_read2_b64 v[242:245], v1 offset0:240 offset1:244
	s_waitcnt lgkmcnt(0)
	s_barrier
	v_mfma_f32_16x16x16_f16 v[30:33], v[242:243], v[2:3], v[30:33]
	v_mfma_f32_16x16x16_f16 v[30:33], v[244:245], v[4:5], v[30:33]
	s_cbranch_vccnz .LBB14_81
; %bb.80:                               ;   in Loop: Header=BB14_69 Depth=2
	ds_read_b32 v1, v152 offset:13312
	v_mov_b32_e32 v83, v82
	s_waitcnt lgkmcnt(0)
	v_cvt_f32_f16_sdwa v15, v1 dst_sel:DWORD dst_unused:UNUSED_PAD src0_sel:WORD_1
	v_cvt_f32_f16_e32 v14, v1
	ds_read_b32 v1, v153 offset:13312
	v_pk_fma_f32 v[26:27], v[132:133], v[14:15], v[26:27]
	s_waitcnt lgkmcnt(0)
	v_cvt_f32_f16_sdwa v21, v1 dst_sel:DWORD dst_unused:UNUSED_PAD src0_sel:WORD_1
	v_cvt_f32_f16_e32 v20, v1
	v_add_u32_e32 v1, 0x3400, v155
	ds_read2_b32 v[14:15], v1 offset1:1
	v_add_u32_e32 v1, 0x3400, v157
	v_pk_fma_f32 v[28:29], v[82:83], v[20:21], v[28:29]
	s_waitcnt lgkmcnt(0)
	v_cvt_f32_f16_e32 v20, v14
	v_cvt_f32_f16_sdwa v21, v14 dst_sel:DWORD dst_unused:UNUSED_PAD src0_sel:WORD_1
	v_cvt_f32_f16_e32 v14, v15
	v_cvt_f32_f16_sdwa v15, v15 dst_sel:DWORD dst_unused:UNUSED_PAD src0_sel:WORD_1
	v_pk_fma_f32 v[16:17], v[132:133], v[20:21], v[16:17]
	v_pk_fma_f32 v[18:19], v[82:83], v[14:15], v[18:19]
	ds_read2_b32 v[14:15], v1 offset1:1
	v_add_u32_e32 v1, 0x3400, v159
	s_waitcnt lgkmcnt(0)
	v_cvt_f32_f16_e32 v20, v14
	v_cvt_f32_f16_sdwa v21, v14 dst_sel:DWORD dst_unused:UNUSED_PAD src0_sel:WORD_1
	v_cvt_f32_f16_e32 v14, v15
	v_cvt_f32_f16_sdwa v15, v15 dst_sel:DWORD dst_unused:UNUSED_PAD src0_sel:WORD_1
	v_pk_fma_f32 v[22:23], v[132:133], v[20:21], v[22:23]
	v_pk_fma_f32 v[24:25], v[82:83], v[14:15], v[24:25]
	ds_read2_b32 v[14:15], v1 offset1:1
	s_waitcnt lgkmcnt(0)
	v_cvt_f32_f16_e32 v20, v14
	v_cvt_f32_f16_sdwa v21, v14 dst_sel:DWORD dst_unused:UNUSED_PAD src0_sel:WORD_1
	v_cvt_f32_f16_e32 v14, v15
	v_cvt_f32_f16_sdwa v15, v15 dst_sel:DWORD dst_unused:UNUSED_PAD src0_sel:WORD_1
	v_pk_fma_f32 v[30:31], v[132:133], v[20:21], v[30:31]
	v_pk_fma_f32 v[32:33], v[82:83], v[14:15], v[32:33]
.LBB14_81:                              ;   in Loop: Header=BB14_69 Depth=2
	v_add_f32_e32 v1, 0x40051340, v26
	v_max_f32_e32 v14, v70, v70
	v_max_f32_e32 v1, v14, v1
	v_cndmask_b32_e64 v1, v70, v1, s[10:11]
	v_add_f32_e32 v14, 0x40051340, v27
	v_max_f32_e32 v1, v1, v1
	v_max_f32_e32 v1, v1, v14
	v_cndmask_b32_e64 v1, v70, v1, s[10:11]
	;; [unrolled: 4-line block ×16, first 2 shown]
	ds_bpermute_b32 v14, v198, v1
	v_max_f32_e32 v1, v1, v1
	s_mul_hi_i32 s41, s2, s50
	s_mul_i32 s40, s2, s50
	s_lshl_b64 s[40:41], s[40:41], 2
	s_waitcnt lgkmcnt(0)
	v_max_f32_e32 v14, v14, v14
	v_max_f32_e32 v1, v1, v14
	ds_bpermute_b32 v14, v192, v1
	scratch_store_dwordx4 off, v[72:75], off
	s_add_i32 s66, s66, 1
	s_add_i32 s2, s2, 64
	s_cmp_lt_i32 s66, s60
	s_waitcnt lgkmcnt(0)
	v_max_f32_e32 v14, v14, v14
	v_max_f32_e32 v83, v1, v14
	v_sub_f32_e32 v1, v26, v83
	v_mul_f32_e32 v14, 0x3fb8aa3b, v1
	v_fma_f32 v15, v1, s36, -v14
	v_rndne_f32_e32 v20, v14
	v_fmac_f32_e32 v15, 0x32a5705f, v1
	v_sub_f32_e32 v14, v14, v20
	v_add_f32_e32 v14, v14, v15
	v_exp_f32_e32 v14, v14
	v_cvt_i32_f32_e32 v15, v20
	v_cmp_ngt_f32_e32 vcc, s33, v1
	v_sub_f32_e32 v16, v16, v83
	v_sub_f32_e32 v18, v18, v83
	v_ldexp_f32 v14, v14, v15
	v_sub_f32_e32 v15, v27, v83
	v_mul_f32_e32 v20, 0x3fb8aa3b, v15
	v_fma_f32 v21, v15, s36, -v20
	v_rndne_f32_e32 v26, v20
	v_fmac_f32_e32 v21, 0x32a5705f, v15
	v_sub_f32_e32 v20, v20, v26
	v_add_f32_e32 v20, v20, v21
	v_exp_f32_e32 v20, v20
	v_cvt_i32_f32_e32 v21, v26
	v_cndmask_b32_e32 v14, 0, v14, vcc
	v_cmp_nlt_f32_e32 vcc, s49, v1
	v_ldexp_f32 v20, v20, v21
	s_nop 0
	v_cndmask_b32_e32 v1, v186, v14, vcc
	v_cmp_ngt_f32_e32 vcc, s33, v15
	v_cndmask_b32_e64 v14, 0, v1, s[10:11]
	s_nop 0
	v_cndmask_b32_e32 v20, 0, v20, vcc
	v_cmp_nlt_f32_e32 vcc, s49, v15
	s_nop 1
	v_cndmask_b32_e32 v15, v186, v20, vcc
	v_add_f32_e32 v20, v1, v15
	v_mov_b32_e32 v1, s61
	v_cndmask_b32_e64 v1, v1, v15, s[10:11]
	v_sub_f32_e32 v15, v28, v83
	v_mul_f32_e32 v21, 0x3fb8aa3b, v15
	v_fma_f32 v26, v15, s36, -v21
	v_rndne_f32_e32 v27, v21
	v_fmac_f32_e32 v26, 0x32a5705f, v15
	v_sub_f32_e32 v21, v21, v27
	v_add_f32_e32 v21, v21, v26
	v_exp_f32_e32 v21, v21
	v_cvt_i32_f32_e32 v26, v27
	v_cmp_ngt_f32_e32 vcc, s33, v15
	v_ldexp_f32 v21, v21, v26
	s_nop 0
	v_cndmask_b32_e32 v21, 0, v21, vcc
	v_cmp_nlt_f32_e32 vcc, s49, v15
	s_nop 1
	v_cndmask_b32_e32 v15, v186, v21, vcc
	v_add_f32_e32 v21, v20, v15
	v_mov_b32_e32 v20, s61
	v_cndmask_b32_e64 v20, v20, v15, s[10:11]
	v_sub_f32_e32 v15, v29, v83
	v_mul_f32_e32 v26, 0x3fb8aa3b, v15
	v_fma_f32 v27, v15, s36, -v26
	v_rndne_f32_e32 v28, v26
	v_fmac_f32_e32 v27, 0x32a5705f, v15
	v_sub_f32_e32 v26, v26, v28
	v_add_f32_e32 v26, v26, v27
	v_exp_f32_e32 v26, v26
	v_cvt_i32_f32_e32 v27, v28
	v_cmp_ngt_f32_e32 vcc, s33, v15
	v_ldexp_f32 v26, v26, v27
	s_nop 0
	v_cndmask_b32_e32 v26, 0, v26, vcc
	v_cmp_nlt_f32_e32 vcc, s49, v15
	v_mov_b32_e32 v15, s61
	s_nop 0
	v_cndmask_b32_e32 v26, v186, v26, vcc
	v_add_f32_e32 v21, v21, v26
	v_cndmask_b32_e64 v67, v15, v26, s[10:11]
	v_cndmask_b32_e64 v15, 0, v21, s[10:11]
	v_mul_f32_e32 v21, 0x3fb8aa3b, v16
	v_fma_f32 v26, v16, s36, -v21
	v_rndne_f32_e32 v27, v21
	v_fmac_f32_e32 v26, 0x32a5705f, v16
	v_sub_f32_e32 v21, v21, v27
	v_add_f32_e32 v21, v21, v26
	v_exp_f32_e32 v21, v21
	v_cvt_i32_f32_e32 v26, v27
	v_cmp_ngt_f32_e32 vcc, s33, v16
	v_ldexp_f32 v21, v21, v26
	s_nop 0
	v_cndmask_b32_e32 v21, 0, v21, vcc
	v_cmp_nlt_f32_e32 vcc, s49, v16
	v_mov_b32_e32 v16, s61
	s_nop 0
	v_cndmask_b32_e32 v21, v186, v21, vcc
	v_add_f32_e32 v26, v21, v15
	v_cndmask_b32_e64 v16, v16, v21, s[12:13]
	v_cndmask_b32_e64 v21, v15, v26, s[12:13]
	v_sub_f32_e32 v15, v17, v83
	v_mul_f32_e32 v17, 0x3fb8aa3b, v15
	v_fma_f32 v26, v15, s36, -v17
	v_rndne_f32_e32 v27, v17
	v_fmac_f32_e32 v26, 0x32a5705f, v15
	v_sub_f32_e32 v17, v17, v27
	v_add_f32_e32 v17, v17, v26
	v_exp_f32_e32 v17, v17
	v_cvt_i32_f32_e32 v26, v27
	v_cmp_ngt_f32_e32 vcc, s33, v15
	v_ldexp_f32 v17, v17, v26
	s_nop 0
	v_cndmask_b32_e32 v17, 0, v17, vcc
	v_cmp_nlt_f32_e32 vcc, s49, v15
	v_mov_b32_e32 v15, s61
	s_nop 0
	v_cndmask_b32_e32 v17, v186, v17, vcc
	v_add_f32_e32 v26, v17, v21
	v_cndmask_b32_e64 v15, v15, v17, s[14:15]
	v_cndmask_b32_e64 v17, v21, v26, s[14:15]
	v_mul_f32_e32 v21, 0x3fb8aa3b, v18
	v_fma_f32 v26, v18, s36, -v21
	v_rndne_f32_e32 v27, v21
	v_fmac_f32_e32 v26, 0x32a5705f, v18
	v_sub_f32_e32 v21, v21, v27
	v_add_f32_e32 v21, v21, v26
	v_exp_f32_e32 v21, v21
	v_cvt_i32_f32_e32 v26, v27
	v_cmp_ngt_f32_e32 vcc, s33, v18
	v_ldexp_f32 v21, v21, v26
	s_nop 0
	v_cndmask_b32_e32 v21, 0, v21, vcc
	v_cmp_nlt_f32_e32 vcc, s49, v18
	v_mov_b32_e32 v18, s61
	s_nop 0
	v_cndmask_b32_e32 v21, v186, v21, vcc
	v_add_f32_e32 v26, v21, v17
	v_cndmask_b32_e64 v26, v17, v26, s[16:17]
	v_sub_f32_e32 v17, v19, v83
	v_mul_f32_e32 v19, 0x3fb8aa3b, v17
	v_cndmask_b32_e64 v18, v18, v21, s[16:17]
	v_fma_f32 v21, v17, s36, -v19
	v_rndne_f32_e32 v27, v19
	v_fmac_f32_e32 v21, 0x32a5705f, v17
	v_sub_f32_e32 v19, v19, v27
	v_add_f32_e32 v19, v19, v21
	v_exp_f32_e32 v19, v19
	v_cvt_i32_f32_e32 v21, v27
	v_cmp_ngt_f32_e32 vcc, s33, v17
	v_ldexp_f32 v19, v19, v21
	s_nop 0
	v_cndmask_b32_e32 v19, 0, v19, vcc
	v_cmp_nlt_f32_e32 vcc, s49, v17
	v_mov_b32_e32 v17, s61
	s_nop 0
	v_cndmask_b32_e32 v19, v186, v19, vcc
	v_add_f32_e32 v27, v19, v26
	v_cndmask_b32_e64 v21, v17, v19, s[18:19]
	v_sub_f32_e32 v19, v22, v83
	v_mul_f32_e32 v22, 0x3fb8aa3b, v19
	v_cndmask_b32_e64 v17, v26, v27, s[18:19]
	v_fma_f32 v26, v19, s36, -v22
	v_rndne_f32_e32 v27, v22
	v_fmac_f32_e32 v26, 0x32a5705f, v19
	v_sub_f32_e32 v22, v22, v27
	v_add_f32_e32 v22, v22, v26
	v_exp_f32_e32 v22, v22
	v_cvt_i32_f32_e32 v26, v27
	v_cmp_ngt_f32_e32 vcc, s33, v19
	v_ldexp_f32 v22, v22, v26
	s_nop 0
	v_cndmask_b32_e32 v22, 0, v22, vcc
	v_cmp_nlt_f32_e32 vcc, s49, v19
	s_nop 1
	v_cndmask_b32_e32 v19, v186, v22, vcc
	v_add_f32_e32 v26, v19, v17
	v_mov_b32_e32 v22, s61
	v_cndmask_b32_e64 v22, v22, v19, s[20:21]
	v_cndmask_b32_e64 v19, v17, v26, s[20:21]
	v_sub_f32_e32 v17, v23, v83
	v_mul_f32_e32 v23, 0x3fb8aa3b, v17
	v_fma_f32 v26, v17, s36, -v23
	v_rndne_f32_e32 v27, v23
	v_fmac_f32_e32 v26, 0x32a5705f, v17
	v_sub_f32_e32 v23, v23, v27
	v_add_f32_e32 v23, v23, v26
	v_exp_f32_e32 v23, v23
	v_cvt_i32_f32_e32 v26, v27
	v_cmp_ngt_f32_e32 vcc, s33, v17
	v_ldexp_f32 v23, v23, v26
	s_nop 0
	v_cndmask_b32_e32 v23, 0, v23, vcc
	v_cmp_nlt_f32_e32 vcc, s49, v17
	v_mov_b32_e32 v17, s61
	s_nop 0
	v_cndmask_b32_e32 v23, v186, v23, vcc
	v_add_f32_e32 v26, v23, v19
	v_cndmask_b32_e64 v17, v17, v23, s[22:23]
	v_sub_f32_e32 v23, v24, v83
	v_mul_f32_e32 v24, 0x3fb8aa3b, v23
	v_cndmask_b32_e64 v19, v19, v26, s[22:23]
	v_fma_f32 v26, v23, s36, -v24
	v_rndne_f32_e32 v27, v24
	v_fmac_f32_e32 v26, 0x32a5705f, v23
	v_sub_f32_e32 v24, v24, v27
	v_add_f32_e32 v24, v24, v26
	v_exp_f32_e32 v24, v24
	v_cvt_i32_f32_e32 v26, v27
	v_cmp_ngt_f32_e32 vcc, s33, v23
	v_ldexp_f32 v24, v24, v26
	s_nop 0
	v_cndmask_b32_e32 v24, 0, v24, vcc
	v_cmp_nlt_f32_e32 vcc, s49, v23
	s_nop 1
	v_cndmask_b32_e32 v23, v186, v24, vcc
	v_add_f32_e32 v26, v23, v19
	v_mov_b32_e32 v24, s61
	v_cndmask_b32_e64 v24, v24, v23, s[24:25]
	v_cndmask_b32_e64 v23, v19, v26, s[24:25]
	v_sub_f32_e32 v19, v25, v83
	v_mul_f32_e32 v25, 0x3fb8aa3b, v19
	v_fma_f32 v26, v19, s36, -v25
	v_rndne_f32_e32 v27, v25
	v_fmac_f32_e32 v26, 0x32a5705f, v19
	v_sub_f32_e32 v25, v25, v27
	v_add_f32_e32 v25, v25, v26
	v_exp_f32_e32 v25, v25
	v_cvt_i32_f32_e32 v26, v27
	v_cmp_ngt_f32_e32 vcc, s33, v19
	v_ldexp_f32 v25, v25, v26
	s_nop 0
	v_cndmask_b32_e32 v25, 0, v25, vcc
	v_cmp_nlt_f32_e32 vcc, s49, v19
	v_mov_b32_e32 v19, s61
	s_nop 0
	v_cndmask_b32_e32 v25, v186, v25, vcc
	v_add_f32_e32 v26, v25, v23
	v_cndmask_b32_e64 v207, v19, v25, s[26:27]
	v_cndmask_b32_e64 v19, v23, v26, s[26:27]
	v_sub_f32_e32 v23, v30, v83
	v_mul_f32_e32 v25, 0x3fb8aa3b, v23
	v_fma_f32 v26, v23, s36, -v25
	v_rndne_f32_e32 v27, v25
	v_fmac_f32_e32 v26, 0x32a5705f, v23
	v_sub_f32_e32 v25, v25, v27
	v_add_f32_e32 v25, v25, v26
	v_exp_f32_e32 v25, v25
	v_cvt_i32_f32_e32 v26, v27
	v_cmp_ngt_f32_e32 vcc, s33, v23
	v_ldexp_f32 v25, v25, v26
	s_nop 0
	v_cndmask_b32_e32 v25, 0, v25, vcc
	v_cmp_nlt_f32_e32 vcc, s49, v23
	v_mov_b32_e32 v26, s61
	s_nop 0
	v_cndmask_b32_e32 v23, v186, v25, vcc
	v_add_f32_e32 v25, v23, v19
	v_cndmask_b32_e64 v26, v26, v23, s[0:1]
	v_cndmask_b32_e64 v23, v19, v25, s[0:1]
	v_sub_f32_e32 v19, v31, v83
	v_mul_f32_e32 v25, 0x3fb8aa3b, v19
	v_fma_f32 v27, v19, s36, -v25
	v_rndne_f32_e32 v28, v25
	v_fmac_f32_e32 v27, 0x32a5705f, v19
	v_sub_f32_e32 v25, v25, v28
	v_add_f32_e32 v25, v25, v27
	v_exp_f32_e32 v25, v25
	v_cvt_i32_f32_e32 v27, v28
	v_cmp_ngt_f32_e32 vcc, s33, v19
	v_ldexp_f32 v25, v25, v27
	s_nop 0
	v_cndmask_b32_e32 v25, 0, v25, vcc
	v_cmp_nlt_f32_e32 vcc, s49, v19
	v_mov_b32_e32 v19, s61
	s_nop 0
	v_cndmask_b32_e32 v25, v186, v25, vcc
	v_add_f32_e32 v27, v25, v23
	v_cndmask_b32_e64 v19, v19, v25, s[28:29]
	v_sub_f32_e32 v25, v32, v83
	v_cndmask_b32_e64 v23, v23, v27, s[28:29]
	v_mul_f32_e32 v27, 0x3fb8aa3b, v25
	v_fma_f32 v28, v25, s36, -v27
	v_rndne_f32_e32 v29, v27
	v_fmac_f32_e32 v28, 0x32a5705f, v25
	v_sub_f32_e32 v27, v27, v29
	v_add_f32_e32 v27, v27, v28
	v_exp_f32_e32 v27, v27
	v_cvt_i32_f32_e32 v28, v29
	v_cmp_ngt_f32_e32 vcc, s33, v25
	v_ldexp_f32 v27, v27, v28
	s_nop 0
	v_cndmask_b32_e32 v27, 0, v27, vcc
	v_cmp_nlt_f32_e32 vcc, s49, v25
	v_mov_b32_e32 v28, s61
	s_nop 0
	v_cndmask_b32_e32 v25, v186, v27, vcc
	v_add_f32_e32 v27, v25, v23
	v_cndmask_b32_e64 v28, v28, v25, s[30:31]
	v_cndmask_b32_e64 v25, v23, v27, s[30:31]
	v_sub_f32_e32 v23, v33, v83
	v_mul_f32_e32 v27, 0x3fb8aa3b, v23
	v_fma_f32 v29, v23, s36, -v27
	v_rndne_f32_e32 v30, v27
	v_fmac_f32_e32 v29, 0x32a5705f, v23
	v_sub_f32_e32 v27, v27, v30
	v_add_f32_e32 v27, v27, v29
	v_exp_f32_e32 v27, v27
	v_cvt_i32_f32_e32 v29, v30
	v_cmp_ngt_f32_e32 vcc, s33, v23
	v_ldexp_f32 v27, v27, v29
	s_nop 0
	v_cndmask_b32_e32 v27, 0, v27, vcc
	v_cmp_nlt_f32_e32 vcc, s49, v23
	v_mov_b32_e32 v23, s61
	s_nop 0
	v_cndmask_b32_e32 v27, v186, v27, vcc
	v_add_f32_e32 v29, v27, v25
	v_cndmask_b32_e64 v68, v23, v27, s[34:35]
	v_sub_f32_e32 v23, v70, v83
	v_cndmask_b32_e64 v182, v25, v29, s[34:35]
	v_mul_f32_e32 v25, 0x3fb8aa3b, v23
	v_fma_f32 v27, v23, s36, -v25
	v_rndne_f32_e32 v29, v25
	v_fmac_f32_e32 v27, 0x32a5705f, v23
	v_sub_f32_e32 v25, v25, v29
	v_add_f32_e32 v25, v25, v27
	v_exp_f32_e32 v25, v25
	v_cvt_i32_f32_e32 v27, v29
	v_cmp_ngt_f32_e32 vcc, s33, v23
	v_ldexp_f32 v25, v25, v27
	s_nop 0
	v_cndmask_b32_e32 v25, 0, v25, vcc
	v_cmp_nlt_f32_e32 vcc, s49, v23
	s_nop 1
	v_cndmask_b32_e32 v25, v186, v25, vcc
	v_cmp_le_f32_e32 vcc, s93, v23
	s_nop 1
	v_cndmask_b32_e32 v23, 0, v25, vcc
	v_fmac_f32_e32 v182, v69, v23
	v_cvt_f16_f32_e32 v23, v23
	v_mul_u32_u24_e32 v30, 0x10001, v23
	v_pk_mul_f16 v71, v66, v30
	v_pk_mul_f16 v69, v180, v30
	;; [unrolled: 1-line block ×5, first 2 shown]
	v_lshl_add_u64 v[136:137], v[80:81], 0, s[40:41]
	v_pk_mul_f16 v70, v204, v30
	v_pk_mul_f16 v25, v141, v30
	v_pk_mul_f16 v23, v140, v30
	v_pk_mul_f16 v29, v62, v30
	v_pk_mul_f16 v27, v63, v30
	v_pk_mul_f16 v62, v139, v30
	v_pk_mul_f16 v204, v138, v30
	v_lshl_add_u64 v[30:31], v[56:57], 2, v[136:137]
	v_lshl_add_u64 v[30:31], v[30:31], 0, v[40:41]
	;; [unrolled: 1-line block ×3, first 2 shown]
	v_mov_b32_e32 v40, s37
	v_cndmask_b32_e64 v31, v40, v31, s[4:5]
	v_cndmask_b32_e64 v30, v185, v30, s[4:5]
	flat_load_dwordx4 v[30:33], v[30:31]
	v_cvt_pk_f16_f32 v141, v20, v67
	v_cvt_pk_f16_f32 v140, v14, v1
	;; [unrolled: 1-line block ×4, first 2 shown]
	s_waitcnt vmcnt(0) lgkmcnt(0)
	ds_write_b128 v147, v[30:33]
	v_lshl_add_u64 v[30:31], v[58:59], 2, v[136:137]
	v_lshl_add_u64 v[30:31], v[30:31], 0, v[134:135]
	v_cndmask_b32_e64 v31, v40, v31, s[6:7]
	v_cndmask_b32_e64 v30, v185, v30, s[6:7]
	flat_load_dwordx4 v[30:33], v[30:31]
	s_waitcnt vmcnt(0) lgkmcnt(0)
	ds_write_b128 v149, v[30:33]
	v_lshl_add_u64 v[30:31], v[60:61], 2, v[136:137]
	v_lshl_add_u64 v[30:31], v[30:31], 0, v[134:135]
	v_cndmask_b32_e64 v31, v40, v31, s[8:9]
	v_cndmask_b32_e64 v30, v185, v30, s[8:9]
	flat_load_dwordx4 v[30:33], v[30:31]
	v_cvt_pk_f16_f32 v137, v24, v207
	v_cvt_pk_f16_f32 v136, v22, v17
	;; [unrolled: 1-line block ×4, first 2 shown]
	v_cvt_f32_f16_sdwa v19, v69 dst_sel:DWORD dst_unused:UNUSED_PAD src0_sel:WORD_1
	v_cvt_f32_f16_e32 v68, v142
	s_waitcnt vmcnt(0) lgkmcnt(0)
	ds_write_b128 v240, v[30:33]
	s_waitcnt lgkmcnt(0)
	s_barrier
	ds_read_u16 v40, v160 offset:208
	v_cvt_f32_f16_e32 v32, v70
	v_cvt_f32_f16_sdwa v33, v70 dst_sel:DWORD dst_unused:UNUSED_PAD src0_sel:WORD_1
	ds_read_u16 v63, v161
	ds_read_u16 v242, v161 offset:32
	ds_read_u16 v70, v162
	ds_read_u16 v243, v162 offset:32
	v_cvt_f32_f16_e32 v30, v71
	v_cvt_f32_f16_sdwa v31, v71 dst_sel:DWORD dst_unused:UNUSED_PAD src0_sel:WORD_1
	s_waitcnt lgkmcnt(1)
	v_perm_b32 v71, v70, v63, s59
	ds_read_u16 v63, v160
	ds_read_u16 v244, v160 offset:32
	s_waitcnt lgkmcnt(1)
	v_perm_b32 v70, v40, v63, s59
	s_nop 1
	v_mfma_f32_16x16x16_f16 v[30:33], v[70:71], v[140:141], v[30:33]
	ds_read_u16 v40, v160 offset:3328
	ds_read_u16 v63, v160 offset:3536
	;; [unrolled: 1-line block ×4, first 2 shown]
	s_nop 3
	v_cvt_f16_f32_e32 v1, v30
	v_cvt_f16_f32_e32 v14, v31
	;; [unrolled: 1-line block ×4, first 2 shown]
	s_waitcnt lgkmcnt(0)
	v_perm_b32 v71, v70, v67, s59
	v_perm_b32 v70, v63, v40, s59
	v_cvt_f32_f16_e32 v30, v1
	v_cvt_f32_f16_e32 v31, v14
	;; [unrolled: 1-line block ×4, first 2 shown]
	ds_read_u16 v18, v160 offset:6656
	ds_read_u16 v20, v160 offset:6864
	;; [unrolled: 1-line block ×4, first 2 shown]
	v_mfma_f32_16x16x16_f16 v[30:33], v[70:71], v[138:139], v[30:33]
	v_cvt_f32_f16_sdwa v67, v180 dst_sel:DWORD dst_unused:UNUSED_PAD src0_sel:WORD_1
	s_nop 6
	v_cvt_f16_f32_e32 v14, v31
	v_cvt_f16_f32_e32 v15, v32
	;; [unrolled: 1-line block ×4, first 2 shown]
	v_cvt_f32_f16_e32 v31, v14
	v_cvt_f32_f16_e32 v32, v15
	s_waitcnt lgkmcnt(0)
	v_perm_b32 v15, v40, v21, s59
	v_perm_b32 v14, v20, v18, s59
	v_cvt_f32_f16_e32 v30, v1
	v_cvt_f32_f16_e32 v33, v16
	ds_read_u16 v18, v160 offset:9984
	ds_read_u16 v20, v160 offset:10192
	;; [unrolled: 1-line block ×4, first 2 shown]
	v_mfma_f32_16x16x16_f16 v[14:17], v[14:15], v[136:137], v[30:33]
	s_waitcnt lgkmcnt(2)
	v_perm_b32 v20, v20, v18, s59
	s_waitcnt lgkmcnt(0)
	v_perm_b32 v21, v22, v21, s59
	v_perm_b32 v31, v243, v242, s59
	s_nop 2
	v_cvt_f16_f32_e32 v1, v14
	v_cvt_f16_f32_e32 v15, v15
	;; [unrolled: 1-line block ×4, first 2 shown]
	v_cvt_f32_f16_e32 v14, v1
	ds_read_u16 v1, v160 offset:240
	v_cvt_f32_f16_e32 v15, v15
	v_cvt_f32_f16_e32 v16, v16
	;; [unrolled: 1-line block ×4, first 2 shown]
	s_waitcnt lgkmcnt(0)
	v_perm_b32 v30, v1, v244, s59
	v_mfma_f32_16x16x16_f16 v[14:17], v[20:21], v[134:135], v[14:17]
	v_cvt_f32_f16_e32 v20, v66
	v_cvt_f32_f16_sdwa v21, v66 dst_sel:DWORD dst_unused:UNUSED_PAD src0_sel:WORD_1
	ds_read_u16 v22, v160 offset:3360
	ds_read_u16 v24, v160 offset:3568
	;; [unrolled: 1-line block ×4, first 2 shown]
	v_mfma_f32_16x16x16_f16 v[18:21], v[30:31], v[140:141], v[18:21]
	s_waitcnt lgkmcnt(2)
	v_perm_b32 v30, v24, v22, s59
	s_waitcnt lgkmcnt(0)
	v_perm_b32 v31, v28, v26, s59
	ds_read_u16 v22, v160 offset:6688
	ds_read_u16 v24, v160 offset:6896
	;; [unrolled: 1-line block ×4, first 2 shown]
	v_cvt_f16_f32_e32 v1, v18
	v_cvt_f16_f32_e32 v19, v19
	;; [unrolled: 1-line block ×4, first 2 shown]
	v_cvt_f32_f16_e32 v18, v1
	v_cvt_f32_f16_e32 v19, v19
	;; [unrolled: 1-line block ×5, first 2 shown]
	v_cvt_f32_f16_sdwa v33, v23 dst_sel:DWORD dst_unused:UNUSED_PAD src0_sel:WORD_1
	v_mfma_f32_16x16x16_f16 v[18:21], v[30:31], v[138:139], v[18:21]
	s_waitcnt lgkmcnt(0)
	v_perm_b32 v31, v28, v26, s59
	v_perm_b32 v30, v24, v22, s59
	ds_read_u16 v22, v160 offset:10016
	ds_read_u16 v24, v160 offset:10224
	;; [unrolled: 1-line block ×4, first 2 shown]
	s_nop 0
	v_cvt_f16_f32_e32 v1, v18
	v_cvt_f16_f32_e32 v19, v19
	;; [unrolled: 1-line block ×4, first 2 shown]
	v_cvt_f32_f16_e32 v18, v1
	v_cvt_f32_f16_e32 v19, v19
	;; [unrolled: 1-line block ×4, first 2 shown]
	v_cvt_f32_f16_sdwa v69, v142 dst_sel:DWORD dst_unused:UNUSED_PAD src0_sel:WORD_1
	s_nop 0
	v_mfma_f32_16x16x16_f16 v[18:21], v[30:31], v[136:137], v[18:21]
	s_waitcnt lgkmcnt(0)
	v_perm_b32 v31, v28, v26, s59
	v_perm_b32 v30, v24, v22, s59
	s_nop 4
	v_cvt_f16_f32_e32 v1, v18
	v_cvt_f16_f32_e32 v19, v19
	;; [unrolled: 1-line block ×4, first 2 shown]
	v_cvt_f32_f16_e32 v18, v1
	ds_read_u16 v1, v160 offset:64
	ds_read_u16 v22, v160 offset:272
	;; [unrolled: 1-line block ×4, first 2 shown]
	v_cvt_f32_f16_e32 v19, v19
	v_cvt_f32_f16_e32 v20, v20
	;; [unrolled: 1-line block ×3, first 2 shown]
	s_waitcnt lgkmcnt(2)
	v_perm_b32 v22, v22, v1, s59
	s_waitcnt lgkmcnt(0)
	v_perm_b32 v23, v26, v24, s59
	v_mfma_f32_16x16x16_f16 v[18:21], v[30:31], v[134:135], v[18:21]
	v_cvt_f32_f16_e32 v30, v25
	v_cvt_f32_f16_sdwa v31, v25 dst_sel:DWORD dst_unused:UNUSED_PAD src0_sel:WORD_1
	s_nop 1
	v_mfma_f32_16x16x16_f16 v[22:25], v[22:23], v[140:141], v[30:33]
	ds_read_u16 v26, v160 offset:3392
	ds_read_u16 v28, v160 offset:3600
	s_nop 0
	ds_read_u16 v30, v161 offset:3392
	ds_read_u16 v31, v162 offset:3392
	v_cvt_pk_f16_f32 v142, v20, v21
	s_nop 1
	v_cvt_f16_f32_e32 v1, v22
	v_cvt_f16_f32_e32 v23, v23
	;; [unrolled: 1-line block ×4, first 2 shown]
	s_waitcnt lgkmcnt(0)
	v_perm_b32 v31, v31, v30, s59
	v_perm_b32 v30, v28, v26, s59
	v_cvt_f32_f16_e32 v22, v1
	v_cvt_f32_f16_e32 v23, v23
	v_cvt_f32_f16_e32 v24, v24
	v_cvt_f32_f16_e32 v25, v25
	s_nop 1
	v_mfma_f32_16x16x16_f16 v[22:25], v[30:31], v[138:139], v[22:25]
	ds_read_u16 v26, v160 offset:6720
	ds_read_u16 v28, v160 offset:6928
	;; [unrolled: 1-line block ×4, first 2 shown]
	s_nop 3
	v_cvt_f16_f32_e32 v1, v22
	v_cvt_f16_f32_e32 v23, v23
	v_cvt_f16_f32_e32 v24, v24
	v_cvt_f16_f32_e32 v25, v25
	s_waitcnt lgkmcnt(0)
	v_perm_b32 v31, v31, v30, s59
	v_perm_b32 v30, v28, v26, s59
	v_cvt_f32_f16_e32 v22, v1
	v_cvt_f32_f16_e32 v23, v23
	;; [unrolled: 1-line block ×4, first 2 shown]
	s_nop 1
	v_mfma_f32_16x16x16_f16 v[22:25], v[30:31], v[136:137], v[22:25]
	ds_read_u16 v26, v160 offset:10048
	ds_read_u16 v28, v160 offset:10256
	;; [unrolled: 1-line block ×4, first 2 shown]
	s_nop 3
	v_cvt_f16_f32_e32 v1, v22
	v_cvt_f16_f32_e32 v23, v23
	;; [unrolled: 1-line block ×4, first 2 shown]
	v_cvt_f32_f16_e32 v22, v1
	s_waitcnt lgkmcnt(0)
	v_perm_b32 v31, v31, v30, s59
	v_perm_b32 v30, v28, v26, s59
	ds_read_u16 v1, v160 offset:96
	ds_read_u16 v26, v160 offset:304
	;; [unrolled: 1-line block ×4, first 2 shown]
	v_cvt_f32_f16_e32 v23, v23
	v_cvt_f32_f16_e32 v24, v24
	;; [unrolled: 1-line block ×3, first 2 shown]
	s_waitcnt lgkmcnt(2)
	v_perm_b32 v26, v26, v1, s59
	v_cvt_f32_f16_e32 v28, v29
	v_mfma_f32_16x16x16_f16 v[22:25], v[30:31], v[134:135], v[22:25]
	v_cvt_f32_f16_e32 v30, v27
	v_cvt_f32_f16_sdwa v31, v27 dst_sel:DWORD dst_unused:UNUSED_PAD src0_sel:WORD_1
	s_waitcnt lgkmcnt(0)
	v_perm_b32 v27, v33, v32, s59
	v_cvt_f32_f16_sdwa v29, v29 dst_sel:DWORD dst_unused:UNUSED_PAD src0_sel:WORD_1
	s_nop 1
	v_mfma_f32_16x16x16_f16 v[26:29], v[26:27], v[140:141], v[28:31]
	s_nop 2
	ds_read_u16 v30, v160 offset:3424
	ds_read_u16 v32, v160 offset:3632
	;; [unrolled: 1-line block ×4, first 2 shown]
	s_nop 0
	v_cvt_f16_f32_e32 v1, v26
	v_cvt_f16_f32_e32 v27, v27
	v_cvt_f16_f32_e32 v28, v28
	v_cvt_f16_f32_e32 v29, v29
	s_waitcnt lgkmcnt(0)
	v_perm_b32 v31, v33, v31, s59
	v_perm_b32 v30, v32, v30, s59
	v_cvt_f32_f16_e32 v26, v1
	v_cvt_f32_f16_e32 v27, v27
	;; [unrolled: 1-line block ×4, first 2 shown]
	s_nop 1
	v_mfma_f32_16x16x16_f16 v[26:29], v[30:31], v[138:139], v[26:29]
	ds_read_u16 v30, v160 offset:6752
	ds_read_u16 v32, v160 offset:6960
	;; [unrolled: 1-line block ×4, first 2 shown]
	s_nop 3
	v_cvt_f16_f32_e32 v1, v26
	v_cvt_f16_f32_e32 v27, v27
	;; [unrolled: 1-line block ×4, first 2 shown]
	s_waitcnt lgkmcnt(0)
	v_perm_b32 v31, v33, v31, s59
	v_perm_b32 v30, v32, v30, s59
	v_cvt_f32_f16_e32 v26, v1
	v_cvt_f32_f16_e32 v27, v27
	;; [unrolled: 1-line block ×4, first 2 shown]
	s_nop 1
	v_mfma_f32_16x16x16_f16 v[26:29], v[30:31], v[136:137], v[26:29]
	ds_read_u16 v30, v160 offset:10080
	ds_read_u16 v32, v160 offset:10288
	ds_read_u16 v31, v161 offset:10080
	ds_read_u16 v33, v162 offset:10080
	s_nop 3
	v_cvt_f16_f32_e32 v1, v26
	v_cvt_f16_f32_e32 v27, v27
	;; [unrolled: 1-line block ×4, first 2 shown]
	v_cvt_f32_f16_e32 v26, v1
	s_waitcnt lgkmcnt(0)
	v_perm_b32 v31, v33, v31, s59
	v_perm_b32 v30, v32, v30, s59
	ds_read_u16 v1, v160 offset:128
	ds_read_u16 v40, v160 offset:336
	;; [unrolled: 1-line block ×4, first 2 shown]
	v_cvt_f32_f16_e32 v27, v27
	v_cvt_f32_f16_e32 v28, v28
	;; [unrolled: 1-line block ×4, first 2 shown]
	s_waitcnt lgkmcnt(0)
	v_perm_b32 v63, v66, v63, s59
	v_mfma_f32_16x16x16_f16 v[26:29], v[30:31], v[134:135], v[26:29]
	v_cvt_f32_f16_e32 v30, v62
	v_cvt_f32_f16_sdwa v31, v62 dst_sel:DWORD dst_unused:UNUSED_PAD src0_sel:WORD_1
	v_perm_b32 v62, v40, v1, s59
	v_cvt_f32_f16_sdwa v33, v204 dst_sel:DWORD dst_unused:UNUSED_PAD src0_sel:WORD_1
	v_cvt_pk_f16_f32 v204, v16, v17
	s_nop 0
	v_mfma_f32_16x16x16_f16 v[30:33], v[62:63], v[140:141], v[30:33]
	ds_read_u16 v40, v160 offset:3456
	ds_read_u16 v62, v160 offset:3664
	ds_read_u16 v63, v161 offset:3456
	ds_read_u16 v66, v162 offset:3456
	s_nop 3
	v_cvt_f16_f32_e32 v1, v30
	v_cvt_f16_f32_e32 v31, v31
	v_cvt_f16_f32_e32 v32, v32
	v_cvt_f16_f32_e32 v33, v33
	s_waitcnt lgkmcnt(0)
	v_perm_b32 v63, v66, v63, s59
	v_perm_b32 v62, v62, v40, s59
	v_cvt_f32_f16_e32 v30, v1
	v_cvt_f32_f16_e32 v31, v31
	v_cvt_f32_f16_e32 v32, v32
	v_cvt_f32_f16_e32 v33, v33
	s_nop 1
	v_mfma_f32_16x16x16_f16 v[30:33], v[62:63], v[138:139], v[30:33]
	ds_read_u16 v40, v160 offset:6784
	ds_read_u16 v62, v160 offset:6992
	ds_read_u16 v63, v161 offset:6784
	ds_read_u16 v66, v162 offset:6784
	s_nop 3
	v_cvt_f16_f32_e32 v1, v30
	v_cvt_f16_f32_e32 v31, v31
	v_cvt_f16_f32_e32 v32, v32
	v_cvt_f16_f32_e32 v33, v33
	s_waitcnt lgkmcnt(0)
	v_perm_b32 v63, v66, v63, s59
	v_perm_b32 v62, v62, v40, s59
	v_cvt_f32_f16_e32 v30, v1
	v_cvt_f32_f16_e32 v31, v31
	v_cvt_f32_f16_e32 v32, v32
	v_cvt_f32_f16_e32 v33, v33
	;; [unrolled: 18-line block ×3, first 2 shown]
	v_cvt_f32_f16_e32 v66, v180
	v_cvt_pk_f16_f32 v180, v18, v19
	v_mfma_f32_16x16x16_f16 v[30:33], v[62:63], v[134:135], v[30:33]
	ds_read_u16 v1, v160 offset:160
	ds_read_u16 v40, v160 offset:368
	;; [unrolled: 1-line block ×4, first 2 shown]
	s_waitcnt lgkmcnt(0)
	v_perm_b32 v63, v63, v62, s59
	v_perm_b32 v62, v40, v1, s59
	s_nop 1
	v_mfma_f32_16x16x16_f16 v[66:69], v[62:63], v[140:141], v[66:69]
	ds_read_u16 v70, v160 offset:3488
	ds_read_u16 v71, v160 offset:3696
	;; [unrolled: 1-line block ×4, first 2 shown]
	s_nop 3
	v_cvt_f16_f32_e32 v62, v68
	v_cvt_f16_f32_e32 v63, v69
	;; [unrolled: 1-line block ×4, first 2 shown]
	v_cvt_f32_f16_e32 v68, v62
	v_cvt_f32_f16_e32 v69, v63
	s_waitcnt lgkmcnt(0)
	v_perm_b32 v63, v141, v140, s59
	v_perm_b32 v62, v71, v70, s59
	v_cvt_f32_f16_e32 v66, v1
	v_cvt_f32_f16_e32 v67, v40
	v_cvt_pk_f16_f32 v141, v22, v23
	v_cvt_pk_f16_f32 v140, v24, v25
	v_mfma_f32_16x16x16_f16 v[66:69], v[62:63], v[138:139], v[66:69]
	ds_read_u16 v70, v160 offset:6816
	ds_read_u16 v71, v160 offset:7024
	;; [unrolled: 1-line block ×4, first 2 shown]
	s_nop 3
	v_cvt_f16_f32_e32 v62, v68
	v_cvt_f16_f32_e32 v63, v69
	;; [unrolled: 1-line block ×4, first 2 shown]
	v_cvt_f32_f16_e32 v68, v62
	v_cvt_f32_f16_e32 v69, v63
	s_waitcnt lgkmcnt(0)
	v_perm_b32 v63, v139, v138, s59
	v_perm_b32 v62, v71, v70, s59
	v_cvt_f32_f16_e32 v66, v1
	v_cvt_f32_f16_e32 v67, v40
	s_nop 1
	v_mfma_f32_16x16x16_f16 v[66:69], v[62:63], v[136:137], v[66:69]
	s_nop 7
	v_cvt_f16_f32_e32 v62, v66
	v_cvt_f16_f32_e32 v63, v67
	;; [unrolled: 1-line block ×4, first 2 shown]
	ds_read_u16 v1, v160 offset:10144
	ds_read_u16 v40, v160 offset:10352
	;; [unrolled: 1-line block ×4, first 2 shown]
	v_cvt_f32_f16_e32 v136, v62
	v_cvt_f32_f16_e32 v137, v63
	s_waitcnt lgkmcnt(2)
	v_perm_b32 v62, v40, v1, s59
	v_cvt_f32_f16_e32 v138, v66
	s_waitcnt lgkmcnt(0)
	v_perm_b32 v63, v69, v68, s59
	v_cvt_f32_f16_e32 v139, v67
	v_cvt_pk_f16_f32 v66, v14, v15
	s_nop 0
	v_mfma_f32_16x16x16_f16 v[68:71], v[62:63], v[134:135], v[136:139]
	v_cvt_pk_f16_f32 v62, v26, v27
	v_cvt_pk_f16_f32 v63, v28, v29
	s_nop 0
	v_cvt_pk_f16_f32 v139, v30, v31
	v_cvt_pk_f16_f32 v138, v32, v33
	s_nop 2
	v_cvt_pk_f16_f32 v137, v68, v69
	v_cvt_pk_f16_f32 v136, v70, v71
	s_barrier
	s_cbranch_scc0 .LBB14_85
; %bb.82:                               ;   in Loop: Header=BB14_69 Depth=2
	v_mov_b32_e32 v69, v182
	v_mov_b32_e32 v70, v83
	s_branch .LBB14_69
.LBB14_83:                              ;   in Loop: Header=BB14_11 Depth=1
	v_readlane_b32 s88, v255, 5
	s_mov_b64 s[40:41], 0
	v_readlane_b32 s89, v255, 6
	v_readlane_b32 s90, v255, 7
	;; [unrolled: 1-line block ×3, first 2 shown]
                                        ; implicit-def: $vgpr2_vgpr3
                                        ; implicit-def: $vgpr200
	s_cbranch_execnz .LBB14_169
	s_branch .LBB14_317
.LBB14_84:                              ;   in Loop: Header=BB14_11 Depth=1
	v_mov_b32_e32 v83, 0xfeffffff
	v_mov_b32_e32 v182, 0
	;; [unrolled: 1-line block ×14, first 2 shown]
	s_branch .LBB14_86
.LBB14_85:                              ;   in Loop: Header=BB14_11 Depth=1
	v_lshlrev_b32_e32 v132, 4, v144
	v_mbcnt_lo_u32_b32 v122, -1, 0
	v_mov_b32_e32 v104, v54
.LBB14_86:                              ;   in Loop: Header=BB14_11 Depth=1
	s_lshl_b32 s40, s66, 6
	v_readlane_b32 s2, v254, 4
	v_cmp_eq_u64_e32 vcc, 0, v[86:87]
	s_sub_i32 s60, s2, s40
	v_cmp_ne_u64_e64 s[68:69], 0, v[86:87]
	s_ashr_i32 s41, s40, 31
	v_readlane_b32 s3, v254, 5
	s_cbranch_vccnz .LBB14_104
; %bb.87:                               ;   in Loop: Header=BB14_11 Depth=1
	v_cmp_le_i32_e32 vcc, s60, v38
	s_and_saveexec_b64 s[2:3], vcc
	s_xor_b64 s[2:3], exec, s[2:3]
	s_cbranch_execz .LBB14_89
; %bb.88:                               ;   in Loop: Header=BB14_11 Depth=1
	ds_write_b16 v145, v41 offset:13312
	ds_write_b16 v210, v41 offset:13312
.LBB14_89:                              ;   in Loop: Header=BB14_11 Depth=1
	s_or_saveexec_b64 s[2:3], s[2:3]
	s_lshl_b64 s[62:63], s[40:41], 1
	v_lshl_add_u64 v[14:15], v[86:87], 0, s[62:63]
	v_lshlrev_b32_e32 v40, 1, v38
	v_lshl_add_u64 v[14:15], v[14:15], 0, v[40:41]
	v_mov_b32_e32 v1, 0
	v_mov_b32_e32 v16, 0
	s_xor_b64 exec, exec, s[2:3]
	s_cbranch_execz .LBB14_91
; %bb.90:                               ;   in Loop: Header=BB14_11 Depth=1
	v_add_u32_e32 v1, v206, v144
	v_mul_hi_u32 v16, s42, v1
	v_add_u32_e32 v16, v1, v16
	v_lshrrev_b32_e32 v16, s43, v16
	v_mul_lo_u32 v16, v16, s48
	v_sub_u32_e32 v1, v1, v16
	v_mad_i64_i32 v[16:17], s[62:63], v1, s84, 0
	v_lshl_add_u64 v[16:17], v[16:17], 1, v[14:15]
	global_load_ushort v1, v[16:17], off
	v_add_u32_e32 v16, v206, v209
	v_mul_hi_u32 v17, s42, v16
	v_add_u32_e32 v17, v16, v17
	v_lshrrev_b32_e32 v17, s43, v17
	v_mul_lo_u32 v17, v17, s48
	v_sub_u32_e32 v16, v16, v17
	v_mad_i64_i32 v[16:17], s[62:63], v16, s84, 0
	v_lshl_add_u64 v[16:17], v[16:17], 1, v[14:15]
	global_load_ushort v16, v[16:17], off
	s_waitcnt vmcnt(1)
	ds_write_b16 v145, v1 offset:13312
	s_waitcnt vmcnt(0)
	ds_write_b16 v210, v16 offset:13312
	v_add_u32_e32 v1, v206, v211
	v_mul_hi_u32 v16, s42, v1
	v_add_u32_e32 v16, v1, v16
	v_lshrrev_b32_e32 v16, s43, v16
	v_mul_lo_u32 v16, v16, s48
	v_sub_u32_e32 v1, v1, v16
	v_mad_i64_i32 v[16:17], s[62:63], v1, s84, 0
	v_lshl_add_u64 v[16:17], v[16:17], 1, v[14:15]
	global_load_ushort v1, v[16:17], off
	v_add_u32_e32 v16, v206, v213
	v_mul_hi_u32 v17, s42, v16
	v_add_u32_e32 v17, v16, v17
	v_lshrrev_b32_e32 v17, s43, v17
	v_mul_lo_u32 v17, v17, s48
	v_sub_u32_e32 v16, v16, v17
	v_mad_i64_i32 v[16:17], s[62:63], v16, s84, 0
	v_lshl_add_u64 v[16:17], v[16:17], 1, v[14:15]
	global_load_ushort v16, v[16:17], off
.LBB14_91:                              ;   in Loop: Header=BB14_11 Depth=1
	s_or_b64 exec, exec, s[2:3]
	s_waitcnt vmcnt(1)
	ds_write_b16 v212, v1 offset:13312
	s_waitcnt vmcnt(0)
	ds_write_b16 v214, v16 offset:13312
	s_and_saveexec_b64 s[2:3], vcc
	s_xor_b64 s[2:3], exec, s[2:3]
	s_cbranch_execz .LBB14_93
; %bb.92:                               ;   in Loop: Header=BB14_11 Depth=1
	ds_write_b16 v216, v41 offset:13312
	ds_write_b16 v218, v41 offset:13312
.LBB14_93:                              ;   in Loop: Header=BB14_11 Depth=1
	s_or_saveexec_b64 s[2:3], s[2:3]
	v_mov_b32_e32 v1, 0
	v_mov_b32_e32 v16, 0
	s_xor_b64 exec, exec, s[2:3]
	s_cbranch_execz .LBB14_95
; %bb.94:                               ;   in Loop: Header=BB14_11 Depth=1
	v_add_u32_e32 v1, v206, v215
	v_mul_hi_u32 v16, s42, v1
	v_add_u32_e32 v16, v1, v16
	v_lshrrev_b32_e32 v16, s43, v16
	v_mul_lo_u32 v16, v16, s48
	v_sub_u32_e32 v1, v1, v16
	v_mad_i64_i32 v[16:17], s[62:63], v1, s84, 0
	v_lshl_add_u64 v[16:17], v[16:17], 1, v[14:15]
	global_load_ushort v1, v[16:17], off
	v_add_u32_e32 v16, v206, v217
	v_mul_hi_u32 v17, s42, v16
	v_add_u32_e32 v17, v16, v17
	v_lshrrev_b32_e32 v17, s43, v17
	v_mul_lo_u32 v17, v17, s48
	v_sub_u32_e32 v16, v16, v17
	v_mad_i64_i32 v[16:17], s[62:63], v16, s84, 0
	v_lshl_add_u64 v[16:17], v[16:17], 1, v[14:15]
	global_load_ushort v16, v[16:17], off
	s_waitcnt vmcnt(1)
	ds_write_b16 v216, v1 offset:13312
	s_waitcnt vmcnt(0)
	ds_write_b16 v218, v16 offset:13312
	v_add_u32_e32 v1, v206, v219
	v_mul_hi_u32 v16, s42, v1
	v_add_u32_e32 v16, v1, v16
	v_lshrrev_b32_e32 v16, s43, v16
	v_mul_lo_u32 v16, v16, s48
	v_sub_u32_e32 v1, v1, v16
	v_mad_i64_i32 v[16:17], s[62:63], v1, s84, 0
	v_lshl_add_u64 v[16:17], v[16:17], 1, v[14:15]
	global_load_ushort v1, v[16:17], off
	v_add_u32_e32 v16, v206, v221
	v_mul_hi_u32 v17, s42, v16
	v_add_u32_e32 v17, v16, v17
	v_lshrrev_b32_e32 v17, s43, v17
	v_mul_lo_u32 v17, v17, s48
	v_sub_u32_e32 v16, v16, v17
	v_mad_i64_i32 v[16:17], s[62:63], v16, s84, 0
	v_lshl_add_u64 v[16:17], v[16:17], 1, v[14:15]
	global_load_ushort v16, v[16:17], off
.LBB14_95:                              ;   in Loop: Header=BB14_11 Depth=1
	s_or_b64 exec, exec, s[2:3]
	s_waitcnt vmcnt(1)
	ds_write_b16 v220, v1 offset:13312
	s_waitcnt vmcnt(0)
	ds_write_b16 v222, v16 offset:13312
	s_and_saveexec_b64 s[2:3], vcc
	s_xor_b64 s[2:3], exec, s[2:3]
	s_cbranch_execz .LBB14_97
; %bb.96:                               ;   in Loop: Header=BB14_11 Depth=1
	ds_write_b16 v224, v41 offset:13312
	ds_write_b16 v226, v41 offset:13312
.LBB14_97:                              ;   in Loop: Header=BB14_11 Depth=1
	s_or_saveexec_b64 s[2:3], s[2:3]
	v_mov_b32_e32 v1, 0
	v_mov_b32_e32 v16, 0
	s_xor_b64 exec, exec, s[2:3]
	s_cbranch_execz .LBB14_99
; %bb.98:                               ;   in Loop: Header=BB14_11 Depth=1
	v_add_u32_e32 v1, v206, v223
	v_mul_hi_u32 v16, s42, v1
	v_add_u32_e32 v16, v1, v16
	v_lshrrev_b32_e32 v16, s43, v16
	v_mul_lo_u32 v16, v16, s48
	v_sub_u32_e32 v1, v1, v16
	v_mad_i64_i32 v[16:17], s[62:63], v1, s84, 0
	v_lshl_add_u64 v[16:17], v[16:17], 1, v[14:15]
	global_load_ushort v1, v[16:17], off
	v_add_u32_e32 v16, v206, v225
	v_mul_hi_u32 v17, s42, v16
	v_add_u32_e32 v17, v16, v17
	v_lshrrev_b32_e32 v17, s43, v17
	v_mul_lo_u32 v17, v17, s48
	v_sub_u32_e32 v16, v16, v17
	v_mad_i64_i32 v[16:17], s[62:63], v16, s84, 0
	v_lshl_add_u64 v[16:17], v[16:17], 1, v[14:15]
	global_load_ushort v16, v[16:17], off
	s_waitcnt vmcnt(1)
	ds_write_b16 v224, v1 offset:13312
	s_waitcnt vmcnt(0)
	ds_write_b16 v226, v16 offset:13312
	v_add_u32_e32 v1, v206, v227
	v_mul_hi_u32 v16, s42, v1
	v_add_u32_e32 v16, v1, v16
	v_lshrrev_b32_e32 v16, s43, v16
	v_mul_lo_u32 v16, v16, s48
	v_sub_u32_e32 v1, v1, v16
	v_mad_i64_i32 v[16:17], s[62:63], v1, s84, 0
	v_lshl_add_u64 v[16:17], v[16:17], 1, v[14:15]
	global_load_ushort v1, v[16:17], off
	v_add_u32_e32 v16, v206, v229
	v_mul_hi_u32 v17, s42, v16
	v_add_u32_e32 v17, v16, v17
	v_lshrrev_b32_e32 v17, s43, v17
	v_mul_lo_u32 v17, v17, s48
	v_sub_u32_e32 v16, v16, v17
	v_mad_i64_i32 v[16:17], s[62:63], v16, s84, 0
	v_lshl_add_u64 v[16:17], v[16:17], 1, v[14:15]
	global_load_ushort v16, v[16:17], off
.LBB14_99:                              ;   in Loop: Header=BB14_11 Depth=1
	s_or_b64 exec, exec, s[2:3]
	s_waitcnt vmcnt(1)
	ds_write_b16 v228, v1 offset:13312
	s_waitcnt vmcnt(0)
	ds_write_b16 v230, v16 offset:13312
	s_and_saveexec_b64 s[2:3], vcc
	s_xor_b64 s[2:3], exec, s[2:3]
	s_cbranch_execz .LBB14_101
; %bb.100:                              ;   in Loop: Header=BB14_11 Depth=1
	ds_write_b16 v232, v41 offset:13312
	ds_write_b16 v234, v41 offset:13312
                                        ; implicit-def: $vgpr14_vgpr15
.LBB14_101:                             ;   in Loop: Header=BB14_11 Depth=1
	s_or_saveexec_b64 s[2:3], s[2:3]
	v_mov_b32_e32 v1, 0
	v_mov_b32_e32 v16, 0
	s_xor_b64 exec, exec, s[2:3]
	s_cbranch_execz .LBB14_103
; %bb.102:                              ;   in Loop: Header=BB14_11 Depth=1
	v_add_u32_e32 v1, v206, v231
	v_mul_hi_u32 v16, s42, v1
	v_add_u32_e32 v16, v1, v16
	v_lshrrev_b32_e32 v16, s43, v16
	v_mul_lo_u32 v16, v16, s48
	v_sub_u32_e32 v1, v1, v16
	v_mad_i64_i32 v[16:17], s[62:63], v1, s84, 0
	v_lshl_add_u64 v[16:17], v[16:17], 1, v[14:15]
	global_load_ushort v1, v[16:17], off
	v_add_u32_e32 v16, v206, v233
	v_mul_hi_u32 v17, s42, v16
	v_add_u32_e32 v17, v16, v17
	v_lshrrev_b32_e32 v17, s43, v17
	v_mul_lo_u32 v17, v17, s48
	v_sub_u32_e32 v16, v16, v17
	v_mad_i64_i32 v[16:17], s[62:63], v16, s84, 0
	v_lshl_add_u64 v[16:17], v[16:17], 1, v[14:15]
	global_load_ushort v16, v[16:17], off
	s_waitcnt vmcnt(1)
	ds_write_b16 v232, v1 offset:13312
	s_waitcnt vmcnt(0)
	ds_write_b16 v234, v16 offset:13312
	v_add_u32_e32 v1, v206, v235
	v_mul_hi_u32 v16, s42, v1
	v_add_u32_e32 v16, v1, v16
	v_lshrrev_b32_e32 v16, s43, v16
	v_mul_lo_u32 v16, v16, s48
	v_sub_u32_e32 v1, v1, v16
	v_mad_i64_i32 v[16:17], s[62:63], v1, s84, 0
	v_lshl_add_u64 v[16:17], v[16:17], 1, v[14:15]
	global_load_ushort v1, v[16:17], off
	v_add_u32_e32 v16, v206, v237
	v_mul_hi_u32 v17, s42, v16
	v_add_u32_e32 v17, v16, v17
	v_lshrrev_b32_e32 v17, s43, v17
	v_mul_lo_u32 v17, v17, s48
	v_sub_u32_e32 v16, v16, v17
	v_mad_i64_i32 v[16:17], s[62:63], v16, s84, 0
	v_lshl_add_u64 v[14:15], v[16:17], 1, v[14:15]
	global_load_ushort v16, v[14:15], off
.LBB14_103:                             ;   in Loop: Header=BB14_11 Depth=1
	s_or_b64 exec, exec, s[2:3]
	s_waitcnt vmcnt(1)
	ds_write_b16 v236, v1 offset:13312
	s_waitcnt vmcnt(0)
	ds_write_b16 v238, v16 offset:13312
.LBB14_104:                             ;   in Loop: Header=BB14_11 Depth=1
	s_mul_hi_i32 s3, s40, s56
	s_mul_i32 s2, s40, s56
	s_lshl_b64 s[2:3], s[2:3], 2
	v_lshl_add_u64 v[14:15], v[84:85], 0, s[2:3]
	v_lshl_add_u64 v[16:17], v[44:45], 2, v[14:15]
	v_lshlrev_b32_e32 v40, 2, v46
	v_lshl_add_u64 v[16:17], v[16:17], 0, v[40:41]
	v_cmp_gt_i32_e64 s[66:67], s60, v146
	v_lshl_add_u64 v[16:17], v[16:17], 0, s[52:53]
	v_mov_b32_e32 v1, s37
	v_lshl_add_u64 v[18:19], v[50:51], 2, v[14:15]
	v_lshlrev_b32_e32 v32, 2, v48
	v_mov_b32_e32 v33, v41
	v_lshl_add_u64 v[14:15], v[52:53], 2, v[14:15]
	v_cndmask_b32_e64 v17, v1, v17, s[66:67]
	v_cndmask_b32_e64 v16, v185, v16, s[66:67]
	v_cmp_gt_i32_e64 s[62:63], s60, v239
	v_lshl_add_u64 v[14:15], v[14:15], 0, v[32:33]
	scratch_store_dwordx4 off, v[72:75], off
	v_cndmask_b32_e64 v21, v1, v15, s[62:63]
	v_cndmask_b32_e64 v20, v185, v14, s[62:63]
	flat_load_dwordx4 v[14:17], v[16:17]
	v_cmp_gt_i32_e64 s[64:65], s60, v148
	v_lshl_add_u64 v[18:19], v[18:19], 0, v[32:33]
	s_mov_b32 s46, s92
	v_cndmask_b32_e64 v19, v1, v19, s[64:65]
	v_cndmask_b32_e64 v18, v185, v18, s[64:65]
	v_add_u32_e32 v1, 0x800, v150
	s_andn2_b64 vcc, exec, s[68:69]
	s_waitcnt vmcnt(0) lgkmcnt(0)
	ds_write_b128 v147, v[14:17]
	flat_load_dwordx4 v[14:17], v[18:19]
	s_waitcnt vmcnt(0) lgkmcnt(0)
	ds_write_b128 v149, v[14:17]
	flat_load_dwordx4 v[14:17], v[20:21]
	s_waitcnt vmcnt(0) lgkmcnt(0)
	ds_write_b128 v240, v[14:17]
	s_waitcnt lgkmcnt(0)
	s_barrier
	ds_read2_b64 v[14:17], v150 offset1:4
	s_waitcnt lgkmcnt(0)
	v_mfma_f32_16x16x16_f16 v[18:21], v[14:15], v[10:11], 0
	v_mfma_f32_16x16x16_f16 v[14:17], v[16:17], v[12:13], v[18:21]
	s_nop 6
	ds_read2_b64 v[18:21], v150 offset0:8 offset1:12
	s_waitcnt lgkmcnt(0)
	v_mfma_f32_16x16x16_f16 v[14:17], v[18:19], v[6:7], v[14:17]
	v_mfma_f32_16x16x16_f16 v[14:17], v[20:21], v[8:9], v[14:17]
	ds_read2_b64 v[18:21], v150 offset0:16 offset1:20
	s_waitcnt lgkmcnt(0)
	v_mfma_f32_16x16x16_f16 v[14:17], v[18:19], v[2:3], v[14:17]
	v_mfma_f32_16x16x16_f16 v[26:29], v[20:21], v[4:5], v[14:17]
	s_nop 6
	ds_read2_b64 v[14:17], v1 offset0:160 offset1:164
	s_waitcnt lgkmcnt(0)
	v_mfma_f32_16x16x16_f16 v[18:21], v[14:15], v[10:11], 0
	v_mfma_f32_16x16x16_f16 v[14:17], v[16:17], v[12:13], v[18:21]
	s_nop 6
	ds_read2_b64 v[18:21], v1 offset0:168 offset1:172
	s_waitcnt lgkmcnt(0)
	v_mfma_f32_16x16x16_f16 v[14:17], v[18:19], v[6:7], v[14:17]
	v_mfma_f32_16x16x16_f16 v[14:17], v[20:21], v[8:9], v[14:17]
	ds_read2_b64 v[18:21], v1 offset0:176 offset1:180
	v_add_u32_e32 v1, 0x1800, v150
	s_waitcnt lgkmcnt(0)
	v_mfma_f32_16x16x16_f16 v[14:17], v[18:19], v[2:3], v[14:17]
	v_mfma_f32_16x16x16_f16 v[18:21], v[20:21], v[4:5], v[14:17]
	s_nop 6
	ds_read2_b64 v[14:17], v1 offset0:64 offset1:68
	s_waitcnt lgkmcnt(0)
	v_mfma_f32_16x16x16_f16 v[22:25], v[14:15], v[10:11], 0
	v_mfma_f32_16x16x16_f16 v[14:17], v[16:17], v[12:13], v[22:25]
	s_nop 6
	ds_read2_b64 v[22:25], v1 offset0:72 offset1:76
	s_waitcnt lgkmcnt(0)
	v_mfma_f32_16x16x16_f16 v[14:17], v[22:23], v[6:7], v[14:17]
	v_mfma_f32_16x16x16_f16 v[14:17], v[24:25], v[8:9], v[14:17]
	ds_read2_b64 v[22:25], v1 offset0:80 offset1:84
	v_add_u32_e32 v1, 0x2000, v150
	s_waitcnt lgkmcnt(0)
	v_mfma_f32_16x16x16_f16 v[14:17], v[22:23], v[2:3], v[14:17]
	v_mfma_f32_16x16x16_f16 v[14:17], v[24:25], v[4:5], v[14:17]
	ds_read2_b64 v[22:25], v1 offset0:224 offset1:228
	s_waitcnt lgkmcnt(0)
	v_mfma_f32_16x16x16_f16 v[68:71], v[22:23], v[10:11], 0
	v_mfma_f32_16x16x16_f16 v[10:13], v[24:25], v[12:13], v[68:71]
	ds_read2_b64 v[22:25], v1 offset0:232 offset1:236
	s_waitcnt lgkmcnt(0)
	v_mfma_f32_16x16x16_f16 v[10:13], v[22:23], v[6:7], v[10:13]
	v_mfma_f32_16x16x16_f16 v[6:9], v[24:25], v[8:9], v[10:13]
	s_nop 6
	ds_read2_b64 v[10:13], v1 offset0:240 offset1:244
	s_waitcnt lgkmcnt(0)
	v_mfma_f32_16x16x16_f16 v[6:9], v[10:11], v[2:3], v[6:9]
	s_barrier
	v_mfma_f32_16x16x16_f16 v[22:25], v[12:13], v[4:5], v[6:9]
	s_cbranch_vccnz .LBB14_106
; %bb.105:                              ;   in Loop: Header=BB14_11 Depth=1
	ds_read_b32 v1, v152 offset:13312
	s_waitcnt lgkmcnt(0)
	v_cvt_f32_f16_sdwa v3, v1 dst_sel:DWORD dst_unused:UNUSED_PAD src0_sel:WORD_1
	v_cvt_f32_f16_e32 v2, v1
	ds_read_b32 v1, v153 offset:13312
	v_pk_fma_f32 v[26:27], v[82:83], v[2:3], v[26:27] op_sel_hi:[0,1,1]
	s_waitcnt lgkmcnt(0)
	v_cvt_f32_f16_sdwa v5, v1 dst_sel:DWORD dst_unused:UNUSED_PAD src0_sel:WORD_1
	v_cvt_f32_f16_e32 v4, v1
	v_add_u32_e32 v1, 0x3400, v155
	ds_read2_b32 v[2:3], v1 offset1:1
	v_add_u32_e32 v1, 0x3400, v157
	v_pk_fma_f32 v[28:29], v[82:83], v[4:5], v[28:29] op_sel_hi:[0,1,1]
	s_waitcnt lgkmcnt(0)
	v_cvt_f32_f16_e32 v4, v2
	v_cvt_f32_f16_sdwa v5, v2 dst_sel:DWORD dst_unused:UNUSED_PAD src0_sel:WORD_1
	v_cvt_f32_f16_e32 v2, v3
	v_cvt_f32_f16_sdwa v3, v3 dst_sel:DWORD dst_unused:UNUSED_PAD src0_sel:WORD_1
	v_pk_fma_f32 v[18:19], v[82:83], v[4:5], v[18:19] op_sel_hi:[0,1,1]
	v_pk_fma_f32 v[20:21], v[82:83], v[2:3], v[20:21] op_sel_hi:[0,1,1]
	ds_read2_b32 v[2:3], v1 offset1:1
	v_add_u32_e32 v1, 0x3400, v159
	s_waitcnt lgkmcnt(0)
	v_cvt_f32_f16_e32 v4, v2
	v_cvt_f32_f16_sdwa v5, v2 dst_sel:DWORD dst_unused:UNUSED_PAD src0_sel:WORD_1
	v_cvt_f32_f16_e32 v2, v3
	v_cvt_f32_f16_sdwa v3, v3 dst_sel:DWORD dst_unused:UNUSED_PAD src0_sel:WORD_1
	v_pk_fma_f32 v[14:15], v[82:83], v[4:5], v[14:15] op_sel_hi:[0,1,1]
	v_pk_fma_f32 v[16:17], v[82:83], v[2:3], v[16:17] op_sel_hi:[0,1,1]
	ds_read2_b32 v[2:3], v1 offset1:1
	s_waitcnt lgkmcnt(0)
	v_cvt_f32_f16_e32 v4, v2
	v_cvt_f32_f16_sdwa v5, v2 dst_sel:DWORD dst_unused:UNUSED_PAD src0_sel:WORD_1
	v_cvt_f32_f16_e32 v2, v3
	v_cvt_f32_f16_sdwa v3, v3 dst_sel:DWORD dst_unused:UNUSED_PAD src0_sel:WORD_1
	v_pk_fma_f32 v[22:23], v[82:83], v[4:5], v[22:23] op_sel_hi:[0,1,1]
	v_pk_fma_f32 v[24:25], v[82:83], v[2:3], v[24:25] op_sel_hi:[0,1,1]
.LBB14_106:                             ;   in Loop: Header=BB14_11 Depth=1
	v_add_f32_e32 v1, 0x40051340, v26
	v_max_f32_e32 v2, v83, v83
	v_cmp_gt_u32_e64 s[96:97], s60, v151
	v_max_f32_e32 v1, v2, v1
	v_add_f32_e32 v2, 0x40051340, v27
	v_cndmask_b32_e64 v1, v83, v1, s[96:97]
	v_max_f32_e32 v3, v1, v1
	v_cmp_gt_u32_e64 s[94:95], s60, v184
	v_max_f32_e32 v2, v3, v2
	v_cmp_gt_u32_e64 s[92:93], s60, v196
	v_cndmask_b32_e64 v1, v1, v2, s[94:95]
	v_add_f32_e32 v2, 0x40051340, v28
	v_max_f32_e32 v3, v1, v1
	v_max_f32_e32 v2, v3, v2
	v_cndmask_b32_e64 v1, v1, v2, s[92:93]
	v_add_f32_e32 v2, 0x40051340, v29
	v_max_f32_e32 v3, v1, v1
	v_cmp_gt_u32_e64 s[90:91], s60, v171
	v_max_f32_e32 v2, v3, v2
	v_cmp_gt_u32_e64 s[88:89], s60, v154
	v_cndmask_b32_e64 v1, v1, v2, s[90:91]
	v_add_f32_e32 v2, 0x40051340, v18
	v_max_f32_e32 v3, v1, v1
	v_max_f32_e32 v2, v3, v2
	v_cndmask_b32_e64 v1, v1, v2, s[88:89]
	v_add_f32_e32 v2, 0x40051340, v19
	;; [unrolled: 10-line block ×7, first 2 shown]
	v_max_f32_e32 v3, v1, v1
	v_cmp_gt_u32_e32 vcc, s60, v251
	v_max_f32_e32 v2, v3, v2
	v_xor_b32_e32 v3, 32, v143
	v_cndmask_b32_e32 v1, v1, v2, vcc
	v_and_b32_e32 v2, 64, v143
	v_add_u32_e32 v2, 64, v2
	v_cmp_lt_i32_e64 s[2:3], v3, v2
	scratch_store_dwordx4 off, v[72:75], off
	s_nop 0
	v_cndmask_b32_e64 v3, v143, v3, s[2:3]
	v_lshlrev_b32_e32 v98, 2, v3
	ds_bpermute_b32 v3, v98, v1
	v_max_f32_e32 v1, v1, v1
	s_waitcnt lgkmcnt(0)
	v_max_f32_e32 v3, v3, v3
	v_max_f32_e32 v1, v1, v3
	v_xor_b32_e32 v3, 16, v143
	v_cmp_lt_i32_e64 s[2:3], v3, v2
	s_nop 1
	v_cndmask_b32_e64 v2, v143, v3, s[2:3]
	v_lshlrev_b32_e32 v31, 2, v2
	ds_bpermute_b32 v2, v31, v1
	s_waitcnt lgkmcnt(0)
	v_max_f32_e32 v2, v2, v2
	v_max_f32_e32 v30, v1, v2
	v_sub_f32_e32 v1, v26, v30
	v_mul_f32_e32 v2, 0x3fb8aa3b, v1
	v_fma_f32 v3, v1, s36, -v2
	v_rndne_f32_e32 v4, v2
	v_fmac_f32_e32 v3, 0x32a5705f, v1
	v_sub_f32_e32 v2, v2, v4
	v_add_f32_e32 v2, v2, v3
	v_exp_f32_e32 v2, v2
	v_cvt_i32_f32_e32 v3, v4
	v_cmp_ngt_f32_e64 s[2:3], s33, v1
	v_ldexp_f32 v2, v2, v3
	s_nop 0
	v_cndmask_b32_e64 v2, 0, v2, s[2:3]
	v_cmp_nlt_f32_e64 s[2:3], s49, v1
	s_nop 1
	v_cndmask_b32_e64 v1, v186, v2, s[2:3]
	v_cndmask_b32_e64 v2, 0, v1, s[96:97]
	v_sub_f32_e32 v1, v27, v30
	v_mul_f32_e32 v3, 0x3fb8aa3b, v1
	v_fma_f32 v4, v1, s36, -v3
	v_rndne_f32_e32 v5, v3
	v_fmac_f32_e32 v4, 0x32a5705f, v1
	v_sub_f32_e32 v3, v3, v5
	v_add_f32_e32 v3, v3, v4
	v_exp_f32_e32 v3, v3
	v_cvt_i32_f32_e32 v4, v5
	v_cmp_ngt_f32_e64 s[2:3], s33, v1
	v_ldexp_f32 v3, v3, v4
	s_nop 0
	v_cndmask_b32_e64 v3, 0, v3, s[2:3]
	v_cmp_nlt_f32_e64 s[2:3], s49, v1
	v_mov_b32_e32 v1, s61
	s_nop 0
	v_cndmask_b32_e64 v3, v186, v3, s[2:3]
	v_add_f32_e32 v4, v3, v2
	v_cndmask_b32_e64 v1, v1, v3, s[94:95]
	v_cndmask_b32_e64 v3, v2, v4, s[94:95]
	v_sub_f32_e32 v4, v28, v30
	v_mul_f32_e32 v5, 0x3fb8aa3b, v4
	v_fma_f32 v6, v4, s36, -v5
	v_rndne_f32_e32 v7, v5
	v_fmac_f32_e32 v6, 0x32a5705f, v4
	v_sub_f32_e32 v5, v5, v7
	v_add_f32_e32 v5, v5, v6
	v_exp_f32_e32 v5, v5
	v_cvt_i32_f32_e32 v6, v7
	v_cmp_ngt_f32_e64 s[2:3], s33, v4
	v_ldexp_f32 v5, v5, v6
	s_nop 0
	v_cndmask_b32_e64 v5, 0, v5, s[2:3]
	v_cmp_nlt_f32_e64 s[2:3], s49, v4
	v_mov_b32_e32 v4, s61
	s_nop 0
	v_cndmask_b32_e64 v5, v186, v5, s[2:3]
	v_add_f32_e32 v6, v3, v5
	v_cndmask_b32_e64 v8, v4, v5, s[92:93]
	v_cndmask_b32_e64 v4, v3, v6, s[92:93]
	v_sub_f32_e32 v3, v29, v30
	v_mul_f32_e32 v5, 0x3fb8aa3b, v3
	v_fma_f32 v6, v3, s36, -v5
	v_rndne_f32_e32 v7, v5
	v_fmac_f32_e32 v6, 0x32a5705f, v3
	v_sub_f32_e32 v5, v5, v7
	v_add_f32_e32 v5, v5, v6
	v_exp_f32_e32 v5, v5
	v_cvt_i32_f32_e32 v6, v7
	v_cmp_ngt_f32_e64 s[2:3], s33, v3
	s_mov_b32 s93, 0xc1a00000
	v_ldexp_f32 v5, v5, v6
	v_cndmask_b32_e64 v5, 0, v5, s[2:3]
	v_cmp_nlt_f32_e64 s[2:3], s49, v3
	v_mov_b32_e32 v3, s61
	s_nop 0
	v_cndmask_b32_e64 v5, v186, v5, s[2:3]
	v_add_f32_e32 v6, v4, v5
	v_cndmask_b32_e64 v67, v3, v5, s[90:91]
	v_cndmask_b32_e64 v3, v4, v6, s[90:91]
	v_sub_f32_e32 v4, v18, v30
	v_mul_f32_e32 v5, 0x3fb8aa3b, v4
	v_fma_f32 v6, v4, s36, -v5
	v_rndne_f32_e32 v7, v5
	v_fmac_f32_e32 v6, 0x32a5705f, v4
	v_sub_f32_e32 v5, v5, v7
	v_add_f32_e32 v5, v5, v6
	v_exp_f32_e32 v5, v5
	v_cvt_i32_f32_e32 v6, v7
	v_cmp_ngt_f32_e64 s[2:3], s33, v4
	v_ldexp_f32 v5, v5, v6
	s_nop 0
	v_cndmask_b32_e64 v5, 0, v5, s[2:3]
	v_cmp_nlt_f32_e64 s[2:3], s49, v4
	v_mov_b32_e32 v4, s61
	s_nop 0
	v_cndmask_b32_e64 v5, v186, v5, s[2:3]
	v_add_f32_e32 v6, v5, v3
	v_cndmask_b32_e64 v4, v4, v5, s[88:89]
	v_cndmask_b32_e64 v5, v3, v6, s[88:89]
	v_sub_f32_e32 v3, v19, v30
	v_mul_f32_e32 v6, 0x3fb8aa3b, v3
	v_fma_f32 v7, v3, s36, -v6
	v_rndne_f32_e32 v9, v6
	v_fmac_f32_e32 v7, 0x32a5705f, v3
	v_sub_f32_e32 v6, v6, v9
	v_add_f32_e32 v6, v6, v7
	v_exp_f32_e32 v6, v6
	v_cvt_i32_f32_e32 v7, v9
	v_cmp_ngt_f32_e64 s[2:3], s33, v3
	v_ldexp_f32 v6, v6, v7
	s_nop 0
	v_cndmask_b32_e64 v6, 0, v6, s[2:3]
	v_cmp_nlt_f32_e64 s[2:3], s49, v3
	v_mov_b32_e32 v3, s61
	s_nop 0
	v_cndmask_b32_e64 v6, v186, v6, s[2:3]
	v_add_f32_e32 v7, v6, v5
	v_cndmask_b32_e64 v3, v3, v6, s[86:87]
	v_sub_f32_e32 v6, v20, v30
	v_cndmask_b32_e64 v5, v5, v7, s[86:87]
	v_mul_f32_e32 v7, 0x3fb8aa3b, v6
	v_fma_f32 v9, v6, s36, -v7
	v_rndne_f32_e32 v10, v7
	v_fmac_f32_e32 v9, 0x32a5705f, v6
	v_sub_f32_e32 v7, v7, v10
	v_add_f32_e32 v7, v7, v9
	v_exp_f32_e32 v7, v7
	v_cvt_i32_f32_e32 v9, v10
	v_cmp_ngt_f32_e64 s[2:3], s33, v6
	v_ldexp_f32 v7, v7, v9
	s_nop 0
	v_cndmask_b32_e64 v7, 0, v7, s[2:3]
	v_cmp_nlt_f32_e64 s[2:3], s49, v6
	v_mov_b32_e32 v6, s61
	s_nop 0
	v_cndmask_b32_e64 v7, v186, v7, s[2:3]
	v_add_f32_e32 v9, v7, v5
	v_cndmask_b32_e64 v6, v6, v7, s[84:85]
	v_cndmask_b32_e64 v7, v5, v9, s[84:85]
	v_sub_f32_e32 v5, v21, v30
	v_mul_f32_e32 v9, 0x3fb8aa3b, v5
	v_fma_f32 v10, v5, s36, -v9
	v_rndne_f32_e32 v11, v9
	v_fmac_f32_e32 v10, 0x32a5705f, v5
	v_sub_f32_e32 v9, v9, v11
	v_add_f32_e32 v9, v9, v10
	v_exp_f32_e32 v9, v9
	v_cvt_i32_f32_e32 v10, v11
	v_cmp_ngt_f32_e64 s[2:3], s33, v5
	v_ldexp_f32 v9, v9, v10
	s_nop 0
	v_cndmask_b32_e64 v9, 0, v9, s[2:3]
	v_cmp_nlt_f32_e64 s[2:3], s49, v5
	v_mov_b32_e32 v5, s61
	s_nop 0
	v_cndmask_b32_e64 v9, v186, v9, s[2:3]
	v_add_f32_e32 v10, v9, v7
	v_cndmask_b32_e64 v29, v5, v9, s[82:83]
	v_cndmask_b32_e64 v5, v7, v10, s[82:83]
	v_sub_f32_e32 v7, v14, v30
	;; [unrolled: 20-line block ×3, first 2 shown]
	v_mul_f32_e32 v9, 0x3fb8aa3b, v5
	v_fma_f32 v11, v5, s36, -v9
	v_rndne_f32_e32 v12, v9
	v_fmac_f32_e32 v11, 0x32a5705f, v5
	v_sub_f32_e32 v9, v9, v12
	v_add_f32_e32 v9, v9, v11
	v_exp_f32_e32 v9, v9
	v_cvt_i32_f32_e32 v11, v12
	v_cmp_ngt_f32_e64 s[2:3], s33, v5
	v_ldexp_f32 v9, v9, v11
	s_nop 0
	v_cndmask_b32_e64 v9, 0, v9, s[2:3]
	v_cmp_nlt_f32_e64 s[2:3], s49, v5
	v_mov_b32_e32 v5, s61
	s_nop 0
	v_cndmask_b32_e64 v9, v186, v9, s[2:3]
	v_add_f32_e32 v11, v9, v7
	v_cndmask_b32_e64 v5, v5, v9, s[78:79]
	v_sub_f32_e32 v9, v16, v30
	v_cndmask_b32_e64 v7, v7, v11, s[78:79]
	v_mul_f32_e32 v11, 0x3fb8aa3b, v9
	v_fma_f32 v12, v9, s36, -v11
	v_rndne_f32_e32 v13, v11
	v_fmac_f32_e32 v12, 0x32a5705f, v9
	v_sub_f32_e32 v11, v11, v13
	v_add_f32_e32 v11, v11, v12
	v_exp_f32_e32 v11, v11
	v_cvt_i32_f32_e32 v12, v13
	v_cmp_ngt_f32_e64 s[2:3], s33, v9
	v_ldexp_f32 v11, v11, v12
	s_nop 0
	v_cndmask_b32_e64 v11, 0, v11, s[2:3]
	v_cmp_nlt_f32_e64 s[2:3], s49, v9
	v_mov_b32_e32 v12, s61
	s_nop 0
	v_cndmask_b32_e64 v9, v186, v11, s[2:3]
	v_add_f32_e32 v11, v9, v7
	v_cndmask_b32_e64 v12, v12, v9, s[76:77]
	v_cndmask_b32_e64 v9, v7, v11, s[76:77]
	v_sub_f32_e32 v7, v17, v30
	v_mul_f32_e32 v11, 0x3fb8aa3b, v7
	v_fma_f32 v13, v7, s36, -v11
	v_rndne_f32_e32 v14, v11
	v_fmac_f32_e32 v13, 0x32a5705f, v7
	v_sub_f32_e32 v11, v11, v14
	v_add_f32_e32 v11, v11, v13
	v_exp_f32_e32 v11, v11
	v_cvt_i32_f32_e32 v13, v14
	v_cmp_ngt_f32_e64 s[2:3], s33, v7
	v_ldexp_f32 v11, v11, v13
	s_nop 0
	v_cndmask_b32_e64 v11, 0, v11, s[2:3]
	v_cmp_nlt_f32_e64 s[2:3], s49, v7
	v_mov_b32_e32 v7, s61
	s_nop 0
	v_cndmask_b32_e64 v11, v186, v11, s[2:3]
	v_add_f32_e32 v13, v11, v9
	v_cndmask_b32_e64 v15, v7, v11, s[74:75]
	v_cndmask_b32_e64 v7, v9, v13, s[74:75]
	v_sub_f32_e32 v9, v22, v30
	v_mul_f32_e32 v11, 0x3fb8aa3b, v9
	v_fma_f32 v13, v9, s36, -v11
	v_rndne_f32_e32 v14, v11
	v_fmac_f32_e32 v13, 0x32a5705f, v9
	v_sub_f32_e32 v11, v11, v14
	v_add_f32_e32 v11, v11, v13
	v_exp_f32_e32 v11, v11
	v_cvt_i32_f32_e32 v13, v14
	v_cmp_ngt_f32_e64 s[2:3], s33, v9
	v_mov_b32_e32 v14, s61
	v_ldexp_f32 v11, v11, v13
	v_cndmask_b32_e64 v11, 0, v11, s[2:3]
	v_cmp_nlt_f32_e64 s[2:3], s49, v9
	s_nop 1
	v_cndmask_b32_e64 v9, v186, v11, s[2:3]
	v_add_f32_e32 v11, v9, v7
	v_cndmask_b32_e64 v14, v14, v9, s[72:73]
	v_cndmask_b32_e64 v9, v7, v11, s[72:73]
	v_sub_f32_e32 v7, v23, v30
	v_mul_f32_e32 v11, 0x3fb8aa3b, v7
	v_fma_f32 v13, v7, s36, -v11
	v_rndne_f32_e32 v16, v11
	v_fmac_f32_e32 v13, 0x32a5705f, v7
	v_sub_f32_e32 v11, v11, v16
	v_add_f32_e32 v11, v11, v13
	v_exp_f32_e32 v11, v11
	v_cvt_i32_f32_e32 v13, v16
	v_cmp_ngt_f32_e64 s[2:3], s33, v7
	v_ldexp_f32 v11, v11, v13
	s_nop 0
	v_cndmask_b32_e64 v11, 0, v11, s[2:3]
	v_cmp_nlt_f32_e64 s[2:3], s49, v7
	v_mov_b32_e32 v7, s61
	s_nop 0
	v_cndmask_b32_e64 v11, v186, v11, s[2:3]
	v_add_f32_e32 v13, v11, v9
	v_cndmask_b32_e64 v7, v7, v11, s[70:71]
	v_sub_f32_e32 v11, v24, v30
	v_cndmask_b32_e64 v9, v9, v13, s[70:71]
	v_mul_f32_e32 v13, 0x3fb8aa3b, v11
	v_fma_f32 v16, v11, s36, -v13
	v_rndne_f32_e32 v17, v13
	v_fmac_f32_e32 v16, 0x32a5705f, v11
	v_sub_f32_e32 v13, v13, v17
	v_add_f32_e32 v13, v13, v16
	v_exp_f32_e32 v13, v13
	v_cvt_i32_f32_e32 v16, v17
	v_cmp_ngt_f32_e64 s[2:3], s33, v11
	v_cvt_pk_f16_f32 v14, v14, v7
	v_ldexp_f32 v13, v13, v16
	v_cndmask_b32_e64 v13, 0, v13, s[2:3]
	v_cmp_nlt_f32_e64 s[2:3], s49, v11
	v_mov_b32_e32 v16, s61
	s_nop 0
	v_cndmask_b32_e64 v11, v186, v13, s[2:3]
	v_add_f32_e32 v13, v11, v9
	v_cndmask_b32_e64 v16, v16, v11, s[68:69]
	v_cndmask_b32_e64 v11, v9, v13, s[68:69]
	v_sub_f32_e32 v9, v25, v30
	v_mul_f32_e32 v13, 0x3fb8aa3b, v9
	v_fma_f32 v17, v9, s36, -v13
	v_rndne_f32_e32 v18, v13
	v_fmac_f32_e32 v17, 0x32a5705f, v9
	v_sub_f32_e32 v13, v13, v18
	v_add_f32_e32 v13, v13, v17
	v_exp_f32_e32 v13, v13
	v_cvt_i32_f32_e32 v17, v18
	v_cmp_ngt_f32_e64 s[2:3], s33, v9
	v_ldexp_f32 v13, v13, v17
	s_nop 0
	v_cndmask_b32_e64 v13, 0, v13, s[2:3]
	v_cmp_nlt_f32_e64 s[2:3], s49, v9
	v_mov_b32_e32 v9, s61
	s_nop 0
	v_cndmask_b32_e64 v13, v186, v13, s[2:3]
	v_add_f32_e32 v17, v13, v11
	v_cndmask_b32_e32 v99, v9, v13, vcc
	v_sub_f32_e32 v9, v83, v30
	v_cndmask_b32_e32 v17, v11, v17, vcc
	v_mul_f32_e32 v11, 0x3fb8aa3b, v9
	v_fma_f32 v13, v9, s36, -v11
	v_rndne_f32_e32 v18, v11
	v_fmac_f32_e32 v13, 0x32a5705f, v9
	v_sub_f32_e32 v11, v11, v18
	v_add_f32_e32 v11, v11, v13
	v_exp_f32_e32 v11, v11
	v_cvt_i32_f32_e32 v13, v18
	v_cmp_ngt_f32_e32 vcc, s33, v9
	s_mul_hi_i32 s3, s40, s50
	s_mul_i32 s2, s40, s50
	v_ldexp_f32 v11, v11, v13
	v_cndmask_b32_e32 v11, 0, v11, vcc
	v_cmp_nlt_f32_e32 vcc, s49, v9
	s_lshl_b64 s[2:3], s[2:3], 2
	v_lshl_add_u64 v[22:23], v[80:81], 0, s[2:3]
	v_cndmask_b32_e32 v11, v186, v11, vcc
	v_cmp_le_f32_e32 vcc, s93, v9
	s_nop 1
	v_cndmask_b32_e32 v9, 0, v11, vcc
	v_fmac_f32_e32 v17, v182, v9
	v_cvt_f16_f32_e32 v9, v9
	v_cmp_eq_u64_e32 vcc, 0, v[78:79]
	s_and_b64 vcc, exec, vcc
	v_mul_u32_u24_e32 v18, 0x10001, v9
	v_pk_mul_f16 v83, v66, v18
	v_pk_mul_f16 v69, v204, v18
	v_pk_mul_f16 v68, v180, v18
	v_pk_mul_f16 v66, v142, v18
	v_pk_mul_f16 v28, v141, v18
	v_pk_mul_f16 v9, v140, v18
	v_pk_mul_f16 v27, v62, v18
	v_pk_mul_f16 v11, v63, v18
	v_pk_mul_f16 v26, v139, v18
	v_pk_mul_f16 v13, v138, v18
	v_pk_mul_f16 v25, v137, v18
	v_pk_mul_f16 v24, v136, v18
	v_lshl_add_u64 v[18:19], v[56:57], 2, v[22:23]
	v_lshl_add_u64 v[18:19], v[18:19], 0, v[40:41]
	;; [unrolled: 1-line block ×3, first 2 shown]
	v_mov_b32_e32 v40, s37
	v_cndmask_b32_e64 v19, v40, v19, s[66:67]
	v_cndmask_b32_e64 v18, v185, v18, s[66:67]
	flat_load_dwordx4 v[18:21], v[18:19]
	v_cvt_f32_f16_sdwa v7, v66 dst_sel:DWORD dst_unused:UNUSED_PAD src0_sel:WORD_1
	s_waitcnt vmcnt(0) lgkmcnt(0)
	ds_write_b128 v147, v[18:21]
	v_lshl_add_u64 v[18:19], v[58:59], 2, v[22:23]
	v_lshl_add_u64 v[18:19], v[18:19], 0, v[32:33]
	v_cndmask_b32_e64 v19, v40, v19, s[64:65]
	v_cndmask_b32_e64 v18, v185, v18, s[64:65]
	flat_load_dwordx4 v[18:21], v[18:19]
	s_waitcnt vmcnt(0) lgkmcnt(0)
	ds_write_b128 v149, v[18:21]
	v_lshl_add_u64 v[18:19], v[60:61], 2, v[22:23]
	v_lshl_add_u64 v[18:19], v[18:19], 0, v[32:33]
	v_cndmask_b32_e64 v19, v40, v19, s[62:63]
	v_cndmask_b32_e64 v18, v185, v18, s[62:63]
	flat_load_dwordx4 v[18:21], v[18:19]
	s_waitcnt vmcnt(0) lgkmcnt(0)
	ds_write_b128 v240, v[18:21]
	s_waitcnt lgkmcnt(0)
	s_barrier
	ds_read_u16 v22, v160 offset:208
	ds_read_u16 v23, v161
	ds_read_u16 v40, v161 offset:32
	ds_read_u16 v32, v162
	ds_read_u16 v62, v162 offset:32
	v_cvt_f32_f16_e32 v18, v83
	v_cvt_f32_f16_sdwa v19, v83 dst_sel:DWORD dst_unused:UNUSED_PAD src0_sel:WORD_1
	v_cvt_f32_f16_e32 v20, v69
	s_waitcnt lgkmcnt(1)
	v_perm_b32 v33, v32, v23, s59
	ds_read_u16 v23, v160
	ds_read_u16 v63, v160 offset:32
	v_cvt_f32_f16_sdwa v21, v69 dst_sel:DWORD dst_unused:UNUSED_PAD src0_sel:WORD_1
	v_cvt_f32_f16_sdwa v69, v24 dst_sel:DWORD dst_unused:UNUSED_PAD src0_sel:WORD_1
	s_waitcnt lgkmcnt(1)
	v_perm_b32 v32, v22, v23, s59
	v_cvt_pk_f16_f32 v23, v8, v67
	v_cvt_pk_f16_f32 v22, v2, v1
	v_cvt_f32_f16_sdwa v67, v25 dst_sel:DWORD dst_unused:UNUSED_PAD src0_sel:WORD_1
	s_nop 0
	v_mfma_f32_16x16x16_f16 v[18:21], v[32:33], v[22:23], v[18:21]
	s_nop 7
	v_cvt_f16_f32_e32 v1, v18
	v_cvt_f16_f32_e32 v2, v19
	;; [unrolled: 1-line block ×4, first 2 shown]
	ds_read_u16 v20, v160 offset:3328
	ds_read_u16 v21, v160 offset:3536
	;; [unrolled: 1-line block ×4, first 2 shown]
	v_cvt_f32_f16_e32 v100, v1
	v_cvt_f32_f16_e32 v101, v2
	;; [unrolled: 1-line block ×3, first 2 shown]
	s_waitcnt lgkmcnt(2)
	v_perm_b32 v18, v21, v20, s59
	s_waitcnt lgkmcnt(0)
	v_perm_b32 v19, v32, v19, s59
	v_cvt_f32_f16_e32 v102, v8
	v_cvt_pk_f16_f32 v21, v6, v29
	v_cvt_pk_f16_f32 v20, v4, v3
	s_nop 1
	v_mfma_f32_16x16x16_f16 v[100:103], v[18:19], v[20:21], v[100:103]
	ds_read_u16 v6, v160 offset:6656
	ds_read_u16 v8, v160 offset:6864
	;; [unrolled: 1-line block ×4, first 2 shown]
	s_nop 3
	v_cvt_f16_f32_e32 v2, v101
	v_cvt_f16_f32_e32 v3, v102
	;; [unrolled: 1-line block ×4, first 2 shown]
	v_cvt_f32_f16_e32 v101, v2
	v_cvt_f32_f16_e32 v102, v3
	s_waitcnt lgkmcnt(0)
	v_perm_b32 v3, v19, v18, s59
	v_perm_b32 v2, v8, v6, s59
	v_cvt_f32_f16_e32 v100, v1
	v_cvt_f32_f16_e32 v103, v4
	v_cvt_pk_f16_f32 v19, v12, v15
	v_cvt_pk_f16_f32 v18, v10, v5
	ds_read_u16 v6, v160 offset:9984
	ds_read_u16 v8, v160 offset:10192
	;; [unrolled: 1-line block ×4, first 2 shown]
	v_mfma_f32_16x16x16_f16 v[2:5], v[2:3], v[18:19], v[100:103]
	v_cvt_pk_f16_f32 v15, v16, v99
	s_waitcnt lgkmcnt(2)
	v_perm_b32 v32, v8, v6, s59
	ds_read_u16 v8, v160 offset:240
	s_waitcnt lgkmcnt(1)
	v_perm_b32 v33, v12, v10, s59
	v_cvt_f32_f16_e32 v6, v66
	s_nop 0
	v_cvt_f16_f32_e32 v1, v2
	v_cvt_f16_f32_e32 v3, v3
	;; [unrolled: 1-line block ×4, first 2 shown]
	v_cvt_f32_f16_e32 v2, v1
	v_cvt_f32_f16_e32 v3, v3
	;; [unrolled: 1-line block ×5, first 2 shown]
	s_nop 0
	v_mfma_f32_16x16x16_f16 v[2:5], v[32:33], v[14:15], v[2:5]
	v_perm_b32 v33, v62, v40, s59
	s_waitcnt lgkmcnt(0)
	v_perm_b32 v32, v8, v63, s59
	ds_read_u16 v8, v160 offset:3360
	ds_read_u16 v10, v160 offset:3568
	;; [unrolled: 1-line block ×4, first 2 shown]
	s_nop 0
	v_cvt_f16_f32_e32 v1, v4
	v_cvt_f16_f32_e32 v4, v5
	v_cvt_f32_f16_sdwa v5, v68 dst_sel:DWORD dst_unused:UNUSED_PAD src0_sel:WORD_1
	v_perm_b32 v1, v4, v1, s59
	v_cvt_f32_f16_e32 v4, v68
	v_cvt_f32_f16_e32 v68, v24
	s_nop 0
	v_mfma_f32_16x16x16_f16 v[4:7], v[32:33], v[22:23], v[4:7]
	s_waitcnt lgkmcnt(0)
	v_perm_b32 v33, v16, v12, s59
	v_perm_b32 v32, v10, v8, s59
	ds_read_u16 v8, v160 offset:6688
	ds_read_u16 v10, v160 offset:6896
	ds_read_u16 v12, v161 offset:6688
	ds_read_u16 v16, v162 offset:6688
	s_nop 0
	v_cvt_f16_f32_e32 v4, v4
	v_cvt_f16_f32_e32 v5, v5
	;; [unrolled: 1-line block ×4, first 2 shown]
	v_cvt_f32_f16_e32 v4, v4
	v_cvt_f32_f16_e32 v5, v5
	v_cvt_f32_f16_e32 v6, v6
	v_cvt_f32_f16_e32 v7, v7
	s_nop 1
	v_mfma_f32_16x16x16_f16 v[4:7], v[32:33], v[20:21], v[4:7]
	s_waitcnt lgkmcnt(0)
	v_perm_b32 v33, v16, v12, s59
	v_perm_b32 v32, v10, v8, s59
	ds_read_u16 v8, v160 offset:10016
	ds_read_u16 v10, v160 offset:10224
	;; [unrolled: 1-line block ×4, first 2 shown]
	s_nop 0
	v_cvt_f16_f32_e32 v4, v4
	v_cvt_f16_f32_e32 v5, v5
	v_cvt_f16_f32_e32 v6, v6
	v_cvt_f16_f32_e32 v7, v7
	v_cvt_f32_f16_e32 v4, v4
	v_cvt_f32_f16_e32 v5, v5
	;; [unrolled: 1-line block ×4, first 2 shown]
	s_nop 1
	v_mfma_f32_16x16x16_f16 v[4:7], v[32:33], v[18:19], v[4:7]
	s_waitcnt lgkmcnt(0)
	v_perm_b32 v33, v16, v12, s59
	v_perm_b32 v32, v10, v8, s59
	v_cvt_f32_f16_e32 v8, v9
	v_cvt_f32_f16_sdwa v9, v9 dst_sel:DWORD dst_unused:UNUSED_PAD src0_sel:WORD_1
	s_nop 2
	v_cvt_f16_f32_e32 v4, v4
	v_cvt_f16_f32_e32 v5, v5
	;; [unrolled: 1-line block ×4, first 2 shown]
	v_cvt_f32_f16_e32 v4, v4
	v_cvt_f32_f16_e32 v5, v5
	;; [unrolled: 1-line block ×4, first 2 shown]
	s_nop 1
	v_mfma_f32_16x16x16_f16 v[4:7], v[32:33], v[14:15], v[4:7]
	ds_read_u16 v10, v160 offset:64
	ds_read_u16 v12, v160 offset:272
	;; [unrolled: 1-line block ×4, first 2 shown]
	s_nop 3
	v_cvt_f16_f32_e32 v6, v6
	v_cvt_f16_f32_e32 v7, v7
	s_waitcnt lgkmcnt(0)
	v_perm_b32 v29, v32, v29, s59
	v_perm_b32 v16, v7, v6, s59
	v_cvt_f32_f16_e32 v6, v28
	v_cvt_f32_f16_sdwa v7, v28 dst_sel:DWORD dst_unused:UNUSED_PAD src0_sel:WORD_1
	v_perm_b32 v28, v12, v10, s59
	s_nop 1
	v_mfma_f32_16x16x16_f16 v[6:9], v[28:29], v[22:23], v[6:9]
	ds_read_u16 v10, v160 offset:3392
	ds_read_u16 v12, v160 offset:3600
	ds_read_u16 v28, v161 offset:3392
	ds_read_u16 v29, v162 offset:3392
	s_nop 3
	v_cvt_f16_f32_e32 v6, v6
	v_cvt_f16_f32_e32 v7, v7
	v_cvt_f16_f32_e32 v8, v8
	v_cvt_f16_f32_e32 v9, v9
	s_waitcnt lgkmcnt(0)
	v_perm_b32 v29, v29, v28, s59
	v_perm_b32 v28, v12, v10, s59
	v_cvt_f32_f16_e32 v6, v6
	v_cvt_f32_f16_e32 v7, v7
	v_cvt_f32_f16_e32 v8, v8
	v_cvt_f32_f16_e32 v9, v9
	s_nop 1
	v_mfma_f32_16x16x16_f16 v[6:9], v[28:29], v[20:21], v[6:9]
	ds_read_u16 v10, v160 offset:6720
	ds_read_u16 v12, v160 offset:6928
	ds_read_u16 v28, v161 offset:6720
	ds_read_u16 v29, v162 offset:6720
	s_nop 3
	v_cvt_f16_f32_e32 v6, v6
	v_cvt_f16_f32_e32 v7, v7
	v_cvt_f16_f32_e32 v8, v8
	v_cvt_f16_f32_e32 v9, v9
	s_waitcnt lgkmcnt(0)
	v_perm_b32 v29, v29, v28, s59
	v_perm_b32 v28, v12, v10, s59
	v_cvt_f32_f16_e32 v6, v6
	v_cvt_f32_f16_e32 v7, v7
	v_cvt_f32_f16_e32 v8, v8
	v_cvt_f32_f16_e32 v9, v9
	;; [unrolled: 18-line block ×3, first 2 shown]
	v_cvt_f32_f16_e32 v10, v11
	v_cvt_f32_f16_sdwa v11, v11 dst_sel:DWORD dst_unused:UNUSED_PAD src0_sel:WORD_1
	v_mfma_f32_16x16x16_f16 v[6:9], v[28:29], v[14:15], v[6:9]
	ds_read_u16 v12, v160 offset:96
	ds_read_u16 v29, v160 offset:304
	ds_read_u16 v32, v161 offset:96
	ds_read_u16 v33, v162 offset:96
	s_nop 3
	v_cvt_f16_f32_e32 v8, v8
	v_cvt_f16_f32_e32 v9, v9
	s_waitcnt lgkmcnt(0)
	v_perm_b32 v33, v33, v32, s59
	v_perm_b32 v32, v29, v12, s59
	;; [unrolled: 1-line block ×3, first 2 shown]
	v_cvt_f32_f16_e32 v8, v27
	v_cvt_f32_f16_sdwa v9, v27 dst_sel:DWORD dst_unused:UNUSED_PAD src0_sel:WORD_1
	s_nop 1
	v_mfma_f32_16x16x16_f16 v[8:11], v[32:33], v[22:23], v[8:11]
	ds_read_u16 v12, v160 offset:3424
	ds_read_u16 v27, v160 offset:3632
	ds_read_u16 v29, v161 offset:3424
	ds_read_u16 v32, v162 offset:3424
	s_nop 3
	v_cvt_f16_f32_e32 v8, v8
	v_cvt_f16_f32_e32 v9, v9
	v_cvt_f16_f32_e32 v10, v10
	v_cvt_f16_f32_e32 v11, v11
	s_waitcnt lgkmcnt(0)
	v_perm_b32 v33, v32, v29, s59
	v_perm_b32 v32, v27, v12, s59
	v_cvt_f32_f16_e32 v8, v8
	v_cvt_f32_f16_e32 v9, v9
	v_cvt_f32_f16_e32 v10, v10
	v_cvt_f32_f16_e32 v11, v11
	s_nop 1
	v_mfma_f32_16x16x16_f16 v[8:11], v[32:33], v[20:21], v[8:11]
	ds_read_u16 v12, v160 offset:6752
	ds_read_u16 v27, v160 offset:6960
	ds_read_u16 v29, v161 offset:6752
	ds_read_u16 v32, v162 offset:6752
	s_nop 3
	v_cvt_f16_f32_e32 v8, v8
	v_cvt_f16_f32_e32 v9, v9
	v_cvt_f16_f32_e32 v10, v10
	v_cvt_f16_f32_e32 v11, v11
	s_waitcnt lgkmcnt(0)
	v_perm_b32 v33, v32, v29, s59
	v_perm_b32 v32, v27, v12, s59
	v_cvt_f32_f16_e32 v8, v8
	v_cvt_f32_f16_e32 v9, v9
	v_cvt_f32_f16_e32 v10, v10
	v_cvt_f32_f16_e32 v11, v11
	;; [unrolled: 18-line block ×3, first 2 shown]
	v_cvt_f32_f16_e32 v12, v13
	v_cvt_f32_f16_sdwa v13, v13 dst_sel:DWORD dst_unused:UNUSED_PAD src0_sel:WORD_1
	v_mfma_f32_16x16x16_f16 v[8:11], v[32:33], v[14:15], v[8:11]
	ds_read_u16 v29, v160 offset:128
	ds_read_u16 v32, v160 offset:336
	;; [unrolled: 1-line block ×4, first 2 shown]
	s_nop 3
	v_cvt_f16_f32_e32 v10, v10
	v_cvt_f16_f32_e32 v11, v11
	s_waitcnt lgkmcnt(0)
	v_perm_b32 v33, v40, v33, s59
	v_perm_b32 v32, v32, v29, s59
	;; [unrolled: 1-line block ×3, first 2 shown]
	v_cvt_f32_f16_e32 v10, v26
	v_cvt_f32_f16_sdwa v11, v26 dst_sel:DWORD dst_unused:UNUSED_PAD src0_sel:WORD_1
	s_nop 1
	v_mfma_f32_16x16x16_f16 v[10:13], v[32:33], v[22:23], v[10:13]
	ds_read_u16 v26, v160 offset:3456
	ds_read_u16 v29, v160 offset:3664
	ds_read_u16 v32, v161 offset:3456
	ds_read_u16 v33, v162 offset:3456
	s_nop 3
	v_cvt_f16_f32_e32 v10, v10
	v_cvt_f16_f32_e32 v11, v11
	v_cvt_f16_f32_e32 v12, v12
	v_cvt_f16_f32_e32 v13, v13
	s_waitcnt lgkmcnt(0)
	v_perm_b32 v33, v33, v32, s59
	v_perm_b32 v32, v29, v26, s59
	v_cvt_f32_f16_e32 v10, v10
	v_cvt_f32_f16_e32 v11, v11
	v_cvt_f32_f16_e32 v12, v12
	v_cvt_f32_f16_e32 v13, v13
	s_nop 1
	v_mfma_f32_16x16x16_f16 v[10:13], v[32:33], v[20:21], v[10:13]
	ds_read_u16 v26, v160 offset:6784
	ds_read_u16 v29, v160 offset:6992
	ds_read_u16 v32, v161 offset:6784
	ds_read_u16 v33, v162 offset:6784
	s_nop 3
	v_cvt_f16_f32_e32 v10, v10
	v_cvt_f16_f32_e32 v11, v11
	v_cvt_f16_f32_e32 v12, v12
	v_cvt_f16_f32_e32 v13, v13
	s_waitcnt lgkmcnt(0)
	v_perm_b32 v33, v33, v32, s59
	v_perm_b32 v32, v29, v26, s59
	v_cvt_f32_f16_e32 v10, v10
	v_cvt_f32_f16_e32 v11, v11
	v_cvt_f32_f16_e32 v12, v12
	v_cvt_f32_f16_e32 v13, v13
	;; [unrolled: 18-line block ×3, first 2 shown]
	s_nop 1
	v_mfma_f32_16x16x16_f16 v[10:13], v[32:33], v[14:15], v[10:13]
	s_nop 7
	v_cvt_f16_f32_e32 v12, v12
	v_cvt_f16_f32_e32 v13, v13
	v_perm_b32 v26, v13, v12, s59
	ds_read_u16 v12, v160 offset:160
	ds_read_u16 v29, v160 offset:368
	;; [unrolled: 1-line block ×4, first 2 shown]
	s_waitcnt lgkmcnt(2)
	v_perm_b32 v12, v29, v12, s59
	s_waitcnt lgkmcnt(0)
	v_perm_b32 v13, v32, v13, s59
	ds_read_u16 v29, v160 offset:3488
	ds_read_u16 v32, v160 offset:3696
	ds_read_u16 v33, v161 offset:3488
	ds_read_u16 v40, v162 offset:3488
	v_mfma_f32_16x16x16_f16 v[22:25], v[12:13], v[22:23], v[66:69]
	s_nop 7
	v_cvt_f16_f32_e32 v12, v22
	v_cvt_f16_f32_e32 v13, v23
	;; [unrolled: 1-line block ×4, first 2 shown]
	v_cvt_f32_f16_e32 v22, v12
	v_cvt_f32_f16_e32 v23, v13
	s_waitcnt lgkmcnt(0)
	v_perm_b32 v13, v40, v33, s59
	v_perm_b32 v12, v32, v29, s59
	v_cvt_f32_f16_e32 v24, v24
	v_cvt_f32_f16_e32 v25, v25
	s_nop 1
	v_mfma_f32_16x16x16_f16 v[20:23], v[12:13], v[20:21], v[22:25]
	s_nop 2
	ds_read_u16 v24, v160 offset:6816
	ds_read_u16 v25, v160 offset:7024
	;; [unrolled: 1-line block ×4, first 2 shown]
	s_nop 0
	v_cvt_f16_f32_e32 v12, v20
	v_cvt_f16_f32_e32 v13, v21
	;; [unrolled: 1-line block ×4, first 2 shown]
	v_cvt_f32_f16_e32 v20, v12
	v_cvt_f32_f16_e32 v21, v13
	s_waitcnt lgkmcnt(0)
	v_perm_b32 v13, v32, v29, s59
	v_perm_b32 v12, v25, v24, s59
	v_cvt_f32_f16_e32 v22, v22
	v_cvt_f32_f16_e32 v23, v23
	s_nop 1
	v_mfma_f32_16x16x16_f16 v[18:21], v[12:13], v[18:19], v[20:23]
	ds_read_u16 v12, v160 offset:10144
	ds_read_u16 v13, v160 offset:10352
	s_nop 0
	ds_read_u16 v22, v161 offset:10144
	ds_read_u16 v23, v162 offset:10144
	s_waitcnt lgkmcnt(0)
	s_barrier
	s_nop 0
	v_cvt_f16_f32_e32 v18, v18
	v_cvt_f16_f32_e32 v19, v19
	;; [unrolled: 1-line block ×4, first 2 shown]
	v_perm_b32 v23, v23, v22, s59
	v_perm_b32 v22, v13, v12, s59
	v_cvt_f32_f16_e32 v18, v18
	v_cvt_f32_f16_e32 v19, v19
	;; [unrolled: 1-line block ×4, first 2 shown]
	s_nop 1
	v_mfma_f32_16x16x16_f16 v[12:15], v[22:23], v[14:15], v[18:21]
	s_nop 7
	v_cvt_f16_f32_e32 v14, v14
	v_cvt_f16_f32_e32 v15, v15
	v_perm_b32 v14, v15, v14, s59
	ds_bpermute_b32 v15, v98, v17
	s_waitcnt lgkmcnt(0)
	v_add_f32_e32 v15, v17, v15
	ds_bpermute_b32 v17, v31, v15
	s_waitcnt lgkmcnt(0)
	v_add_f32_e32 v31, v15, v17
	s_cbranch_vccnz .LBB14_108
; %bb.107:                              ;   in Loop: Header=BB14_11 Depth=1
	v_cvt_pk_f16_f32 v4, v4, v5
	v_cvt_pk_f16_f32 v5, v6, v7
	global_load_dword v6, v[78:79], off
	v_cvt_pk_f16_f32 v3, v2, v3
	v_max_f32_e32 v7, v30, v30
	v_cvt_pk_f16_f32 v8, v8, v9
	v_cvt_pk_f16_f32 v9, v10, v11
	;; [unrolled: 1-line block ×3, first 2 shown]
	s_waitcnt vmcnt(0)
	v_max_f32_e32 v2, v6, v6
	v_max_f32_e32 v2, v7, v2
	v_sub_f32_e32 v7, v30, v2
	v_mul_f32_e32 v11, 0x3fb8aa3b, v7
	v_fma_f32 v12, v7, s36, -v11
	v_rndne_f32_e32 v13, v11
	v_fmac_f32_e32 v12, 0x32a5705f, v7
	v_sub_f32_e32 v11, v11, v13
	v_add_f32_e32 v11, v11, v12
	v_exp_f32_e32 v11, v11
	v_cvt_i32_f32_e32 v12, v13
	v_cmp_ngt_f32_e32 vcc, s33, v7
	v_ldexp_f32 v11, v11, v12
	s_nop 0
	v_cndmask_b32_e32 v11, 0, v11, vcc
	v_cmp_nlt_f32_e32 vcc, s49, v7
	v_sub_f32_e32 v12, v6, v2
	s_nop 0
	v_cndmask_b32_e32 v11, v186, v11, vcc
	v_cmp_le_f32_e32 vcc, s93, v7
	s_nop 1
	v_cndmask_b32_e32 v11, 0, v11, vcc
	v_cvt_f16_f32_e32 v6, v11
	v_cmp_ngt_f32_e32 vcc, s33, v12
	v_mul_u32_u24_e32 v13, 0x10001, v6
	v_pk_mul_f16 v7, v3, v13
	v_mul_f32_e32 v3, 0x3fb8aa3b, v12
	v_pk_mul_f16 v1, v1, v13
	v_pk_mul_f16 v6, v4, v13
	v_pk_mul_f16 v16, v16, v13
	v_pk_mul_f16 v5, v5, v13
	v_pk_mul_f16 v28, v28, v13
	v_pk_mul_f16 v4, v8, v13
	v_pk_mul_f16 v27, v27, v13
	v_pk_mul_f16 v8, v9, v13
	v_pk_mul_f16 v26, v26, v13
	v_pk_mul_f16 v9, v10, v13
	v_pk_mul_f16 v14, v14, v13
	v_fma_f32 v10, v12, s36, -v3
	v_rndne_f32_e32 v13, v3
	v_fmac_f32_e32 v10, 0x32a5705f, v12
	v_sub_f32_e32 v3, v3, v13
	v_add_f32_e32 v3, v3, v10
	v_exp_f32_e32 v3, v3
	v_cvt_i32_f32_e32 v10, v13
	v_ldexp_f32 v3, v3, v10
	v_cndmask_b32_e32 v3, 0, v3, vcc
	v_cmp_nlt_f32_e32 vcc, s49, v12
	s_nop 1
	v_cndmask_b32_e32 v3, v186, v3, vcc
	v_fmac_f32_e32 v3, v31, v11
	v_mov_b64_e32 v[30:31], v[2:3]
	s_branch .LBB14_109
.LBB14_108:                             ;   in Loop: Header=BB14_11 Depth=1
	v_cvt_f16_f32_e32 v2, v2
	v_cvt_f16_f32_e32 v3, v3
	;; [unrolled: 1-line block ×12, first 2 shown]
	v_perm_b32 v4, v7, v4, s59
	v_perm_b32 v5, v6, v5, s59
	;; [unrolled: 1-line block ×6, first 2 shown]
.LBB14_109:                             ;   in Loop: Header=BB14_11 Depth=1
	v_readlane_b32 s68, v254, 50
	v_readlane_b32 s88, v255, 5
	;; [unrolled: 1-line block ×17, first 2 shown]
	s_mov_b32 s92, s46
	v_readlane_b32 s89, v255, 6
	v_readlane_b32 s90, v255, 7
	;; [unrolled: 1-line block ×6, first 2 shown]
	s_barrier
	s_mov_b64 s[2:3], exec
	v_readlane_b32 s40, v254, 46
	v_readlane_b32 s41, v254, 47
	s_and_b64 s[40:41], s[2:3], s[40:41]
	v_readlane_b32 s84, v255, 2
	v_readlane_b32 s86, v255, 4
	;; [unrolled: 1-line block ×3, first 2 shown]
	s_mov_b64 exec, s[40:41]
	s_cbranch_execz .LBB14_111
; %bb.110:                              ;   in Loop: Header=BB14_11 Depth=1
	scratch_load_dwordx2 v[2:3], off, off offset:16 ; 8-byte Folded Reload
	s_waitcnt vmcnt(0)
	global_store_dwordx2 v[2:3], v[30:31], off
.LBB14_111:                             ;   in Loop: Header=BB14_11 Depth=1
	s_or_b64 exec, exec, s[2:3]
	ds_write2_b32 v163, v7, v1 offset1:1
	ds_write2_b32 v163, v6, v16 offset0:8 offset1:9
	ds_write2_b32 v163, v5, v28 offset0:16 offset1:17
	;; [unrolled: 1-line block ×5, first 2 shown]
	v_mov_b32_e32 v1, 50
	s_waitcnt lgkmcnt(0)
	s_barrier
	s_and_saveexec_b64 s[2:3], s[38:39]
	s_cbranch_execz .LBB14_113
; %bb.112:                              ;   in Loop: Header=BB14_11 Depth=1
	v_add_u32_e32 v1, v178, v252
	ds_read_b32 v1, v1
	v_mad_u64_u32 v[4:5], s[38:39], v177, s60, v[34:35]
	v_ashrrev_i32_e32 v5, 31, v4
	v_lshl_add_u64 v[4:5], v[4:5], 3, v[76:77]
	s_waitcnt lgkmcnt(0)
	v_cvt_f32_f16_e32 v2, v1
	v_cvt_f32_f16_sdwa v3, v1 dst_sel:DWORD dst_unused:UNUSED_PAD src0_sel:WORD_1
	v_mov_b32_e32 v1, 0
	v_pk_add_f32 v[2:3], v[2:3], 0 op_sel_hi:[1,0]
	global_store_dwordx2 v[4:5], v[2:3], off
.LBB14_113:                             ;   in Loop: Header=BB14_11 Depth=1
	s_or_b64 exec, exec, s[2:3]
	v_cmp_gt_i32_e32 vcc, 50, v1
	s_mov_b64 s[38:39], -1
	s_and_saveexec_b64 s[2:3], vcc
; %bb.114:                              ;   in Loop: Header=BB14_11 Depth=1
	v_cmp_eq_u32_e32 vcc, 0, v1
	s_orn2_b64 s[38:39], vcc, exec
; %bb.115:                              ;   in Loop: Header=BB14_11 Depth=1
	s_or_b64 exec, exec, s[2:3]
	s_and_saveexec_b64 s[2:3], s[38:39]
	s_cbranch_execz .LBB14_148
; %bb.116:                              ;   in Loop: Header=BB14_11 Depth=1
	v_mov_b32_e32 v1, 50
	s_mov_b64 s[38:39], exec
	v_readlane_b32 s40, v255, 12
	v_readlane_b32 s41, v255, 13
	s_and_b64 s[40:41], s[38:39], s[40:41]
	s_mov_b64 exec, s[40:41]
	s_cbranch_execz .LBB14_118
; %bb.117:                              ;   in Loop: Header=BB14_11 Depth=1
	v_add_u32_e32 v1, v178, v252
	ds_read_b32 v1, v1 offset:1664
	v_mad_u64_u32 v[4:5], s[40:41], v193, s60, v[34:35]
	v_ashrrev_i32_e32 v5, 31, v4
	v_lshl_add_u64 v[4:5], v[4:5], 3, v[76:77]
	s_waitcnt lgkmcnt(0)
	v_cvt_f32_f16_e32 v2, v1
	v_cvt_f32_f16_sdwa v3, v1 dst_sel:DWORD dst_unused:UNUSED_PAD src0_sel:WORD_1
	v_mov_b32_e32 v1, 0
	v_pk_add_f32 v[2:3], v[2:3], 0 op_sel_hi:[1,0]
	global_store_dwordx2 v[4:5], v[2:3], off
.LBB14_118:                             ;   in Loop: Header=BB14_11 Depth=1
	s_or_b64 exec, exec, s[38:39]
	v_cmp_gt_i32_e32 vcc, 50, v1
	s_mov_b64 s[38:39], -1
	s_and_saveexec_b64 s[40:41], vcc
; %bb.119:                              ;   in Loop: Header=BB14_11 Depth=1
	v_cmp_eq_u32_e32 vcc, 0, v1
	s_orn2_b64 s[38:39], vcc, exec
; %bb.120:                              ;   in Loop: Header=BB14_11 Depth=1
	s_or_b64 exec, exec, s[40:41]
	s_and_b64 exec, exec, s[38:39]
	s_cbranch_execz .LBB14_148
; %bb.121:                              ;   in Loop: Header=BB14_11 Depth=1
	v_mov_b32_e32 v1, 50
	s_mov_b64 s[38:39], exec
	v_readlane_b32 s40, v255, 14
	v_readlane_b32 s41, v255, 15
	s_and_b64 s[40:41], s[38:39], s[40:41]
	s_mov_b64 exec, s[40:41]
	s_cbranch_execz .LBB14_123
; %bb.122:                              ;   in Loop: Header=BB14_11 Depth=1
	scratch_load_dword v1, off, off offset:96 ; 4-byte Folded Reload
	v_mad_u64_u32 v[4:5], s[40:41], v175, s60, v[34:35]
	v_ashrrev_i32_e32 v5, 31, v4
	v_lshl_add_u64 v[4:5], v[4:5], 3, v[76:77]
	s_waitcnt vmcnt(0)
	ds_read_b32 v1, v1
	s_waitcnt lgkmcnt(0)
	v_cvt_f32_f16_e32 v2, v1
	v_cvt_f32_f16_sdwa v3, v1 dst_sel:DWORD dst_unused:UNUSED_PAD src0_sel:WORD_1
	v_mov_b32_e32 v1, 0
	v_pk_add_f32 v[2:3], v[2:3], 0 op_sel_hi:[1,0]
	global_store_dwordx2 v[4:5], v[2:3], off
.LBB14_123:                             ;   in Loop: Header=BB14_11 Depth=1
	s_or_b64 exec, exec, s[38:39]
	v_cmp_gt_i32_e32 vcc, 50, v1
	s_mov_b64 s[38:39], -1
	s_and_saveexec_b64 s[40:41], vcc
; %bb.124:                              ;   in Loop: Header=BB14_11 Depth=1
	v_cmp_eq_u32_e32 vcc, 0, v1
	s_orn2_b64 s[38:39], vcc, exec
; %bb.125:                              ;   in Loop: Header=BB14_11 Depth=1
	s_or_b64 exec, exec, s[40:41]
	s_and_b64 exec, exec, s[38:39]
	s_cbranch_execz .LBB14_148
; %bb.126:                              ;   in Loop: Header=BB14_11 Depth=1
	v_mov_b32_e32 v1, 50
	s_mov_b64 s[38:39], exec
	v_readlane_b32 s40, v255, 16
	v_readlane_b32 s41, v255, 17
	s_and_b64 s[40:41], s[38:39], s[40:41]
	s_mov_b64 exec, s[40:41]
	s_cbranch_execz .LBB14_128
; %bb.127:                              ;   in Loop: Header=BB14_11 Depth=1
	v_add_u32_e32 v1, v178, v252
	ds_read_b32 v1, v1 offset:4992
	v_mad_u64_u32 v[4:5], s[40:41], v39, s60, v[34:35]
	v_ashrrev_i32_e32 v5, 31, v4
	v_lshl_add_u64 v[4:5], v[4:5], 3, v[76:77]
	s_waitcnt lgkmcnt(0)
	v_cvt_f32_f16_e32 v2, v1
	v_cvt_f32_f16_sdwa v3, v1 dst_sel:DWORD dst_unused:UNUSED_PAD src0_sel:WORD_1
	v_mov_b32_e32 v1, 0
	v_pk_add_f32 v[2:3], v[2:3], 0 op_sel_hi:[1,0]
	global_store_dwordx2 v[4:5], v[2:3], off
.LBB14_128:                             ;   in Loop: Header=BB14_11 Depth=1
	s_or_b64 exec, exec, s[38:39]
	v_cmp_gt_i32_e32 vcc, 50, v1
	s_mov_b64 s[38:39], -1
	s_and_saveexec_b64 s[40:41], vcc
; %bb.129:                              ;   in Loop: Header=BB14_11 Depth=1
	v_cmp_eq_u32_e32 vcc, 0, v1
	s_orn2_b64 s[38:39], vcc, exec
; %bb.130:                              ;   in Loop: Header=BB14_11 Depth=1
	s_or_b64 exec, exec, s[40:41]
	s_and_b64 exec, exec, s[38:39]
	s_cbranch_execz .LBB14_148
; %bb.131:                              ;   in Loop: Header=BB14_11 Depth=1
	v_mov_b32_e32 v1, 50
	s_mov_b64 s[38:39], exec
	v_readlane_b32 s40, v255, 18
	v_readlane_b32 s41, v255, 19
	s_and_b64 s[40:41], s[38:39], s[40:41]
	s_mov_b64 exec, s[40:41]
	s_cbranch_execz .LBB14_133
; %bb.132:                              ;   in Loop: Header=BB14_11 Depth=1
	scratch_load_dword v1, off, off offset:136 ; 4-byte Folded Reload
	v_mad_u64_u32 v[4:5], s[40:41], v205, s60, v[34:35]
	v_ashrrev_i32_e32 v5, 31, v4
	v_lshl_add_u64 v[4:5], v[4:5], 3, v[76:77]
	s_waitcnt vmcnt(0)
	ds_read_b32 v1, v1
	s_waitcnt lgkmcnt(0)
	v_cvt_f32_f16_e32 v2, v1
	v_cvt_f32_f16_sdwa v3, v1 dst_sel:DWORD dst_unused:UNUSED_PAD src0_sel:WORD_1
	v_mov_b32_e32 v1, 0
	v_pk_add_f32 v[2:3], v[2:3], 0 op_sel_hi:[1,0]
	global_store_dwordx2 v[4:5], v[2:3], off
.LBB14_133:                             ;   in Loop: Header=BB14_11 Depth=1
	s_or_b64 exec, exec, s[38:39]
	v_cmp_gt_i32_e32 vcc, 50, v1
	s_mov_b64 s[38:39], -1
	s_and_saveexec_b64 s[40:41], vcc
; %bb.134:                              ;   in Loop: Header=BB14_11 Depth=1
	v_cmp_eq_u32_e32 vcc, 0, v1
	s_orn2_b64 s[38:39], vcc, exec
; %bb.135:                              ;   in Loop: Header=BB14_11 Depth=1
	s_or_b64 exec, exec, s[40:41]
	s_and_b64 exec, exec, s[38:39]
	s_cbranch_execz .LBB14_148
; %bb.136:                              ;   in Loop: Header=BB14_11 Depth=1
	v_mov_b32_e32 v1, 50
	s_mov_b64 s[38:39], exec
	v_readlane_b32 s40, v255, 20
	v_readlane_b32 s41, v255, 21
	s_and_b64 s[40:41], s[38:39], s[40:41]
	s_mov_b64 exec, s[40:41]
	s_cbranch_execz .LBB14_138
; %bb.137:                              ;   in Loop: Header=BB14_11 Depth=1
	v_add_u32_e32 v1, v178, v252
	ds_read_b32 v1, v1 offset:8320
	v_mad_u64_u32 v[4:5], s[40:41], v201, s60, v[34:35]
	v_ashrrev_i32_e32 v5, 31, v4
	v_lshl_add_u64 v[4:5], v[4:5], 3, v[76:77]
	s_waitcnt lgkmcnt(0)
	v_cvt_f32_f16_e32 v2, v1
	v_cvt_f32_f16_sdwa v3, v1 dst_sel:DWORD dst_unused:UNUSED_PAD src0_sel:WORD_1
	v_mov_b32_e32 v1, 0
	v_pk_add_f32 v[2:3], v[2:3], 0 op_sel_hi:[1,0]
	global_store_dwordx2 v[4:5], v[2:3], off
.LBB14_138:                             ;   in Loop: Header=BB14_11 Depth=1
	s_or_b64 exec, exec, s[38:39]
	v_cmp_gt_i32_e32 vcc, 50, v1
	s_mov_b64 s[38:39], -1
	s_and_saveexec_b64 s[40:41], vcc
; %bb.139:                              ;   in Loop: Header=BB14_11 Depth=1
	v_cmp_eq_u32_e32 vcc, 0, v1
	s_orn2_b64 s[38:39], vcc, exec
; %bb.140:                              ;   in Loop: Header=BB14_11 Depth=1
	s_or_b64 exec, exec, s[40:41]
	s_and_b64 exec, exec, s[38:39]
	s_cbranch_execz .LBB14_148
; %bb.141:                              ;   in Loop: Header=BB14_11 Depth=1
	v_mov_b32_e32 v1, 50
	s_mov_b64 s[38:39], exec
	v_readlane_b32 s40, v255, 22
	v_readlane_b32 s41, v255, 23
	s_and_b64 s[40:41], s[38:39], s[40:41]
	s_mov_b64 exec, s[40:41]
	s_cbranch_execz .LBB14_143
; %bb.142:                              ;   in Loop: Header=BB14_11 Depth=1
	scratch_load_dword v1, off, off offset:152 ; 4-byte Folded Reload
	v_mad_u64_u32 v[4:5], s[40:41], v199, s60, v[34:35]
	v_ashrrev_i32_e32 v5, 31, v4
	v_lshl_add_u64 v[4:5], v[4:5], 3, v[76:77]
	s_waitcnt vmcnt(0)
	ds_read_b32 v1, v1
	s_waitcnt lgkmcnt(0)
	v_cvt_f32_f16_e32 v2, v1
	v_cvt_f32_f16_sdwa v3, v1 dst_sel:DWORD dst_unused:UNUSED_PAD src0_sel:WORD_1
	v_mov_b32_e32 v1, 0
	v_pk_add_f32 v[2:3], v[2:3], 0 op_sel_hi:[1,0]
	global_store_dwordx2 v[4:5], v[2:3], off
.LBB14_143:                             ;   in Loop: Header=BB14_11 Depth=1
	s_or_b64 exec, exec, s[38:39]
	v_cmp_gt_i32_e32 vcc, 50, v1
	s_mov_b64 s[38:39], -1
	s_and_saveexec_b64 s[40:41], vcc
; %bb.144:                              ;   in Loop: Header=BB14_11 Depth=1
	v_cmp_eq_u32_e32 vcc, 0, v1
	s_orn2_b64 s[38:39], vcc, exec
; %bb.145:                              ;   in Loop: Header=BB14_11 Depth=1
	s_or_b64 exec, exec, s[40:41]
	s_and_b64 exec, exec, s[38:39]
	s_cbranch_execz .LBB14_148
; %bb.146:                              ;   in Loop: Header=BB14_11 Depth=1
	v_readlane_b32 s38, v255, 24
	v_readlane_b32 s39, v255, 25
	s_and_b64 exec, exec, s[38:39]
	s_cbranch_execz .LBB14_148
; %bb.147:                              ;   in Loop: Header=BB14_11 Depth=1
	v_add_u32_e32 v1, v178, v252
	ds_read_b32 v1, v1 offset:11648
	v_mad_u64_u32 v[4:5], s[38:39], v183, s60, v[34:35]
	v_ashrrev_i32_e32 v5, 31, v4
	v_lshl_add_u64 v[4:5], v[4:5], 3, v[76:77]
	s_waitcnt lgkmcnt(0)
	v_cvt_f32_f16_e32 v2, v1
	v_cvt_f32_f16_sdwa v3, v1 dst_sel:DWORD dst_unused:UNUSED_PAD src0_sel:WORD_1
	v_pk_add_f32 v[2:3], v[2:3], 0 op_sel_hi:[1,0]
	global_store_dwordx2 v[4:5], v[2:3], off
.LBB14_148:                             ;   in Loop: Header=BB14_11 Depth=1
	s_or_b64 exec, exec, s[2:3]
	v_mov_b32_e32 v1, 50
	s_mov_b64 s[2:3], exec
	v_readlane_b32 s38, v255, 26
	v_readlane_b32 s39, v255, 27
	s_and_b64 s[38:39], s[2:3], s[38:39]
	s_mov_b64 exec, s[38:39]
	s_cbranch_execz .LBB14_150
; %bb.149:                              ;   in Loop: Header=BB14_11 Depth=1
	v_add_u32_e32 v1, v195, v189
	ds_read_b32 v1, v1 offset:128
	v_mul_lo_u32 v2, v194, s60
	v_ashrrev_i32_e32 v3, 31, v2
	v_lshl_add_u64 v[2:3], v[2:3], 0, v[36:37]
	v_lshl_add_u64 v[2:3], v[2:3], 3, v[76:77]
	s_waitcnt lgkmcnt(0)
	v_cvt_f32_f16_e32 v4, v1
	v_cvt_f32_f16_sdwa v5, v1 dst_sel:DWORD dst_unused:UNUSED_PAD src0_sel:WORD_1
	v_mov_b32_e32 v1, 0
	v_pk_add_f32 v[4:5], v[4:5], 0 op_sel_hi:[1,0]
	global_store_dwordx2 v[2:3], v[4:5], off offset:256
.LBB14_150:                             ;   in Loop: Header=BB14_11 Depth=1
	s_or_b64 exec, exec, s[2:3]
	v_cmp_gt_i32_e32 vcc, 50, v1
	s_mov_b64 s[46:47], -1
	s_and_saveexec_b64 s[2:3], vcc
; %bb.151:                              ;   in Loop: Header=BB14_11 Depth=1
	v_cmp_eq_u32_e32 vcc, 0, v1
	s_orn2_b64 s[46:47], vcc, exec
; %bb.152:                              ;   in Loop: Header=BB14_11 Depth=1
	s_or_b64 exec, exec, s[2:3]
	s_mov_b64 s[2:3], 0
	s_mov_b64 s[40:41], 0
                                        ; implicit-def: $vgpr2_vgpr3
	s_and_saveexec_b64 s[38:39], s[46:47]
	s_cbranch_execz .LBB14_168
; %bb.153:                              ;   in Loop: Header=BB14_11 Depth=1
	v_mov_b32_e32 v1, 50
	s_mov_b64 s[40:41], exec
	v_readlane_b32 s46, v255, 28
	v_readlane_b32 s47, v255, 29
	s_and_b64 s[46:47], s[40:41], s[46:47]
	s_mov_b64 exec, s[46:47]
	s_cbranch_execz .LBB14_155
; %bb.154:                              ;   in Loop: Header=BB14_11 Depth=1
	scratch_load_dword v1, off, off offset:80 ; 4-byte Folded Reload
	v_mul_lo_u32 v2, v181, s60
	v_ashrrev_i32_e32 v3, 31, v2
	v_lshl_add_u64 v[2:3], v[2:3], 0, v[36:37]
	v_lshl_add_u64 v[2:3], v[2:3], 3, v[76:77]
	s_waitcnt vmcnt(0)
	ds_read_b32 v1, v1 offset:128
	s_waitcnt lgkmcnt(0)
	v_cvt_f32_f16_e32 v4, v1
	v_cvt_f32_f16_sdwa v5, v1 dst_sel:DWORD dst_unused:UNUSED_PAD src0_sel:WORD_1
	v_mov_b32_e32 v1, 0
	v_pk_add_f32 v[4:5], v[4:5], 0 op_sel_hi:[1,0]
	global_store_dwordx2 v[2:3], v[4:5], off offset:256
.LBB14_155:                             ;   in Loop: Header=BB14_11 Depth=1
	s_or_b64 exec, exec, s[40:41]
	v_cmp_gt_i32_e32 vcc, 50, v1
	s_mov_b64 s[62:63], -1
	s_and_saveexec_b64 s[40:41], vcc
; %bb.156:                              ;   in Loop: Header=BB14_11 Depth=1
	v_cmp_eq_u32_e32 vcc, 0, v1
	s_orn2_b64 s[62:63], vcc, exec
; %bb.157:                              ;   in Loop: Header=BB14_11 Depth=1
	s_or_b64 exec, exec, s[40:41]
	s_mov_b64 s[46:47], 0
                                        ; implicit-def: $vgpr2_vgpr3
	s_and_saveexec_b64 s[40:41], s[62:63]
	s_cbranch_execz .LBB14_167
; %bb.158:                              ;   in Loop: Header=BB14_11 Depth=1
	v_mov_b32_e32 v1, 50
	s_mov_b64 s[46:47], exec
	v_readlane_b32 s62, v255, 30
	v_readlane_b32 s63, v255, 31
	s_and_b64 s[62:63], s[46:47], s[62:63]
	s_mov_b64 exec, s[62:63]
	s_cbranch_execz .LBB14_160
; %bb.159:                              ;   in Loop: Header=BB14_11 Depth=1
	scratch_load_dword v1, off, off offset:100 ; 4-byte Folded Reload
	v_mul_lo_u32 v2, v176, s60
	v_ashrrev_i32_e32 v3, 31, v2
	v_lshl_add_u64 v[2:3], v[2:3], 0, v[36:37]
	v_lshl_add_u64 v[2:3], v[2:3], 3, v[76:77]
	s_waitcnt vmcnt(0)
	ds_read_b32 v1, v1 offset:128
	s_waitcnt lgkmcnt(0)
	v_cvt_f32_f16_e32 v4, v1
	v_cvt_f32_f16_sdwa v5, v1 dst_sel:DWORD dst_unused:UNUSED_PAD src0_sel:WORD_1
	v_mov_b32_e32 v1, 0
	v_pk_add_f32 v[4:5], v[4:5], 0 op_sel_hi:[1,0]
	global_store_dwordx2 v[2:3], v[4:5], off offset:256
.LBB14_160:                             ;   in Loop: Header=BB14_11 Depth=1
	s_or_b64 exec, exec, s[46:47]
	v_cmp_gt_i32_e32 vcc, 50, v1
	s_mov_b64 s[64:65], -1
	s_and_saveexec_b64 s[46:47], vcc
; %bb.161:                              ;   in Loop: Header=BB14_11 Depth=1
	v_cmp_eq_u32_e32 vcc, 0, v1
	s_orn2_b64 s[64:65], vcc, exec
; %bb.162:                              ;   in Loop: Header=BB14_11 Depth=1
	s_or_b64 exec, exec, s[46:47]
	s_mov_b64 s[62:63], 0
                                        ; implicit-def: $vgpr2_vgpr3
	s_and_saveexec_b64 s[46:47], s[64:65]
	s_cbranch_execz .LBB14_166
; %bb.163:                              ;   in Loop: Header=BB14_11 Depth=1
                                        ; implicit-def: $vgpr2_vgpr3
	s_mov_b64 s[64:65], exec
	v_readlane_b32 s66, v255, 32
	v_readlane_b32 s67, v255, 33
	s_and_b64 s[66:67], s[64:65], s[66:67]
	s_xor_b64 s[64:65], s[66:67], s[64:65]
	s_mov_b64 exec, s[66:67]
	s_cbranch_execz .LBB14_165
; %bb.164:                              ;   in Loop: Header=BB14_11 Depth=1
	scratch_load_dword v1, off, off offset:120 ; 4-byte Folded Reload
	s_mov_b64 s[62:63], exec
	s_waitcnt vmcnt(0)
	ds_read_b32 v1, v1 offset:128
	s_waitcnt lgkmcnt(0)
	v_cvt_f32_f16_e32 v2, v1
	v_cvt_f32_f16_sdwa v3, v1 dst_sel:DWORD dst_unused:UNUSED_PAD src0_sel:WORD_1
	v_pk_add_f32 v[2:3], v[2:3], 0 op_sel_hi:[1,0]
.LBB14_165:                             ;   in Loop: Header=BB14_11 Depth=1
	s_or_b64 exec, exec, s[64:65]
	s_and_b64 s[62:63], s[62:63], exec
.LBB14_166:                             ;   in Loop: Header=BB14_11 Depth=1
	s_or_b64 exec, exec, s[46:47]
	s_and_b64 s[46:47], s[62:63], exec
.LBB14_167:                             ;   in Loop: Header=BB14_11 Depth=1
	s_or_b64 exec, exec, s[40:41]
	s_and_b64 s[40:41], s[46:47], exec
.LBB14_168:                             ;   in Loop: Header=BB14_11 Depth=1
	s_or_b64 exec, exec, s[38:39]
	s_and_b64 vcc, exec, s[2:3]
	s_cbranch_vccz .LBB14_317
.LBB14_169:                             ;   in Loop: Header=BB14_11 Depth=1
	v_cmp_gt_i32_e64 s[2:3], s48, v177
	v_cmp_le_i32_e32 vcc, s48, v177
	s_and_saveexec_b64 s[38:39], vcc
	s_xor_b64 s[38:39], exec, s[38:39]
; %bb.170:                              ;   in Loop: Header=BB14_11 Depth=1
	v_add_u32_e32 v1, v178, v252
	ds_write_b32 v1, v41
; %bb.171:                              ;   in Loop: Header=BB14_11 Depth=1
	s_andn2_saveexec_b64 s[38:39], s[38:39]
	s_cbranch_execz .LBB14_173
; %bb.172:                              ;   in Loop: Header=BB14_11 Depth=1
	v_mad_u64_u32 v[2:3], s[46:47], v177, s86, v[34:35]
	v_ashrrev_i32_e32 v3, 31, v2
	v_lshl_add_u64 v[2:3], v[2:3], 3, v[96:97]
	global_load_dwordx2 v[2:3], v[2:3], off
	s_waitcnt vmcnt(0)
	v_cvt_pk_f16_f32 v1, v2, v3
	v_pk_mul_f16 v1, v1, v208
	v_add_u32_e32 v2, v178, v252
	ds_write_b32 v2, v1
.LBB14_173:                             ;   in Loop: Header=BB14_11 Depth=1
	s_or_b64 exec, exec, s[38:39]
	v_add_u32_e32 v205, v253, v206
	v_cmp_gt_i32_e64 s[38:39], s48, v205
	v_cmp_le_i32_e32 vcc, s48, v205
	s_nop 0
	v_writelane_b32 v255, s38, 12
	s_nop 1
	v_writelane_b32 v255, s39, 13
	s_and_saveexec_b64 s[38:39], vcc
	s_xor_b64 s[38:39], exec, s[38:39]
; %bb.174:                              ;   in Loop: Header=BB14_11 Depth=1
	v_add_u32_e32 v1, v178, v252
	ds_write_b32 v1, v41 offset:1664
; %bb.175:                              ;   in Loop: Header=BB14_11 Depth=1
	s_andn2_saveexec_b64 s[38:39], s[38:39]
	s_cbranch_execz .LBB14_177
; %bb.176:                              ;   in Loop: Header=BB14_11 Depth=1
	v_mad_u64_u32 v[2:3], s[46:47], v205, s86, v[34:35]
	v_ashrrev_i32_e32 v3, 31, v2
	v_lshl_add_u64 v[2:3], v[2:3], 3, v[96:97]
	global_load_dwordx2 v[2:3], v[2:3], off
	s_waitcnt vmcnt(0)
	v_cvt_pk_f16_f32 v1, v2, v3
	v_pk_mul_f16 v1, v1, v208
	v_add_u32_e32 v2, v178, v252
	ds_write_b32 v2, v1 offset:1664
.LBB14_177:                             ;   in Loop: Header=BB14_11 Depth=1
	s_or_b64 exec, exec, s[38:39]
	v_add_u32_e32 v201, v166, v206
	v_cmp_gt_i32_e64 s[38:39], s48, v201
	v_cmp_le_i32_e32 vcc, s48, v201
	s_nop 0
	v_writelane_b32 v255, s38, 14
	s_nop 1
	v_writelane_b32 v255, s39, 15
	s_and_saveexec_b64 s[38:39], vcc
	s_xor_b64 s[38:39], exec, s[38:39]
; %bb.178:                              ;   in Loop: Header=BB14_11 Depth=1
	v_add_u32_e32 v1, v178, v252
	ds_write_b32 v1, v41 offset:3328
; %bb.179:                              ;   in Loop: Header=BB14_11 Depth=1
	s_andn2_saveexec_b64 s[38:39], s[38:39]
	s_cbranch_execz .LBB14_181
; %bb.180:                              ;   in Loop: Header=BB14_11 Depth=1
	v_mad_u64_u32 v[2:3], s[46:47], v201, s86, v[34:35]
	v_ashrrev_i32_e32 v3, 31, v2
	v_lshl_add_u64 v[2:3], v[2:3], 3, v[96:97]
	global_load_dwordx2 v[2:3], v[2:3], off
	s_waitcnt vmcnt(0)
	v_cvt_pk_f16_f32 v1, v2, v3
	v_pk_mul_f16 v1, v1, v208
	v_add_u32_e32 v2, v178, v252
	ds_write_b32 v2, v1 offset:3328
.LBB14_181:                             ;   in Loop: Header=BB14_11 Depth=1
	;; [unrolled: 27-line block ×7, first 2 shown]
	s_or_b64 exec, exec, s[38:39]
	v_add_u32_e32 v176, v47, v206
	v_cmp_gt_i32_e64 s[38:39], s48, v176
	v_cmp_le_i32_e32 vcc, s48, v176
	s_nop 0
	v_writelane_b32 v255, s38, 26
	s_nop 1
	v_writelane_b32 v255, s39, 27
	s_and_saveexec_b64 s[46:47], vcc
	s_xor_b64 s[46:47], exec, s[46:47]
; %bb.202:                              ;   in Loop: Header=BB14_11 Depth=1
	ds_write_b32 v197, v41 offset:128
; %bb.203:                              ;   in Loop: Header=BB14_11 Depth=1
	s_andn2_saveexec_b64 s[46:47], s[46:47]
	s_cbranch_execz .LBB14_205
; %bb.204:                              ;   in Loop: Header=BB14_11 Depth=1
	v_mul_lo_u32 v2, v176, s86
	v_ashrrev_i32_e32 v3, 31, v2
	v_lshl_add_u64 v[2:3], v[2:3], 0, v[36:37]
	v_lshl_add_u64 v[2:3], v[2:3], 3, v[96:97]
	global_load_dwordx2 v[2:3], v[2:3], off offset:256
	s_waitcnt vmcnt(0)
	v_cvt_pk_f16_f32 v1, v2, v3
	v_pk_mul_f16 v1, v1, v208
	v_add_u32_e32 v2, v195, v189
	ds_write_b32 v2, v1 offset:128
.LBB14_205:                             ;   in Loop: Header=BB14_11 Depth=1
	s_or_b64 exec, exec, s[46:47]
	v_add_u32_e32 v175, v172, v206
	v_cmp_gt_i32_e64 s[38:39], s48, v175
	v_cmp_le_i32_e32 vcc, s48, v175
	s_nop 0
	v_writelane_b32 v255, s38, 28
	s_nop 1
	v_writelane_b32 v255, s39, 29
	s_and_saveexec_b64 s[46:47], vcc
	s_xor_b64 s[46:47], exec, s[46:47]
; %bb.206:                              ;   in Loop: Header=BB14_11 Depth=1
	v_add_u32_e32 v1, 0xd00, v197
	ds_write_b32 v1, v41 offset:128
; %bb.207:                              ;   in Loop: Header=BB14_11 Depth=1
	s_andn2_saveexec_b64 s[46:47], s[46:47]
	s_cbranch_execz .LBB14_209
; %bb.208:                              ;   in Loop: Header=BB14_11 Depth=1
	v_mul_lo_u32 v2, v175, s86
	v_ashrrev_i32_e32 v3, 31, v2
	v_lshl_add_u64 v[2:3], v[2:3], 0, v[36:37]
	v_lshl_add_u64 v[2:3], v[2:3], 3, v[96:97]
	global_load_dwordx2 v[2:3], v[2:3], off offset:256
	s_waitcnt vmcnt(0)
	v_cvt_pk_f16_f32 v1, v2, v3
	v_pk_mul_f16 v1, v1, v208
	v_add_u32_e32 v2, v195, v189
	ds_write_b32 v2, v1 offset:3456
.LBB14_209:                             ;   in Loop: Header=BB14_11 Depth=1
	s_or_b64 exec, exec, s[46:47]
	v_add_u32_e32 v39, v173, v206
	v_cmp_gt_i32_e64 s[38:39], s48, v39
	v_cmp_le_i32_e32 vcc, s48, v39
	s_nop 0
	v_writelane_b32 v255, s38, 30
	s_nop 1
	v_writelane_b32 v255, s39, 31
	s_and_saveexec_b64 s[46:47], vcc
	s_xor_b64 s[46:47], exec, s[46:47]
; %bb.210:                              ;   in Loop: Header=BB14_11 Depth=1
	v_add_u32_e32 v1, 0x1a00, v197
	ds_write_b32 v1, v41 offset:128
; %bb.211:                              ;   in Loop: Header=BB14_11 Depth=1
	s_andn2_saveexec_b64 s[46:47], s[46:47]
	s_cbranch_execz .LBB14_213
; %bb.212:                              ;   in Loop: Header=BB14_11 Depth=1
	v_mul_lo_u32 v2, v39, s86
	v_ashrrev_i32_e32 v3, 31, v2
	v_lshl_add_u64 v[2:3], v[2:3], 0, v[36:37]
	v_lshl_add_u64 v[2:3], v[2:3], 3, v[96:97]
	global_load_dwordx2 v[2:3], v[2:3], off offset:256
	s_waitcnt vmcnt(0)
	v_cvt_pk_f16_f32 v1, v2, v3
	v_pk_mul_f16 v1, v1, v208
	v_add_u32_e32 v2, v195, v189
	ds_write_b32 v2, v1 offset:6784
.LBB14_213:                             ;   in Loop: Header=BB14_11 Depth=1
	s_or_b64 exec, exec, s[46:47]
	v_add_u32_e32 v200, v174, v206
	v_cmp_gt_i32_e64 s[38:39], s48, v200
	v_cmp_le_i32_e32 vcc, s48, v200
	s_nop 0
	v_writelane_b32 v255, s38, 32
	s_nop 1
	v_writelane_b32 v255, s39, 33
	s_and_saveexec_b64 s[46:47], vcc
	s_xor_b64 s[46:47], exec, s[46:47]
; %bb.214:                              ;   in Loop: Header=BB14_11 Depth=1
	v_add_u32_e32 v1, 0x2700, v197
	ds_write_b32 v1, v41 offset:128
                                        ; implicit-def: $vgpr96_vgpr97
; %bb.215:                              ;   in Loop: Header=BB14_11 Depth=1
	s_andn2_saveexec_b64 s[46:47], s[46:47]
	s_cbranch_execz .LBB14_217
; %bb.216:                              ;   in Loop: Header=BB14_11 Depth=1
	v_mul_lo_u32 v2, v200, s86
	v_ashrrev_i32_e32 v3, 31, v2
	v_lshl_add_u64 v[2:3], v[2:3], 0, v[36:37]
	v_lshl_add_u64 v[2:3], v[2:3], 3, v[96:97]
	global_load_dwordx2 v[2:3], v[2:3], off offset:256
	s_waitcnt vmcnt(0)
	v_cvt_pk_f16_f32 v1, v2, v3
	v_pk_mul_f16 v1, v1, v208
	v_add_u32_e32 v2, v195, v189
	ds_write_b32 v2, v1 offset:10112
.LBB14_217:                             ;   in Loop: Header=BB14_11 Depth=1
	s_or_b64 exec, exec, s[46:47]
	s_waitcnt lgkmcnt(0)
	s_barrier
	ds_read2_b64 v[10:13], v49 offset1:4
	ds_read2_b64 v[6:9], v49 offset0:8 offset1:12
	ds_read2_b64 v[2:5], v49 offset0:16 offset1:20
	s_cmp_lt_i32 s58, 2
	v_cmp_ne_u64_e64 s[62:63], 0, v[86:87]
	s_waitcnt lgkmcnt(0)
	s_barrier
	s_cbranch_scc1 .LBB14_232
; %bb.218:                              ;   in Loop: Header=BB14_11 Depth=1
	v_add_u32_e32 v1, v206, v144
	v_mul_hi_u32 v14, s42, v1
	v_add_u32_e32 v14, v1, v14
	v_lshrrev_b32_e32 v14, s43, v14
	v_mul_lo_u32 v14, v14, s48
	v_sub_u32_e32 v1, v1, v14
	v_add_u32_e32 v14, v206, v209
	v_mul_hi_u32 v15, s42, v14
	v_add_u32_e32 v15, v14, v15
	v_lshrrev_b32_e32 v15, s43, v15
	v_mul_lo_u32 v15, v15, s48
	v_sub_u32_e32 v14, v14, v15
	;; [unrolled: 6-line block ×5, first 2 shown]
	v_readlane_b32 s38, v254, 48
	v_add_u32_e32 v18, v206, v217
	v_mul_hi_u32 v19, s42, v18
	v_mad_i64_i32 v[104:105], s[46:47], s38, v16, v[86:87]
	v_mad_i64_i32 v[106:107], s[46:47], s38, v17, v[86:87]
	scratch_load_dwordx2 v[16:17], off, off offset:28 ; 8-byte Folded Reload
	v_mad_i64_i32 v[100:101], s[46:47], s38, v14, v[86:87]
	v_mad_i64_i32 v[102:103], s[46:47], s38, v15, v[86:87]
	v_lshl_add_u64 v[14:15], v[88:89], 0, v[90:91]
	v_add_u32_e32 v19, v18, v19
	v_lshrrev_b32_e32 v19, s43, v19
	v_mul_lo_u32 v19, v19, s48
	v_sub_u32_e32 v18, v18, v19
	v_add_u32_e32 v19, v206, v219
	v_mul_hi_u32 v20, s42, v19
	v_add_u32_e32 v20, v19, v20
	v_lshrrev_b32_e32 v20, s43, v20
	v_mul_lo_u32 v20, v20, s48
	v_sub_u32_e32 v19, v19, v20
	v_add_u32_e32 v20, v206, v221
	v_mul_hi_u32 v21, s42, v20
	v_add_u32_e32 v21, v20, v21
	v_lshrrev_b32_e32 v21, s43, v21
	v_mul_lo_u32 v21, v21, s48
	v_sub_u32_e32 v20, v20, v21
	v_add_u32_e32 v21, v206, v223
	v_mul_hi_u32 v22, s42, v21
	v_add_u32_e32 v22, v21, v22
	v_lshrrev_b32_e32 v22, s43, v22
	v_mul_lo_u32 v22, v22, s48
	v_sub_u32_e32 v21, v21, v22
	v_add_u32_e32 v22, v206, v225
	v_mul_hi_u32 v23, s42, v22
	v_add_u32_e32 v23, v22, v23
	v_lshrrev_b32_e32 v23, s43, v23
	v_mul_lo_u32 v23, v23, s48
	v_sub_u32_e32 v22, v22, v23
	v_add_u32_e32 v23, v206, v227
	v_mul_hi_u32 v24, s42, v23
	v_add_u32_e32 v24, v23, v24
	v_lshrrev_b32_e32 v24, s43, v24
	v_mul_lo_u32 v24, v24, s48
	v_sub_u32_e32 v23, v23, v24
	v_add_u32_e32 v24, v206, v229
	v_mul_hi_u32 v25, s42, v24
	v_add_u32_e32 v25, v24, v25
	v_lshrrev_b32_e32 v25, s43, v25
	v_mul_lo_u32 v25, v25, s48
	v_sub_u32_e32 v24, v24, v25
	v_add_u32_e32 v25, v206, v231
	v_mul_hi_u32 v26, s42, v25
	v_add_u32_e32 v26, v25, v26
	v_lshrrev_b32_e32 v26, s43, v26
	v_mul_lo_u32 v26, v26, s48
	v_sub_u32_e32 v25, v25, v26
	v_add_u32_e32 v26, v206, v233
	v_mul_hi_u32 v27, s42, v26
	v_add_u32_e32 v27, v26, v27
	v_lshrrev_b32_e32 v27, s43, v27
	v_mul_lo_u32 v27, v27, s48
	v_sub_u32_e32 v26, v26, v27
	v_add_u32_e32 v27, v206, v235
	v_mul_hi_u32 v28, s42, v27
	v_add_u32_e32 v28, v27, v28
	v_lshrrev_b32_e32 v28, s43, v28
	v_mul_lo_u32 v28, v28, s48
	v_sub_u32_e32 v27, v27, v28
	v_add_u32_e32 v28, v206, v237
	v_mul_hi_u32 v29, s42, v28
	v_add_u32_e32 v29, v28, v29
	v_lshrrev_b32_e32 v29, s43, v29
	v_mul_lo_u32 v29, v29, s48
	v_sub_u32_e32 v28, v28, v29
	v_and_b32_e32 v29, 64, v143
	v_add_u32_e32 v29, 64, v29
	v_xor_b32_e32 v30, 32, v143
	v_cmp_lt_i32_e32 vcc, v30, v29
	s_add_i32 s58, s58, -1
	v_mov_b32_e32 v96, v82
	v_cndmask_b32_e32 v30, v143, v30, vcc
	v_lshlrev_b32_e32 v40, 2, v30
	v_xor_b32_e32 v30, 16, v143
	v_cmp_lt_i32_e32 vcc, v30, v29
	s_waitcnt vmcnt(0)
	v_lshl_add_u64 v[88:89], v[16:17], 0, v[14:15]
	scratch_load_dwordx2 v[16:17], off, off offset:48 ; 8-byte Folded Reload
	v_cndmask_b32_e32 v29, v143, v30, vcc
	v_lshlrev_b32_e32 v192, 2, v29
	v_mov_b32_e32 v97, v82
	v_mad_i64_i32 v[98:99], s[46:47], s38, v1, v[86:87]
	v_mad_i64_i32 v[108:109], s[46:47], s38, v18, v[86:87]
	;; [unrolled: 1-line block ×12, first 2 shown]
	v_mov_b32_e32 v138, 0
	v_mov_b32_e32 v63, 0xfeffffff
	;; [unrolled: 1-line block ×3, first 2 shown]
	s_mov_b32 s60, s58
	v_mov_b32_e32 v139, 0
	v_mov_b32_e32 v141, 0
	v_mov_b32_e32 v140, 0
	v_mov_b32_e32 v204, 0
	v_mov_b32_e32 v198, 0
	v_mov_b32_e32 v180, 0
	v_mov_b32_e32 v142, 0
	v_mov_b32_e32 v137, 0
	v_mov_b32_e32 v136, 0
	v_mov_b32_e32 v135, 0
	v_mov_b32_e32 v134, 0
	v_readlane_b32 s39, v254, 49
	s_waitcnt vmcnt(0)
	v_lshl_add_u64 v[90:91], v[16:17], 0, v[14:15]
	scratch_load_dwordx2 v[16:17], off, off offset:56 ; 8-byte Folded Reload
	s_waitcnt vmcnt(0)
	v_lshl_add_u64 v[130:131], v[16:17], 0, v[14:15]
	scratch_load_dwordx2 v[16:17], off, off offset:36 ; 8-byte Folded Reload
	v_lshl_add_u64 v[14:15], v[92:93], 0, v[94:95]
	s_waitcnt vmcnt(0)
	v_lshl_add_u64 v[92:93], v[16:17], 0, v[14:15]
	scratch_load_dwordx2 v[16:17], off, off offset:64 ; 8-byte Folded Reload
	s_waitcnt vmcnt(0)
	v_lshl_add_u64 v[94:95], v[16:17], 0, v[14:15]
	scratch_load_dwordx2 v[16:17], off, off offset:72 ; 8-byte Folded Reload
	s_waitcnt vmcnt(0)
	v_lshl_add_u64 v[132:133], v[16:17], 0, v[14:15]
	v_cndmask_b32_e64 v1, 0, 1, s[62:63]
	v_cmp_ne_u32_e64 s[64:65], 1, v1
	s_andn2_b64 vcc, exec, s[62:63]
	s_cbranch_vccnz .LBB14_228
.LBB14_219:                             ;   in Loop: Header=BB14_11 Depth=1
	s_and_saveexec_b64 s[46:47], s[98:99]
	s_xor_b64 s[46:47], exec, s[46:47]
	s_cbranch_execz .LBB14_221
; %bb.220:                              ;   in Loop: Header=BB14_11 Depth=1
	ds_write_b16 v145, v41 offset:13312
	ds_write_b16 v210, v41 offset:13312
	;; [unrolled: 1-line block ×4, first 2 shown]
.LBB14_221:                             ;   in Loop: Header=BB14_11 Depth=1
	s_or_saveexec_b64 s[46:47], s[46:47]
	v_mov_b32_e32 v1, 0
	v_mov_b32_e32 v14, 0
	v_mov_b32_e32 v15, 0
	v_mov_b32_e32 v16, 0
	s_xor_b64 exec, exec, s[46:47]
	s_cbranch_execz .LBB14_223
; %bb.222:                              ;   in Loop: Header=BB14_11 Depth=1
	v_lshl_add_u64 v[14:15], v[98:99], 0, v[42:43]
	global_load_ushort v1, v[14:15], off
	v_lshl_add_u64 v[14:15], v[100:101], 0, v[42:43]
	global_load_ushort v16, v[14:15], off
	;; [unrolled: 2-line block ×4, first 2 shown]
	s_waitcnt vmcnt(3)
	ds_write_b16 v145, v1 offset:13312
	s_waitcnt vmcnt(2)
	ds_write_b16 v210, v16 offset:13312
	;; [unrolled: 2-line block ×4, first 2 shown]
	v_lshl_add_u64 v[14:15], v[106:107], 0, v[42:43]
	global_load_ushort v1, v[14:15], off
	v_lshl_add_u64 v[14:15], v[108:109], 0, v[42:43]
	v_lshl_add_u64 v[16:17], v[110:111], 0, v[42:43]
	global_load_ushort v14, v[14:15], off
	s_nop 0
	global_load_ushort v15, v[16:17], off
	v_lshl_add_u64 v[16:17], v[112:113], 0, v[42:43]
	global_load_ushort v16, v[16:17], off
.LBB14_223:                             ;   in Loop: Header=BB14_11 Depth=1
	s_or_b64 exec, exec, s[46:47]
	s_waitcnt vmcnt(3)
	ds_write_b16 v216, v1 offset:13312
	s_waitcnt vmcnt(2)
	ds_write_b16 v218, v14 offset:13312
	s_waitcnt vmcnt(1)
	ds_write_b16 v220, v15 offset:13312
	s_waitcnt vmcnt(0)
	ds_write_b16 v222, v16 offset:13312
	s_and_saveexec_b64 s[46:47], s[98:99]
	s_xor_b64 s[46:47], exec, s[46:47]
	s_cbranch_execz .LBB14_225
; %bb.224:                              ;   in Loop: Header=BB14_11 Depth=1
	ds_write_b16 v224, v41 offset:13312
	ds_write_b16 v226, v41 offset:13312
	;; [unrolled: 1-line block ×4, first 2 shown]
.LBB14_225:                             ;   in Loop: Header=BB14_11 Depth=1
	s_or_saveexec_b64 s[46:47], s[46:47]
	v_mov_b32_e32 v1, 0
	v_mov_b32_e32 v14, 0
	;; [unrolled: 1-line block ×4, first 2 shown]
	s_xor_b64 exec, exec, s[46:47]
	s_cbranch_execz .LBB14_227
; %bb.226:                              ;   in Loop: Header=BB14_11 Depth=1
	v_lshl_add_u64 v[14:15], v[114:115], 0, v[42:43]
	global_load_ushort v1, v[14:15], off
	v_lshl_add_u64 v[14:15], v[116:117], 0, v[42:43]
	global_load_ushort v16, v[14:15], off
	;; [unrolled: 2-line block ×4, first 2 shown]
	s_waitcnt vmcnt(3)
	ds_write_b16 v224, v1 offset:13312
	s_waitcnt vmcnt(2)
	ds_write_b16 v226, v16 offset:13312
	;; [unrolled: 2-line block ×4, first 2 shown]
	v_lshl_add_u64 v[14:15], v[122:123], 0, v[42:43]
	global_load_ushort v1, v[14:15], off
	v_lshl_add_u64 v[14:15], v[124:125], 0, v[42:43]
	v_lshl_add_u64 v[16:17], v[126:127], 0, v[42:43]
	global_load_ushort v14, v[14:15], off
	s_nop 0
	global_load_ushort v15, v[16:17], off
	v_lshl_add_u64 v[16:17], v[128:129], 0, v[42:43]
	global_load_ushort v16, v[16:17], off
.LBB14_227:                             ;   in Loop: Header=BB14_11 Depth=1
	s_or_b64 exec, exec, s[46:47]
	s_waitcnt vmcnt(3)
	ds_write_b16 v232, v1 offset:13312
	s_waitcnt vmcnt(2)
	ds_write_b16 v234, v14 offset:13312
	;; [unrolled: 2-line block ×4, first 2 shown]
.LBB14_228:                             ;   Parent Loop BB14_11 Depth=1
                                        ; =>  This Inner Loop Header: Depth=2
	v_mov_b32_e32 v1, s37
	v_lshl_add_u64 v[16:17], v[94:95], 0, v[64:65]
	v_cndmask_b32_e64 v15, v1, v93, s[4:5]
	v_cndmask_b32_e64 v14, v185, v92, s[4:5]
	;; [unrolled: 1-line block ×4, first 2 shown]
	v_lshl_add_u64 v[16:17], v[132:133], 0, v[64:65]
	scratch_store_dwordx4 off, v[72:75], off
	v_cndmask_b32_e64 v21, v1, v17, s[8:9]
	v_cndmask_b32_e64 v20, v185, v16, s[8:9]
	flat_load_dwordx4 v[14:17], v[14:15]
	v_add_u32_e32 v1, 0x800, v150
	s_and_b64 vcc, exec, s[64:65]
	s_waitcnt vmcnt(0) lgkmcnt(0)
	ds_write_b128 v147, v[14:17]
	flat_load_dwordx4 v[14:17], v[18:19]
	s_waitcnt vmcnt(0) lgkmcnt(0)
	ds_write_b128 v149, v[14:17]
	flat_load_dwordx4 v[14:17], v[20:21]
	s_waitcnt vmcnt(0) lgkmcnt(0)
	ds_write_b128 v240, v[14:17]
	s_waitcnt lgkmcnt(0)
	s_barrier
	ds_read2_b64 v[14:17], v150 offset1:4
	s_waitcnt lgkmcnt(0)
	v_mfma_f32_16x16x16_f16 v[18:21], v[14:15], v[10:11], 0
	v_mfma_f32_16x16x16_f16 v[14:17], v[16:17], v[12:13], v[18:21]
	s_nop 6
	ds_read2_b64 v[18:21], v150 offset0:8 offset1:12
	s_waitcnt lgkmcnt(0)
	v_mfma_f32_16x16x16_f16 v[14:17], v[18:19], v[6:7], v[14:17]
	v_mfma_f32_16x16x16_f16 v[14:17], v[20:21], v[8:9], v[14:17]
	ds_read2_b64 v[18:21], v150 offset0:16 offset1:20
	s_waitcnt lgkmcnt(0)
	v_mfma_f32_16x16x16_f16 v[14:17], v[18:19], v[2:3], v[14:17]
	v_mfma_f32_16x16x16_f16 v[26:29], v[20:21], v[4:5], v[14:17]
	s_nop 6
	ds_read2_b64 v[14:17], v1 offset0:160 offset1:164
	s_waitcnt lgkmcnt(0)
	v_mfma_f32_16x16x16_f16 v[18:21], v[14:15], v[10:11], 0
	v_mfma_f32_16x16x16_f16 v[14:17], v[16:17], v[12:13], v[18:21]
	s_nop 6
	ds_read2_b64 v[18:21], v1 offset0:168 offset1:172
	s_waitcnt lgkmcnt(0)
	v_mfma_f32_16x16x16_f16 v[14:17], v[18:19], v[6:7], v[14:17]
	v_mfma_f32_16x16x16_f16 v[14:17], v[20:21], v[8:9], v[14:17]
	ds_read2_b64 v[18:21], v1 offset0:176 offset1:180
	v_add_u32_e32 v1, 0x1800, v150
	s_waitcnt lgkmcnt(0)
	v_mfma_f32_16x16x16_f16 v[14:17], v[18:19], v[2:3], v[14:17]
	v_mfma_f32_16x16x16_f16 v[16:19], v[20:21], v[4:5], v[14:17]
	ds_read2_b64 v[20:23], v1 offset0:64 offset1:68
	s_waitcnt lgkmcnt(0)
	v_mfma_f32_16x16x16_f16 v[30:33], v[20:21], v[10:11], 0
	v_mfma_f32_16x16x16_f16 v[20:23], v[22:23], v[12:13], v[30:33]
	s_nop 6
	ds_read2_b64 v[30:33], v1 offset0:72 offset1:76
	s_waitcnt lgkmcnt(0)
	v_mfma_f32_16x16x16_f16 v[20:23], v[30:31], v[6:7], v[20:23]
	v_mfma_f32_16x16x16_f16 v[20:23], v[32:33], v[8:9], v[20:23]
	ds_read2_b64 v[30:33], v1 offset0:80 offset1:84
	v_add_u32_e32 v1, 0x2000, v150
	s_waitcnt lgkmcnt(0)
	v_mfma_f32_16x16x16_f16 v[20:23], v[30:31], v[2:3], v[20:23]
	v_mfma_f32_16x16x16_f16 v[22:25], v[32:33], v[4:5], v[20:23]
	ds_read2_b64 v[30:33], v1 offset0:224 offset1:228
	s_waitcnt lgkmcnt(0)
	v_mfma_f32_16x16x16_f16 v[66:69], v[30:31], v[10:11], 0
	v_mfma_f32_16x16x16_f16 v[30:33], v[32:33], v[12:13], v[66:69]
	s_nop 6
	ds_read2_b64 v[66:69], v1 offset0:232 offset1:236
	s_waitcnt lgkmcnt(0)
	v_mfma_f32_16x16x16_f16 v[30:33], v[66:67], v[6:7], v[30:33]
	v_mfma_f32_16x16x16_f16 v[30:33], v[68:69], v[8:9], v[30:33]
	ds_read2_b64 v[66:69], v1 offset0:240 offset1:244
	s_waitcnt lgkmcnt(0)
	s_barrier
	v_mfma_f32_16x16x16_f16 v[30:33], v[66:67], v[2:3], v[30:33]
	v_mfma_f32_16x16x16_f16 v[30:33], v[68:69], v[4:5], v[30:33]
	s_cbranch_vccnz .LBB14_230
; %bb.229:                              ;   in Loop: Header=BB14_228 Depth=2
	ds_read_b32 v1, v152 offset:13312
	v_mov_b32_e32 v83, v82
	s_waitcnt lgkmcnt(0)
	v_cvt_f32_f16_sdwa v15, v1 dst_sel:DWORD dst_unused:UNUSED_PAD src0_sel:WORD_1
	v_cvt_f32_f16_e32 v14, v1
	ds_read_b32 v1, v153 offset:13312
	v_pk_fma_f32 v[26:27], v[96:97], v[14:15], v[26:27]
	s_waitcnt lgkmcnt(0)
	v_cvt_f32_f16_sdwa v21, v1 dst_sel:DWORD dst_unused:UNUSED_PAD src0_sel:WORD_1
	v_cvt_f32_f16_e32 v20, v1
	v_add_u32_e32 v1, 0x3400, v155
	ds_read2_b32 v[14:15], v1 offset1:1
	v_add_u32_e32 v1, 0x3400, v157
	v_pk_fma_f32 v[28:29], v[82:83], v[20:21], v[28:29]
	s_waitcnt lgkmcnt(0)
	v_cvt_f32_f16_e32 v20, v14
	v_cvt_f32_f16_sdwa v21, v14 dst_sel:DWORD dst_unused:UNUSED_PAD src0_sel:WORD_1
	v_cvt_f32_f16_e32 v14, v15
	v_cvt_f32_f16_sdwa v15, v15 dst_sel:DWORD dst_unused:UNUSED_PAD src0_sel:WORD_1
	v_pk_fma_f32 v[16:17], v[96:97], v[20:21], v[16:17]
	v_pk_fma_f32 v[18:19], v[82:83], v[14:15], v[18:19]
	ds_read2_b32 v[14:15], v1 offset1:1
	v_add_u32_e32 v1, 0x3400, v159
	s_waitcnt lgkmcnt(0)
	v_cvt_f32_f16_e32 v20, v14
	v_cvt_f32_f16_sdwa v21, v14 dst_sel:DWORD dst_unused:UNUSED_PAD src0_sel:WORD_1
	v_cvt_f32_f16_e32 v14, v15
	v_cvt_f32_f16_sdwa v15, v15 dst_sel:DWORD dst_unused:UNUSED_PAD src0_sel:WORD_1
	v_pk_fma_f32 v[22:23], v[96:97], v[20:21], v[22:23]
	v_pk_fma_f32 v[24:25], v[82:83], v[14:15], v[24:25]
	ds_read2_b32 v[14:15], v1 offset1:1
	s_waitcnt lgkmcnt(0)
	v_cvt_f32_f16_e32 v20, v14
	v_cvt_f32_f16_sdwa v21, v14 dst_sel:DWORD dst_unused:UNUSED_PAD src0_sel:WORD_1
	v_cvt_f32_f16_e32 v14, v15
	v_cvt_f32_f16_sdwa v15, v15 dst_sel:DWORD dst_unused:UNUSED_PAD src0_sel:WORD_1
	v_pk_fma_f32 v[30:31], v[96:97], v[20:21], v[30:31]
	v_pk_fma_f32 v[32:33], v[82:83], v[14:15], v[32:33]
.LBB14_230:                             ;   in Loop: Header=BB14_228 Depth=2
	v_add_f32_e32 v1, 0x40051340, v26
	v_max_f32_e32 v14, v63, v63
	v_max_f32_e32 v1, v14, v1
	v_cndmask_b32_e64 v1, v63, v1, s[10:11]
	v_add_f32_e32 v14, 0x40051340, v27
	v_max_f32_e32 v1, v1, v1
	v_max_f32_e32 v1, v1, v14
	v_cndmask_b32_e64 v1, v63, v1, s[10:11]
	;; [unrolled: 4-line block ×16, first 2 shown]
	ds_bpermute_b32 v14, v40, v1
	v_max_f32_e32 v1, v1, v1
	scratch_store_dwordx4 off, v[72:75], off
	s_add_i32 s60, s60, -1
	v_lshl_add_u64 v[98:99], v[98:99], 0, s[52:53]
	s_waitcnt lgkmcnt(0)
	v_max_f32_e32 v14, v14, v14
	v_max_f32_e32 v1, v1, v14
	ds_bpermute_b32 v14, v192, v1
	v_lshl_add_u64 v[100:101], v[100:101], 0, s[52:53]
	v_lshl_add_u64 v[102:103], v[102:103], 0, s[52:53]
	;; [unrolled: 1-line block ×4, first 2 shown]
	s_waitcnt lgkmcnt(0)
	v_max_f32_e32 v14, v14, v14
	v_max_f32_e32 v182, v1, v14
	v_sub_f32_e32 v1, v26, v182
	v_mul_f32_e32 v14, 0x3fb8aa3b, v1
	v_fma_f32 v15, v1, s36, -v14
	v_rndne_f32_e32 v20, v14
	v_fmac_f32_e32 v15, 0x32a5705f, v1
	v_sub_f32_e32 v14, v14, v20
	v_add_f32_e32 v14, v14, v15
	v_exp_f32_e32 v14, v14
	v_cvt_i32_f32_e32 v15, v20
	v_cmp_ngt_f32_e32 vcc, s33, v1
	v_sub_f32_e32 v16, v16, v182
	v_sub_f32_e32 v18, v18, v182
	v_ldexp_f32 v14, v14, v15
	v_sub_f32_e32 v15, v27, v182
	v_mul_f32_e32 v20, 0x3fb8aa3b, v15
	v_fma_f32 v21, v15, s36, -v20
	v_rndne_f32_e32 v26, v20
	v_fmac_f32_e32 v21, 0x32a5705f, v15
	v_sub_f32_e32 v20, v20, v26
	v_add_f32_e32 v20, v20, v21
	v_exp_f32_e32 v20, v20
	v_cvt_i32_f32_e32 v21, v26
	v_cndmask_b32_e32 v14, 0, v14, vcc
	v_cmp_nlt_f32_e32 vcc, s49, v1
	v_lshl_add_u64 v[108:109], v[108:109], 0, s[52:53]
	v_ldexp_f32 v20, v20, v21
	v_cndmask_b32_e32 v1, v186, v14, vcc
	v_cmp_ngt_f32_e32 vcc, s33, v15
	v_cndmask_b32_e64 v14, 0, v1, s[10:11]
	v_lshl_add_u64 v[110:111], v[110:111], 0, s[52:53]
	v_cndmask_b32_e32 v20, 0, v20, vcc
	v_cmp_nlt_f32_e32 vcc, s49, v15
	v_lshl_add_u64 v[112:113], v[112:113], 0, s[52:53]
	v_lshl_add_u64 v[114:115], v[114:115], 0, s[52:53]
	v_cndmask_b32_e32 v15, v186, v20, vcc
	v_add_f32_e32 v20, v1, v15
	v_mov_b32_e32 v1, s61
	v_cndmask_b32_e64 v1, v1, v15, s[10:11]
	v_sub_f32_e32 v15, v28, v182
	v_mul_f32_e32 v21, 0x3fb8aa3b, v15
	v_fma_f32 v26, v15, s36, -v21
	v_rndne_f32_e32 v27, v21
	v_fmac_f32_e32 v26, 0x32a5705f, v15
	v_sub_f32_e32 v21, v21, v27
	v_add_f32_e32 v21, v21, v26
	v_exp_f32_e32 v21, v21
	v_cvt_i32_f32_e32 v26, v27
	v_cmp_ngt_f32_e32 vcc, s33, v15
	v_lshl_add_u64 v[116:117], v[116:117], 0, s[52:53]
	v_lshl_add_u64 v[118:119], v[118:119], 0, s[52:53]
	v_ldexp_f32 v21, v21, v26
	v_cndmask_b32_e32 v21, 0, v21, vcc
	v_cmp_nlt_f32_e32 vcc, s49, v15
	v_lshl_add_u64 v[120:121], v[120:121], 0, s[52:53]
	v_lshl_add_u64 v[122:123], v[122:123], 0, s[52:53]
	v_cndmask_b32_e32 v15, v186, v21, vcc
	v_add_f32_e32 v21, v20, v15
	v_mov_b32_e32 v20, s61
	v_cndmask_b32_e64 v20, v20, v15, s[10:11]
	v_sub_f32_e32 v15, v29, v182
	v_mul_f32_e32 v26, 0x3fb8aa3b, v15
	v_fma_f32 v27, v15, s36, -v26
	v_rndne_f32_e32 v28, v26
	v_fmac_f32_e32 v27, 0x32a5705f, v15
	v_sub_f32_e32 v26, v26, v28
	v_add_f32_e32 v26, v26, v27
	v_exp_f32_e32 v26, v26
	v_cvt_i32_f32_e32 v27, v28
	v_cmp_ngt_f32_e32 vcc, s33, v15
	v_lshl_add_u64 v[124:125], v[124:125], 0, s[52:53]
	v_lshl_add_u64 v[126:127], v[126:127], 0, s[52:53]
	v_ldexp_f32 v26, v26, v27
	v_cndmask_b32_e32 v26, 0, v26, vcc
	v_cmp_nlt_f32_e32 vcc, s49, v15
	v_mov_b32_e32 v15, s61
	v_lshl_add_u64 v[128:129], v[128:129], 0, s[52:53]
	v_cndmask_b32_e32 v26, v186, v26, vcc
	v_add_f32_e32 v21, v21, v26
	v_cndmask_b32_e64 v66, v15, v26, s[10:11]
	v_cndmask_b32_e64 v15, 0, v21, s[10:11]
	v_mul_f32_e32 v21, 0x3fb8aa3b, v16
	v_fma_f32 v26, v16, s36, -v21
	v_rndne_f32_e32 v27, v21
	v_fmac_f32_e32 v26, 0x32a5705f, v16
	v_sub_f32_e32 v21, v21, v27
	v_add_f32_e32 v21, v21, v26
	v_exp_f32_e32 v21, v21
	v_cvt_i32_f32_e32 v26, v27
	v_cmp_ngt_f32_e32 vcc, s33, v16
	v_lshl_add_u64 v[92:93], v[92:93], 0, s[44:45]
	v_lshl_add_u64 v[94:95], v[94:95], 0, s[44:45]
	v_ldexp_f32 v21, v21, v26
	v_cndmask_b32_e32 v21, 0, v21, vcc
	v_cmp_nlt_f32_e32 vcc, s49, v16
	v_mov_b32_e32 v16, s61
	v_lshl_add_u64 v[132:133], v[132:133], 0, s[44:45]
	v_cndmask_b32_e32 v21, v186, v21, vcc
	v_add_f32_e32 v26, v21, v15
	v_cndmask_b32_e64 v16, v16, v21, s[12:13]
	v_cndmask_b32_e64 v21, v15, v26, s[12:13]
	v_sub_f32_e32 v15, v17, v182
	v_mul_f32_e32 v17, 0x3fb8aa3b, v15
	v_fma_f32 v26, v15, s36, -v17
	v_rndne_f32_e32 v27, v17
	v_fmac_f32_e32 v26, 0x32a5705f, v15
	v_sub_f32_e32 v17, v17, v27
	v_add_f32_e32 v17, v17, v26
	v_exp_f32_e32 v17, v17
	v_cvt_i32_f32_e32 v26, v27
	v_cmp_ngt_f32_e32 vcc, s33, v15
	s_cmp_lg_u32 s60, 0
	v_ldexp_f32 v17, v17, v26
	v_cndmask_b32_e32 v17, 0, v17, vcc
	v_cmp_nlt_f32_e32 vcc, s49, v15
	v_mov_b32_e32 v15, s61
	s_nop 0
	v_cndmask_b32_e32 v17, v186, v17, vcc
	v_add_f32_e32 v26, v17, v21
	v_cndmask_b32_e64 v15, v15, v17, s[14:15]
	v_cndmask_b32_e64 v17, v21, v26, s[14:15]
	v_mul_f32_e32 v21, 0x3fb8aa3b, v18
	v_fma_f32 v26, v18, s36, -v21
	v_rndne_f32_e32 v27, v21
	v_fmac_f32_e32 v26, 0x32a5705f, v18
	v_sub_f32_e32 v21, v21, v27
	v_add_f32_e32 v21, v21, v26
	v_exp_f32_e32 v21, v21
	v_cvt_i32_f32_e32 v26, v27
	v_cmp_ngt_f32_e32 vcc, s33, v18
	v_ldexp_f32 v21, v21, v26
	s_nop 0
	v_cndmask_b32_e32 v21, 0, v21, vcc
	v_cmp_nlt_f32_e32 vcc, s49, v18
	v_mov_b32_e32 v18, s61
	s_nop 0
	v_cndmask_b32_e32 v21, v186, v21, vcc
	v_add_f32_e32 v26, v21, v17
	v_cndmask_b32_e64 v26, v17, v26, s[16:17]
	v_sub_f32_e32 v17, v19, v182
	v_mul_f32_e32 v19, 0x3fb8aa3b, v17
	v_cndmask_b32_e64 v18, v18, v21, s[16:17]
	v_fma_f32 v21, v17, s36, -v19
	v_rndne_f32_e32 v27, v19
	v_fmac_f32_e32 v21, 0x32a5705f, v17
	v_sub_f32_e32 v19, v19, v27
	v_add_f32_e32 v19, v19, v21
	v_exp_f32_e32 v19, v19
	v_cvt_i32_f32_e32 v21, v27
	v_cmp_ngt_f32_e32 vcc, s33, v17
	v_ldexp_f32 v19, v19, v21
	s_nop 0
	v_cndmask_b32_e32 v19, 0, v19, vcc
	v_cmp_nlt_f32_e32 vcc, s49, v17
	v_mov_b32_e32 v17, s61
	s_nop 0
	v_cndmask_b32_e32 v19, v186, v19, vcc
	v_add_f32_e32 v27, v19, v26
	v_cndmask_b32_e64 v21, v17, v19, s[18:19]
	v_sub_f32_e32 v19, v22, v182
	v_mul_f32_e32 v22, 0x3fb8aa3b, v19
	v_cndmask_b32_e64 v17, v26, v27, s[18:19]
	v_fma_f32 v26, v19, s36, -v22
	v_rndne_f32_e32 v27, v22
	v_fmac_f32_e32 v26, 0x32a5705f, v19
	v_sub_f32_e32 v22, v22, v27
	v_add_f32_e32 v22, v22, v26
	v_exp_f32_e32 v22, v22
	v_cvt_i32_f32_e32 v26, v27
	v_cmp_ngt_f32_e32 vcc, s33, v19
	v_ldexp_f32 v22, v22, v26
	s_nop 0
	v_cndmask_b32_e32 v22, 0, v22, vcc
	v_cmp_nlt_f32_e32 vcc, s49, v19
	s_nop 1
	v_cndmask_b32_e32 v19, v186, v22, vcc
	v_add_f32_e32 v26, v19, v17
	v_mov_b32_e32 v22, s61
	v_cndmask_b32_e64 v22, v22, v19, s[20:21]
	v_cndmask_b32_e64 v19, v17, v26, s[20:21]
	v_sub_f32_e32 v17, v23, v182
	v_mul_f32_e32 v23, 0x3fb8aa3b, v17
	v_fma_f32 v26, v17, s36, -v23
	v_rndne_f32_e32 v27, v23
	v_fmac_f32_e32 v26, 0x32a5705f, v17
	v_sub_f32_e32 v23, v23, v27
	v_add_f32_e32 v23, v23, v26
	v_exp_f32_e32 v23, v23
	v_cvt_i32_f32_e32 v26, v27
	v_cmp_ngt_f32_e32 vcc, s33, v17
	v_ldexp_f32 v23, v23, v26
	s_nop 0
	v_cndmask_b32_e32 v23, 0, v23, vcc
	v_cmp_nlt_f32_e32 vcc, s49, v17
	v_mov_b32_e32 v17, s61
	s_nop 0
	v_cndmask_b32_e32 v23, v186, v23, vcc
	v_add_f32_e32 v26, v23, v19
	v_cndmask_b32_e64 v17, v17, v23, s[22:23]
	v_sub_f32_e32 v23, v24, v182
	v_mul_f32_e32 v24, 0x3fb8aa3b, v23
	v_cndmask_b32_e64 v19, v19, v26, s[22:23]
	v_fma_f32 v26, v23, s36, -v24
	v_rndne_f32_e32 v27, v24
	v_fmac_f32_e32 v26, 0x32a5705f, v23
	v_sub_f32_e32 v24, v24, v27
	v_add_f32_e32 v24, v24, v26
	v_exp_f32_e32 v24, v24
	v_cvt_i32_f32_e32 v26, v27
	v_cmp_ngt_f32_e32 vcc, s33, v23
	v_ldexp_f32 v24, v24, v26
	s_nop 0
	v_cndmask_b32_e32 v24, 0, v24, vcc
	v_cmp_nlt_f32_e32 vcc, s49, v23
	s_nop 1
	v_cndmask_b32_e32 v23, v186, v24, vcc
	v_add_f32_e32 v26, v23, v19
	v_mov_b32_e32 v24, s61
	v_cndmask_b32_e64 v24, v24, v23, s[24:25]
	v_cndmask_b32_e64 v23, v19, v26, s[24:25]
	v_sub_f32_e32 v19, v25, v182
	v_mul_f32_e32 v25, 0x3fb8aa3b, v19
	v_fma_f32 v26, v19, s36, -v25
	v_rndne_f32_e32 v27, v25
	v_fmac_f32_e32 v26, 0x32a5705f, v19
	v_sub_f32_e32 v25, v25, v27
	v_add_f32_e32 v25, v25, v26
	v_exp_f32_e32 v25, v25
	v_cvt_i32_f32_e32 v26, v27
	v_cmp_ngt_f32_e32 vcc, s33, v19
	v_ldexp_f32 v25, v25, v26
	s_nop 0
	v_cndmask_b32_e32 v25, 0, v25, vcc
	v_cmp_nlt_f32_e32 vcc, s49, v19
	v_mov_b32_e32 v19, s61
	s_nop 0
	v_cndmask_b32_e32 v25, v186, v25, vcc
	v_add_f32_e32 v26, v25, v23
	v_cndmask_b32_e64 v67, v19, v25, s[26:27]
	v_cndmask_b32_e64 v19, v23, v26, s[26:27]
	v_sub_f32_e32 v23, v30, v182
	v_mul_f32_e32 v25, 0x3fb8aa3b, v23
	v_fma_f32 v26, v23, s36, -v25
	v_rndne_f32_e32 v27, v25
	v_fmac_f32_e32 v26, 0x32a5705f, v23
	v_sub_f32_e32 v25, v25, v27
	v_add_f32_e32 v25, v25, v26
	v_exp_f32_e32 v25, v25
	v_cvt_i32_f32_e32 v26, v27
	v_cmp_ngt_f32_e32 vcc, s33, v23
	v_ldexp_f32 v25, v25, v26
	s_nop 0
	v_cndmask_b32_e32 v25, 0, v25, vcc
	v_cmp_nlt_f32_e32 vcc, s49, v23
	v_mov_b32_e32 v26, s61
	s_nop 0
	v_cndmask_b32_e32 v23, v186, v25, vcc
	v_add_f32_e32 v25, v23, v19
	;; [unrolled: 20-line block ×3, first 2 shown]
	v_cndmask_b32_e64 v19, v19, v25, s[28:29]
	v_sub_f32_e32 v25, v32, v182
	v_cndmask_b32_e64 v23, v23, v27, s[28:29]
	v_mul_f32_e32 v27, 0x3fb8aa3b, v25
	v_fma_f32 v28, v25, s36, -v27
	v_rndne_f32_e32 v29, v27
	v_fmac_f32_e32 v28, 0x32a5705f, v25
	v_sub_f32_e32 v27, v27, v29
	v_add_f32_e32 v27, v27, v28
	v_exp_f32_e32 v27, v27
	v_cvt_i32_f32_e32 v28, v29
	v_cmp_ngt_f32_e32 vcc, s33, v25
	v_ldexp_f32 v27, v27, v28
	s_nop 0
	v_cndmask_b32_e32 v27, 0, v27, vcc
	v_cmp_nlt_f32_e32 vcc, s49, v25
	v_mov_b32_e32 v28, s61
	s_nop 0
	v_cndmask_b32_e32 v25, v186, v27, vcc
	v_add_f32_e32 v27, v25, v23
	v_cndmask_b32_e64 v28, v28, v25, s[30:31]
	v_cndmask_b32_e64 v25, v23, v27, s[30:31]
	v_sub_f32_e32 v23, v33, v182
	v_mul_f32_e32 v27, 0x3fb8aa3b, v23
	v_fma_f32 v29, v23, s36, -v27
	v_rndne_f32_e32 v30, v27
	v_fmac_f32_e32 v29, 0x32a5705f, v23
	v_sub_f32_e32 v27, v27, v30
	v_add_f32_e32 v27, v27, v29
	v_exp_f32_e32 v27, v27
	v_cvt_i32_f32_e32 v29, v30
	v_cmp_ngt_f32_e32 vcc, s33, v23
	v_ldexp_f32 v27, v27, v29
	s_nop 0
	v_cndmask_b32_e32 v27, 0, v27, vcc
	v_cmp_nlt_f32_e32 vcc, s49, v23
	v_mov_b32_e32 v23, s61
	s_nop 0
	v_cndmask_b32_e32 v27, v186, v27, vcc
	v_add_f32_e32 v29, v27, v25
	v_cndmask_b32_e64 v68, v23, v27, s[34:35]
	v_sub_f32_e32 v23, v63, v182
	v_cndmask_b32_e64 v83, v25, v29, s[34:35]
	v_mul_f32_e32 v25, 0x3fb8aa3b, v23
	v_fma_f32 v27, v23, s36, -v25
	v_rndne_f32_e32 v29, v25
	v_fmac_f32_e32 v27, 0x32a5705f, v23
	v_sub_f32_e32 v25, v25, v29
	v_add_f32_e32 v25, v25, v27
	v_exp_f32_e32 v25, v25
	v_cvt_i32_f32_e32 v27, v29
	v_cmp_ngt_f32_e32 vcc, s33, v23
	v_ldexp_f32 v25, v25, v27
	s_nop 0
	v_cndmask_b32_e32 v25, 0, v25, vcc
	v_cmp_nlt_f32_e32 vcc, s49, v23
	s_nop 1
	v_cndmask_b32_e32 v25, v186, v25, vcc
	v_cmp_le_f32_e32 vcc, s93, v23
	s_nop 1
	v_cndmask_b32_e32 v23, 0, v25, vcc
	v_fmac_f32_e32 v83, v62, v23
	v_cvt_f16_f32_e32 v23, v23
	v_mul_u32_u24_e32 v30, 0x10001, v23
	v_pk_mul_f16 v70, v142, v30
	v_pk_mul_f16 v142, v134, v30
	v_mov_b32_e32 v134, s37
	v_pk_mul_f16 v71, v180, v30
	v_pk_mul_f16 v204, v204, v30
	;; [unrolled: 1-line block ×10, first 2 shown]
	v_cndmask_b32_e64 v31, v134, v89, s[4:5]
	v_cndmask_b32_e64 v30, v185, v88, s[4:5]
	flat_load_dwordx4 v[30:33], v[30:31]
	v_cvt_pk_f16_f32 v141, v20, v66
	v_cvt_pk_f16_f32 v140, v14, v1
	;; [unrolled: 1-line block ×7, first 2 shown]
	v_lshl_add_u64 v[88:89], v[88:89], 0, s[54:55]
	s_waitcnt vmcnt(0) lgkmcnt(0)
	ds_write_b128 v147, v[30:33]
	v_lshl_add_u64 v[30:31], v[90:91], 0, v[64:65]
	v_cndmask_b32_e64 v31, v134, v31, s[6:7]
	v_cndmask_b32_e64 v30, v185, v30, s[6:7]
	flat_load_dwordx4 v[30:33], v[30:31]
	v_lshl_add_u64 v[90:91], v[90:91], 0, s[54:55]
	s_waitcnt vmcnt(0) lgkmcnt(0)
	ds_write_b128 v149, v[30:33]
	v_lshl_add_u64 v[30:31], v[130:131], 0, v[64:65]
	v_cndmask_b32_e64 v31, v134, v31, s[8:9]
	v_cndmask_b32_e64 v30, v185, v30, s[8:9]
	flat_load_dwordx4 v[30:33], v[30:31]
	v_lshl_add_u64 v[130:131], v[130:131], 0, s[54:55]
	s_waitcnt vmcnt(0) lgkmcnt(0)
	ds_write_b128 v240, v[30:33]
	s_waitcnt lgkmcnt(0)
	s_barrier
	ds_read_u16 v134, v160 offset:208
	v_cvt_f32_f16_e32 v30, v71
	v_cvt_f32_f16_sdwa v31, v71 dst_sel:DWORD dst_unused:UNUSED_PAD src0_sel:WORD_1
	v_cvt_f32_f16_e32 v32, v70
	v_cvt_f32_f16_sdwa v33, v70 dst_sel:DWORD dst_unused:UNUSED_PAD src0_sel:WORD_1
	ds_read_u16 v70, v161
	ds_read_u16 v198, v161 offset:32
	ds_read_u16 v71, v162
	ds_read_u16 v207, v162 offset:32
	s_waitcnt lgkmcnt(1)
	v_perm_b32 v71, v71, v70, s59
	ds_read_u16 v70, v160
	ds_read_u16 v242, v160 offset:32
	s_waitcnt lgkmcnt(1)
	v_perm_b32 v70, v134, v70, s59
	s_nop 1
	v_mfma_f32_16x16x16_f16 v[30:33], v[70:71], v[140:141], v[30:33]
	ds_read_u16 v66, v160 offset:3328
	ds_read_u16 v70, v160 offset:3536
	;; [unrolled: 1-line block ×4, first 2 shown]
	s_nop 3
	v_cvt_f16_f32_e32 v1, v30
	v_cvt_f16_f32_e32 v14, v31
	;; [unrolled: 1-line block ×4, first 2 shown]
	s_waitcnt lgkmcnt(0)
	v_perm_b32 v71, v134, v71, s59
	v_perm_b32 v70, v70, v66, s59
	v_cvt_f32_f16_e32 v30, v1
	v_cvt_f32_f16_e32 v31, v14
	;; [unrolled: 1-line block ×4, first 2 shown]
	ds_read_u16 v18, v160 offset:6656
	ds_read_u16 v20, v160 offset:6864
	;; [unrolled: 1-line block ×4, first 2 shown]
	v_mfma_f32_16x16x16_f16 v[30:33], v[70:71], v[138:139], v[30:33]
	v_cvt_pk_f16_f32 v134, v26, v19
	v_cvt_f32_f16_sdwa v19, v204 dst_sel:DWORD dst_unused:UNUSED_PAD src0_sel:WORD_1
	s_nop 5
	v_cvt_f16_f32_e32 v14, v31
	v_cvt_f16_f32_e32 v15, v32
	;; [unrolled: 1-line block ×4, first 2 shown]
	v_cvt_f32_f16_e32 v31, v14
	v_cvt_f32_f16_e32 v32, v15
	s_waitcnt lgkmcnt(0)
	v_perm_b32 v15, v66, v21, s59
	v_perm_b32 v14, v20, v18, s59
	v_cvt_f32_f16_e32 v30, v1
	v_cvt_f32_f16_e32 v33, v16
	ds_read_u16 v18, v160 offset:9984
	ds_read_u16 v20, v160 offset:10192
	;; [unrolled: 1-line block ×4, first 2 shown]
	v_mfma_f32_16x16x16_f16 v[14:17], v[14:15], v[136:137], v[30:33]
	s_waitcnt lgkmcnt(2)
	v_perm_b32 v20, v20, v18, s59
	s_waitcnt lgkmcnt(0)
	v_perm_b32 v21, v22, v21, s59
	v_perm_b32 v31, v207, v198, s59
	s_nop 2
	v_cvt_f16_f32_e32 v1, v14
	v_cvt_f16_f32_e32 v15, v15
	;; [unrolled: 1-line block ×4, first 2 shown]
	v_cvt_f32_f16_e32 v14, v1
	ds_read_u16 v1, v160 offset:240
	v_cvt_f32_f16_e32 v15, v15
	v_cvt_f32_f16_e32 v16, v16
	;; [unrolled: 1-line block ×4, first 2 shown]
	s_waitcnt lgkmcnt(0)
	v_perm_b32 v30, v1, v242, s59
	v_mfma_f32_16x16x16_f16 v[14:17], v[20:21], v[134:135], v[14:17]
	v_cvt_f32_f16_e32 v20, v69
	v_cvt_f32_f16_sdwa v21, v69 dst_sel:DWORD dst_unused:UNUSED_PAD src0_sel:WORD_1
	ds_read_u16 v22, v160 offset:3360
	ds_read_u16 v24, v160 offset:3568
	;; [unrolled: 1-line block ×4, first 2 shown]
	v_mfma_f32_16x16x16_f16 v[18:21], v[30:31], v[140:141], v[18:21]
	s_waitcnt lgkmcnt(2)
	v_perm_b32 v30, v24, v22, s59
	s_waitcnt lgkmcnt(0)
	v_perm_b32 v31, v28, v26, s59
	ds_read_u16 v22, v160 offset:6688
	ds_read_u16 v24, v160 offset:6896
	;; [unrolled: 1-line block ×4, first 2 shown]
	v_cvt_f16_f32_e32 v1, v18
	v_cvt_f16_f32_e32 v19, v19
	;; [unrolled: 1-line block ×4, first 2 shown]
	v_cvt_f32_f16_e32 v18, v1
	v_cvt_f32_f16_e32 v19, v19
	;; [unrolled: 1-line block ×5, first 2 shown]
	v_cvt_f32_f16_sdwa v33, v23 dst_sel:DWORD dst_unused:UNUSED_PAD src0_sel:WORD_1
	v_mfma_f32_16x16x16_f16 v[18:21], v[30:31], v[138:139], v[18:21]
	s_waitcnt lgkmcnt(0)
	v_perm_b32 v31, v28, v26, s59
	v_perm_b32 v30, v24, v22, s59
	ds_read_u16 v22, v160 offset:10016
	ds_read_u16 v24, v160 offset:10224
	;; [unrolled: 1-line block ×4, first 2 shown]
	s_nop 0
	v_cvt_f16_f32_e32 v1, v18
	v_cvt_f16_f32_e32 v19, v19
	;; [unrolled: 1-line block ×4, first 2 shown]
	v_cvt_f32_f16_e32 v18, v1
	v_cvt_f32_f16_e32 v19, v19
	;; [unrolled: 1-line block ×4, first 2 shown]
	v_cvt_f32_f16_sdwa v69, v142 dst_sel:DWORD dst_unused:UNUSED_PAD src0_sel:WORD_1
	s_nop 0
	v_mfma_f32_16x16x16_f16 v[18:21], v[30:31], v[136:137], v[18:21]
	s_waitcnt lgkmcnt(0)
	v_perm_b32 v31, v28, v26, s59
	v_perm_b32 v30, v24, v22, s59
	s_nop 4
	v_cvt_f16_f32_e32 v1, v18
	v_cvt_f16_f32_e32 v19, v19
	;; [unrolled: 1-line block ×4, first 2 shown]
	v_cvt_f32_f16_e32 v18, v1
	ds_read_u16 v1, v160 offset:64
	ds_read_u16 v22, v160 offset:272
	;; [unrolled: 1-line block ×4, first 2 shown]
	v_cvt_f32_f16_e32 v19, v19
	v_cvt_f32_f16_e32 v20, v20
	;; [unrolled: 1-line block ×3, first 2 shown]
	s_waitcnt lgkmcnt(2)
	v_perm_b32 v22, v22, v1, s59
	s_waitcnt lgkmcnt(0)
	v_perm_b32 v23, v26, v24, s59
	v_mfma_f32_16x16x16_f16 v[18:21], v[30:31], v[134:135], v[18:21]
	v_cvt_f32_f16_e32 v30, v25
	v_cvt_f32_f16_sdwa v31, v25 dst_sel:DWORD dst_unused:UNUSED_PAD src0_sel:WORD_1
	s_nop 1
	v_mfma_f32_16x16x16_f16 v[22:25], v[22:23], v[140:141], v[30:33]
	ds_read_u16 v26, v160 offset:3392
	ds_read_u16 v28, v160 offset:3600
	s_nop 0
	ds_read_u16 v30, v161 offset:3392
	ds_read_u16 v31, v162 offset:3392
	v_cvt_pk_f16_f32 v204, v18, v19
	v_cvt_pk_f16_f32 v198, v20, v21
	s_nop 0
	v_cvt_f16_f32_e32 v1, v22
	v_cvt_f16_f32_e32 v23, v23
	;; [unrolled: 1-line block ×4, first 2 shown]
	s_waitcnt lgkmcnt(0)
	v_perm_b32 v31, v31, v30, s59
	v_perm_b32 v30, v28, v26, s59
	v_cvt_f32_f16_e32 v22, v1
	v_cvt_f32_f16_e32 v23, v23
	;; [unrolled: 1-line block ×4, first 2 shown]
	s_nop 1
	v_mfma_f32_16x16x16_f16 v[22:25], v[30:31], v[138:139], v[22:25]
	ds_read_u16 v26, v160 offset:6720
	ds_read_u16 v28, v160 offset:6928
	;; [unrolled: 1-line block ×4, first 2 shown]
	s_nop 3
	v_cvt_f16_f32_e32 v1, v22
	v_cvt_f16_f32_e32 v23, v23
	;; [unrolled: 1-line block ×4, first 2 shown]
	s_waitcnt lgkmcnt(0)
	v_perm_b32 v31, v31, v30, s59
	v_perm_b32 v30, v28, v26, s59
	v_cvt_f32_f16_e32 v22, v1
	v_cvt_f32_f16_e32 v23, v23
	;; [unrolled: 1-line block ×4, first 2 shown]
	s_nop 1
	v_mfma_f32_16x16x16_f16 v[22:25], v[30:31], v[136:137], v[22:25]
	ds_read_u16 v26, v160 offset:10048
	ds_read_u16 v28, v160 offset:10256
	;; [unrolled: 1-line block ×4, first 2 shown]
	s_nop 3
	v_cvt_f16_f32_e32 v1, v22
	v_cvt_f16_f32_e32 v23, v23
	v_cvt_f16_f32_e32 v24, v24
	v_cvt_f16_f32_e32 v25, v25
	v_cvt_f32_f16_e32 v22, v1
	s_waitcnt lgkmcnt(0)
	v_perm_b32 v31, v31, v30, s59
	v_perm_b32 v30, v28, v26, s59
	ds_read_u16 v1, v160 offset:96
	ds_read_u16 v26, v160 offset:304
	;; [unrolled: 1-line block ×4, first 2 shown]
	v_cvt_f32_f16_e32 v23, v23
	v_cvt_f32_f16_e32 v24, v24
	;; [unrolled: 1-line block ×3, first 2 shown]
	s_waitcnt lgkmcnt(2)
	v_perm_b32 v26, v26, v1, s59
	v_cvt_f32_f16_e32 v28, v29
	v_mfma_f32_16x16x16_f16 v[22:25], v[30:31], v[134:135], v[22:25]
	v_cvt_f32_f16_e32 v30, v27
	v_cvt_f32_f16_sdwa v31, v27 dst_sel:DWORD dst_unused:UNUSED_PAD src0_sel:WORD_1
	s_waitcnt lgkmcnt(0)
	v_perm_b32 v27, v33, v32, s59
	v_cvt_f32_f16_sdwa v29, v29 dst_sel:DWORD dst_unused:UNUSED_PAD src0_sel:WORD_1
	s_nop 1
	v_mfma_f32_16x16x16_f16 v[26:29], v[26:27], v[140:141], v[28:31]
	s_nop 2
	ds_read_u16 v30, v160 offset:3424
	ds_read_u16 v32, v160 offset:3632
	;; [unrolled: 1-line block ×4, first 2 shown]
	s_nop 0
	v_cvt_f16_f32_e32 v1, v26
	v_cvt_f16_f32_e32 v27, v27
	;; [unrolled: 1-line block ×4, first 2 shown]
	s_waitcnt lgkmcnt(0)
	v_perm_b32 v31, v33, v31, s59
	v_perm_b32 v30, v32, v30, s59
	v_cvt_f32_f16_e32 v26, v1
	v_cvt_f32_f16_e32 v27, v27
	;; [unrolled: 1-line block ×4, first 2 shown]
	s_nop 1
	v_mfma_f32_16x16x16_f16 v[26:29], v[30:31], v[138:139], v[26:29]
	ds_read_u16 v30, v160 offset:6752
	ds_read_u16 v32, v160 offset:6960
	;; [unrolled: 1-line block ×4, first 2 shown]
	s_nop 3
	v_cvt_f16_f32_e32 v1, v26
	v_cvt_f16_f32_e32 v27, v27
	;; [unrolled: 1-line block ×4, first 2 shown]
	s_waitcnt lgkmcnt(0)
	v_perm_b32 v31, v33, v31, s59
	v_perm_b32 v30, v32, v30, s59
	v_cvt_f32_f16_e32 v26, v1
	v_cvt_f32_f16_e32 v27, v27
	;; [unrolled: 1-line block ×4, first 2 shown]
	s_nop 1
	v_mfma_f32_16x16x16_f16 v[26:29], v[30:31], v[136:137], v[26:29]
	ds_read_u16 v30, v160 offset:10080
	ds_read_u16 v32, v160 offset:10288
	;; [unrolled: 1-line block ×4, first 2 shown]
	s_nop 3
	v_cvt_f16_f32_e32 v1, v26
	v_cvt_f16_f32_e32 v27, v27
	;; [unrolled: 1-line block ×4, first 2 shown]
	v_cvt_f32_f16_e32 v26, v1
	s_waitcnt lgkmcnt(0)
	v_perm_b32 v31, v33, v31, s59
	v_perm_b32 v30, v32, v30, s59
	ds_read_u16 v1, v160 offset:128
	ds_read_u16 v66, v160 offset:336
	;; [unrolled: 1-line block ×4, first 2 shown]
	v_cvt_f32_f16_e32 v27, v27
	v_cvt_f32_f16_e32 v28, v28
	;; [unrolled: 1-line block ×4, first 2 shown]
	v_cvt_f32_f16_sdwa v33, v62 dst_sel:DWORD dst_unused:UNUSED_PAD src0_sel:WORD_1
	v_mfma_f32_16x16x16_f16 v[26:29], v[30:31], v[134:135], v[26:29]
	v_cvt_f32_f16_e32 v30, v63
	v_cvt_f32_f16_sdwa v31, v63 dst_sel:DWORD dst_unused:UNUSED_PAD src0_sel:WORD_1
	s_waitcnt lgkmcnt(0)
	v_perm_b32 v63, v68, v67, s59
	v_perm_b32 v62, v66, v1, s59
	v_cvt_f32_f16_e32 v68, v142
	v_cvt_pk_f16_f32 v142, v16, v17
	v_mfma_f32_16x16x16_f16 v[30:33], v[62:63], v[140:141], v[30:33]
	ds_read_u16 v62, v160 offset:3456
	ds_read_u16 v66, v160 offset:3664
	;; [unrolled: 1-line block ×4, first 2 shown]
	s_nop 3
	v_cvt_f16_f32_e32 v1, v30
	v_cvt_f16_f32_e32 v31, v31
	;; [unrolled: 1-line block ×4, first 2 shown]
	s_waitcnt lgkmcnt(0)
	v_perm_b32 v63, v67, v63, s59
	v_perm_b32 v62, v66, v62, s59
	v_cvt_f32_f16_e32 v30, v1
	v_cvt_f32_f16_e32 v31, v31
	;; [unrolled: 1-line block ×4, first 2 shown]
	s_nop 1
	v_mfma_f32_16x16x16_f16 v[30:33], v[62:63], v[138:139], v[30:33]
	ds_read_u16 v62, v160 offset:6784
	ds_read_u16 v66, v160 offset:6992
	;; [unrolled: 1-line block ×4, first 2 shown]
	s_nop 3
	v_cvt_f16_f32_e32 v1, v30
	v_cvt_f16_f32_e32 v31, v31
	;; [unrolled: 1-line block ×4, first 2 shown]
	s_waitcnt lgkmcnt(0)
	v_perm_b32 v63, v67, v63, s59
	v_perm_b32 v62, v66, v62, s59
	v_cvt_f32_f16_e32 v30, v1
	v_cvt_f32_f16_e32 v31, v31
	;; [unrolled: 1-line block ×4, first 2 shown]
	s_nop 1
	v_mfma_f32_16x16x16_f16 v[30:33], v[62:63], v[136:137], v[30:33]
	ds_read_u16 v62, v160 offset:10112
	ds_read_u16 v66, v160 offset:10320
	;; [unrolled: 1-line block ×4, first 2 shown]
	s_nop 3
	v_cvt_f16_f32_e32 v1, v30
	v_cvt_f16_f32_e32 v31, v31
	;; [unrolled: 1-line block ×4, first 2 shown]
	s_waitcnt lgkmcnt(0)
	v_perm_b32 v63, v67, v63, s59
	v_perm_b32 v62, v66, v62, s59
	v_cvt_f32_f16_e32 v30, v1
	v_cvt_f32_f16_e32 v31, v31
	;; [unrolled: 1-line block ×5, first 2 shown]
	v_cvt_f32_f16_sdwa v67, v180 dst_sel:DWORD dst_unused:UNUSED_PAD src0_sel:WORD_1
	v_mfma_f32_16x16x16_f16 v[30:33], v[62:63], v[134:135], v[30:33]
	ds_read_u16 v1, v160 offset:160
	ds_read_u16 v62, v160 offset:368
	;; [unrolled: 1-line block ×4, first 2 shown]
	v_cvt_pk_f16_f32 v180, v14, v15
	s_waitcnt lgkmcnt(2)
	v_perm_b32 v62, v62, v1, s59
	s_waitcnt lgkmcnt(0)
	v_perm_b32 v63, v70, v63, s59
	s_nop 1
	v_mfma_f32_16x16x16_f16 v[66:69], v[62:63], v[140:141], v[66:69]
	ds_read_u16 v70, v160 offset:3488
	ds_read_u16 v71, v160 offset:3696
	;; [unrolled: 1-line block ×4, first 2 shown]
	s_nop 3
	v_cvt_f16_f32_e32 v62, v67
	v_cvt_f16_f32_e32 v63, v68
	;; [unrolled: 1-line block ×4, first 2 shown]
	v_cvt_f32_f16_e32 v67, v62
	v_cvt_f32_f16_e32 v68, v63
	s_waitcnt lgkmcnt(0)
	v_perm_b32 v63, v141, v140, s59
	v_perm_b32 v62, v71, v70, s59
	v_cvt_f32_f16_e32 v66, v1
	v_cvt_f32_f16_e32 v69, v69
	v_cvt_pk_f16_f32 v141, v22, v23
	v_cvt_pk_f16_f32 v140, v24, v25
	v_mfma_f32_16x16x16_f16 v[66:69], v[62:63], v[138:139], v[66:69]
	ds_read_u16 v70, v160 offset:6816
	ds_read_u16 v71, v160 offset:7024
	;; [unrolled: 1-line block ×4, first 2 shown]
	s_nop 3
	v_cvt_f16_f32_e32 v62, v67
	v_cvt_f16_f32_e32 v63, v68
	v_cvt_f16_f32_e32 v1, v66
	v_cvt_f16_f32_e32 v69, v69
	v_cvt_f32_f16_e32 v67, v62
	v_cvt_f32_f16_e32 v68, v63
	s_waitcnt lgkmcnt(0)
	v_perm_b32 v63, v139, v138, s59
	v_perm_b32 v62, v71, v70, s59
	v_cvt_f32_f16_e32 v66, v1
	v_cvt_f32_f16_e32 v69, v69
	s_nop 1
	v_mfma_f32_16x16x16_f16 v[66:69], v[62:63], v[136:137], v[66:69]
	s_nop 7
	v_cvt_f16_f32_e32 v63, v66
	v_cvt_f16_f32_e32 v66, v67
	;; [unrolled: 1-line block ×4, first 2 shown]
	ds_read_u16 v1, v160 offset:10144
	ds_read_u16 v62, v160 offset:10352
	ds_read_u16 v69, v161 offset:10144
	ds_read_u16 v70, v162 offset:10144
	v_cvt_f32_f16_e32 v136, v63
	v_cvt_f32_f16_e32 v137, v66
	s_waitcnt lgkmcnt(2)
	v_perm_b32 v62, v62, v1, s59
	v_cvt_f32_f16_e32 v138, v67
	s_waitcnt lgkmcnt(0)
	v_perm_b32 v63, v70, v69, s59
	v_cvt_f32_f16_e32 v139, v68
	s_barrier
	s_nop 0
	v_mfma_f32_16x16x16_f16 v[66:69], v[62:63], v[134:135], v[136:139]
	s_nop 2
	v_cvt_pk_f16_f32 v138, v26, v27
	v_cvt_pk_f16_f32 v139, v28, v29
	;; [unrolled: 1-line block ×4, first 2 shown]
	s_nop 0
	v_cvt_pk_f16_f32 v135, v66, v67
	v_cvt_pk_f16_f32 v134, v68, v69
	s_cbranch_scc0 .LBB14_233
; %bb.231:                              ;   in Loop: Header=BB14_228 Depth=2
	v_mov_b32_e32 v62, v83
	v_mov_b32_e32 v63, v182
	v_cndmask_b32_e64 v1, 0, 1, s[62:63]
	v_cmp_ne_u32_e64 s[64:65], 1, v1
	s_andn2_b64 vcc, exec, s[62:63]
	s_cbranch_vccz .LBB14_219
	s_branch .LBB14_228
.LBB14_232:                             ;   in Loop: Header=BB14_11 Depth=1
	v_mov_b32_e32 v182, 0xfeffffff
	s_mov_b32 s60, 0
	v_mov_b32_e32 v83, 0
	v_mov_b32_e32 v134, 0
	;; [unrolled: 1-line block ×13, first 2 shown]
	s_branch .LBB14_234
.LBB14_233:                             ;   in Loop: Header=BB14_11 Depth=1
	s_lshl_b32 s60, s58, 6
	v_lshlrev_b32_e32 v132, 4, v144
	v_mbcnt_lo_u32_b32 v122, -1, 0
	v_mov_b32_e32 v104, v54
.LBB14_234:                             ;   in Loop: Header=BB14_11 Depth=1
	v_readlane_b32 s46, v254, 4
	v_cmp_eq_u64_e32 vcc, 0, v[86:87]
	s_sub_i32 s58, s46, s60
	v_cmp_ne_u64_e64 s[62:63], 0, v[86:87]
	v_readlane_b32 s47, v254, 5
	s_cbranch_vccnz .LBB14_252
; %bb.235:                              ;   in Loop: Header=BB14_11 Depth=1
	v_cmp_le_i32_e32 vcc, s58, v38
	s_and_saveexec_b64 s[46:47], vcc
	s_xor_b64 s[46:47], exec, s[46:47]
	s_cbranch_execz .LBB14_237
; %bb.236:                              ;   in Loop: Header=BB14_11 Depth=1
	ds_write_b16 v145, v41 offset:13312
	ds_write_b16 v210, v41 offset:13312
.LBB14_237:                             ;   in Loop: Header=BB14_11 Depth=1
	s_or_saveexec_b64 s[46:47], s[46:47]
	s_lshl_b64 s[64:65], s[60:61], 1
	v_lshl_add_u64 v[14:15], v[86:87], 0, s[64:65]
	v_lshlrev_b32_e32 v40, 1, v38
	v_lshl_add_u64 v[14:15], v[14:15], 0, v[40:41]
	v_mov_b32_e32 v1, 0
	v_mov_b32_e32 v16, 0
	s_xor_b64 exec, exec, s[46:47]
	s_cbranch_execz .LBB14_239
; %bb.238:                              ;   in Loop: Header=BB14_11 Depth=1
	v_add_u32_e32 v1, v206, v144
	v_mul_hi_u32 v16, s42, v1
	v_add_u32_e32 v16, v1, v16
	v_lshrrev_b32_e32 v16, s43, v16
	v_mul_lo_u32 v16, v16, s48
	v_sub_u32_e32 v1, v1, v16
	v_mad_i64_i32 v[16:17], s[64:65], v1, s84, 0
	v_lshl_add_u64 v[16:17], v[16:17], 1, v[14:15]
	global_load_ushort v1, v[16:17], off
	v_add_u32_e32 v16, v206, v209
	v_mul_hi_u32 v17, s42, v16
	v_add_u32_e32 v17, v16, v17
	v_lshrrev_b32_e32 v17, s43, v17
	v_mul_lo_u32 v17, v17, s48
	v_sub_u32_e32 v16, v16, v17
	v_mad_i64_i32 v[16:17], s[64:65], v16, s84, 0
	v_lshl_add_u64 v[16:17], v[16:17], 1, v[14:15]
	global_load_ushort v16, v[16:17], off
	s_waitcnt vmcnt(1)
	ds_write_b16 v145, v1 offset:13312
	s_waitcnt vmcnt(0)
	ds_write_b16 v210, v16 offset:13312
	v_add_u32_e32 v1, v206, v211
	v_mul_hi_u32 v16, s42, v1
	v_add_u32_e32 v16, v1, v16
	v_lshrrev_b32_e32 v16, s43, v16
	v_mul_lo_u32 v16, v16, s48
	v_sub_u32_e32 v1, v1, v16
	v_mad_i64_i32 v[16:17], s[64:65], v1, s84, 0
	v_lshl_add_u64 v[16:17], v[16:17], 1, v[14:15]
	global_load_ushort v1, v[16:17], off
	v_add_u32_e32 v16, v206, v213
	v_mul_hi_u32 v17, s42, v16
	v_add_u32_e32 v17, v16, v17
	v_lshrrev_b32_e32 v17, s43, v17
	v_mul_lo_u32 v17, v17, s48
	v_sub_u32_e32 v16, v16, v17
	v_mad_i64_i32 v[16:17], s[64:65], v16, s84, 0
	v_lshl_add_u64 v[16:17], v[16:17], 1, v[14:15]
	global_load_ushort v16, v[16:17], off
.LBB14_239:                             ;   in Loop: Header=BB14_11 Depth=1
	s_or_b64 exec, exec, s[46:47]
	s_waitcnt vmcnt(1)
	ds_write_b16 v212, v1 offset:13312
	s_waitcnt vmcnt(0)
	ds_write_b16 v214, v16 offset:13312
	s_and_saveexec_b64 s[46:47], vcc
	s_xor_b64 s[46:47], exec, s[46:47]
	s_cbranch_execz .LBB14_241
; %bb.240:                              ;   in Loop: Header=BB14_11 Depth=1
	ds_write_b16 v216, v41 offset:13312
	ds_write_b16 v218, v41 offset:13312
.LBB14_241:                             ;   in Loop: Header=BB14_11 Depth=1
	s_or_saveexec_b64 s[46:47], s[46:47]
	v_mov_b32_e32 v1, 0
	v_mov_b32_e32 v16, 0
	s_xor_b64 exec, exec, s[46:47]
	s_cbranch_execz .LBB14_243
; %bb.242:                              ;   in Loop: Header=BB14_11 Depth=1
	v_add_u32_e32 v1, v206, v215
	v_mul_hi_u32 v16, s42, v1
	v_add_u32_e32 v16, v1, v16
	v_lshrrev_b32_e32 v16, s43, v16
	v_mul_lo_u32 v16, v16, s48
	v_sub_u32_e32 v1, v1, v16
	v_mad_i64_i32 v[16:17], s[64:65], v1, s84, 0
	v_lshl_add_u64 v[16:17], v[16:17], 1, v[14:15]
	global_load_ushort v1, v[16:17], off
	v_add_u32_e32 v16, v206, v217
	v_mul_hi_u32 v17, s42, v16
	v_add_u32_e32 v17, v16, v17
	v_lshrrev_b32_e32 v17, s43, v17
	v_mul_lo_u32 v17, v17, s48
	v_sub_u32_e32 v16, v16, v17
	v_mad_i64_i32 v[16:17], s[64:65], v16, s84, 0
	v_lshl_add_u64 v[16:17], v[16:17], 1, v[14:15]
	global_load_ushort v16, v[16:17], off
	s_waitcnt vmcnt(1)
	ds_write_b16 v216, v1 offset:13312
	s_waitcnt vmcnt(0)
	ds_write_b16 v218, v16 offset:13312
	v_add_u32_e32 v1, v206, v219
	v_mul_hi_u32 v16, s42, v1
	v_add_u32_e32 v16, v1, v16
	v_lshrrev_b32_e32 v16, s43, v16
	v_mul_lo_u32 v16, v16, s48
	v_sub_u32_e32 v1, v1, v16
	v_mad_i64_i32 v[16:17], s[64:65], v1, s84, 0
	v_lshl_add_u64 v[16:17], v[16:17], 1, v[14:15]
	global_load_ushort v1, v[16:17], off
	v_add_u32_e32 v16, v206, v221
	v_mul_hi_u32 v17, s42, v16
	v_add_u32_e32 v17, v16, v17
	v_lshrrev_b32_e32 v17, s43, v17
	v_mul_lo_u32 v17, v17, s48
	v_sub_u32_e32 v16, v16, v17
	v_mad_i64_i32 v[16:17], s[64:65], v16, s84, 0
	v_lshl_add_u64 v[16:17], v[16:17], 1, v[14:15]
	global_load_ushort v16, v[16:17], off
.LBB14_243:                             ;   in Loop: Header=BB14_11 Depth=1
	s_or_b64 exec, exec, s[46:47]
	s_waitcnt vmcnt(1)
	ds_write_b16 v220, v1 offset:13312
	s_waitcnt vmcnt(0)
	ds_write_b16 v222, v16 offset:13312
	s_and_saveexec_b64 s[46:47], vcc
	s_xor_b64 s[46:47], exec, s[46:47]
	s_cbranch_execz .LBB14_245
; %bb.244:                              ;   in Loop: Header=BB14_11 Depth=1
	ds_write_b16 v224, v41 offset:13312
	ds_write_b16 v226, v41 offset:13312
.LBB14_245:                             ;   in Loop: Header=BB14_11 Depth=1
	s_or_saveexec_b64 s[46:47], s[46:47]
	v_mov_b32_e32 v1, 0
	v_mov_b32_e32 v16, 0
	s_xor_b64 exec, exec, s[46:47]
	s_cbranch_execz .LBB14_247
; %bb.246:                              ;   in Loop: Header=BB14_11 Depth=1
	v_add_u32_e32 v1, v206, v223
	v_mul_hi_u32 v16, s42, v1
	v_add_u32_e32 v16, v1, v16
	v_lshrrev_b32_e32 v16, s43, v16
	v_mul_lo_u32 v16, v16, s48
	v_sub_u32_e32 v1, v1, v16
	v_mad_i64_i32 v[16:17], s[64:65], v1, s84, 0
	v_lshl_add_u64 v[16:17], v[16:17], 1, v[14:15]
	global_load_ushort v1, v[16:17], off
	v_add_u32_e32 v16, v206, v225
	v_mul_hi_u32 v17, s42, v16
	v_add_u32_e32 v17, v16, v17
	v_lshrrev_b32_e32 v17, s43, v17
	v_mul_lo_u32 v17, v17, s48
	v_sub_u32_e32 v16, v16, v17
	v_mad_i64_i32 v[16:17], s[64:65], v16, s84, 0
	v_lshl_add_u64 v[16:17], v[16:17], 1, v[14:15]
	global_load_ushort v16, v[16:17], off
	s_waitcnt vmcnt(1)
	ds_write_b16 v224, v1 offset:13312
	s_waitcnt vmcnt(0)
	ds_write_b16 v226, v16 offset:13312
	v_add_u32_e32 v1, v206, v227
	v_mul_hi_u32 v16, s42, v1
	v_add_u32_e32 v16, v1, v16
	v_lshrrev_b32_e32 v16, s43, v16
	v_mul_lo_u32 v16, v16, s48
	v_sub_u32_e32 v1, v1, v16
	v_mad_i64_i32 v[16:17], s[64:65], v1, s84, 0
	v_lshl_add_u64 v[16:17], v[16:17], 1, v[14:15]
	global_load_ushort v1, v[16:17], off
	v_add_u32_e32 v16, v206, v229
	v_mul_hi_u32 v17, s42, v16
	v_add_u32_e32 v17, v16, v17
	v_lshrrev_b32_e32 v17, s43, v17
	v_mul_lo_u32 v17, v17, s48
	v_sub_u32_e32 v16, v16, v17
	v_mad_i64_i32 v[16:17], s[64:65], v16, s84, 0
	v_lshl_add_u64 v[16:17], v[16:17], 1, v[14:15]
	global_load_ushort v16, v[16:17], off
.LBB14_247:                             ;   in Loop: Header=BB14_11 Depth=1
	s_or_b64 exec, exec, s[46:47]
	s_waitcnt vmcnt(1)
	ds_write_b16 v228, v1 offset:13312
	s_waitcnt vmcnt(0)
	ds_write_b16 v230, v16 offset:13312
	s_and_saveexec_b64 s[46:47], vcc
	s_xor_b64 s[46:47], exec, s[46:47]
	s_cbranch_execz .LBB14_249
; %bb.248:                              ;   in Loop: Header=BB14_11 Depth=1
	ds_write_b16 v232, v41 offset:13312
	ds_write_b16 v234, v41 offset:13312
                                        ; implicit-def: $vgpr206
                                        ; implicit-def: $vgpr14_vgpr15
.LBB14_249:                             ;   in Loop: Header=BB14_11 Depth=1
	s_or_saveexec_b64 s[46:47], s[46:47]
	v_mov_b32_e32 v1, 0
	v_mov_b32_e32 v16, 0
	s_xor_b64 exec, exec, s[46:47]
	s_cbranch_execz .LBB14_251
; %bb.250:                              ;   in Loop: Header=BB14_11 Depth=1
	v_add_u32_e32 v1, v206, v231
	v_mul_hi_u32 v16, s42, v1
	v_add_u32_e32 v16, v1, v16
	v_lshrrev_b32_e32 v16, s43, v16
	v_mul_lo_u32 v16, v16, s48
	v_sub_u32_e32 v1, v1, v16
	v_mad_i64_i32 v[16:17], s[64:65], v1, s84, 0
	v_lshl_add_u64 v[16:17], v[16:17], 1, v[14:15]
	global_load_ushort v1, v[16:17], off
	v_add_u32_e32 v16, v206, v233
	v_mul_hi_u32 v17, s42, v16
	v_add_u32_e32 v17, v16, v17
	v_lshrrev_b32_e32 v17, s43, v17
	v_mul_lo_u32 v17, v17, s48
	v_sub_u32_e32 v16, v16, v17
	v_mad_i64_i32 v[16:17], s[64:65], v16, s84, 0
	v_lshl_add_u64 v[16:17], v[16:17], 1, v[14:15]
	global_load_ushort v16, v[16:17], off
	s_waitcnt vmcnt(1)
	ds_write_b16 v232, v1 offset:13312
	s_waitcnt vmcnt(0)
	ds_write_b16 v234, v16 offset:13312
	v_add_u32_e32 v1, v206, v235
	v_mul_hi_u32 v16, s42, v1
	v_add_u32_e32 v16, v1, v16
	v_lshrrev_b32_e32 v16, s43, v16
	v_mul_lo_u32 v16, v16, s48
	v_sub_u32_e32 v1, v1, v16
	v_mad_i64_i32 v[16:17], s[64:65], v1, s84, 0
	v_lshl_add_u64 v[16:17], v[16:17], 1, v[14:15]
	global_load_ushort v1, v[16:17], off
	v_add_u32_e32 v16, v206, v237
	v_mul_hi_u32 v17, s42, v16
	v_add_u32_e32 v17, v16, v17
	v_lshrrev_b32_e32 v17, s43, v17
	v_mul_lo_u32 v17, v17, s48
	v_sub_u32_e32 v16, v16, v17
	v_mad_i64_i32 v[16:17], s[64:65], v16, s84, 0
	v_lshl_add_u64 v[14:15], v[16:17], 1, v[14:15]
	global_load_ushort v16, v[14:15], off
.LBB14_251:                             ;   in Loop: Header=BB14_11 Depth=1
	s_or_b64 exec, exec, s[46:47]
	s_waitcnt vmcnt(1)
	ds_write_b16 v236, v1 offset:13312
	s_waitcnt vmcnt(0)
	ds_write_b16 v238, v16 offset:13312
.LBB14_252:                             ;   in Loop: Header=BB14_11 Depth=1
	s_mul_i32 s46, s60, s57
	s_mul_hi_u32 s47, s60, s56
	s_add_i32 s47, s47, s46
	s_mul_i32 s46, s60, s56
	s_lshl_b64 s[46:47], s[46:47], 2
	v_lshl_add_u64 v[14:15], v[84:85], 0, s[46:47]
	v_lshl_add_u64 v[16:17], v[44:45], 2, v[14:15]
	v_lshlrev_b32_e32 v40, 2, v46
	v_lshl_add_u64 v[16:17], v[16:17], 0, v[40:41]
	v_cmp_gt_i32_e64 s[94:95], s58, v146
	v_lshl_add_u64 v[16:17], v[16:17], 0, s[52:53]
	v_mov_b32_e32 v1, s37
	v_lshl_add_u64 v[18:19], v[50:51], 2, v[14:15]
	v_lshlrev_b32_e32 v28, 2, v48
	v_mov_b32_e32 v29, v41
	v_lshl_add_u64 v[14:15], v[52:53], 2, v[14:15]
	v_cndmask_b32_e64 v17, v1, v17, s[94:95]
	v_cndmask_b32_e64 v16, v185, v16, s[94:95]
	v_cmp_gt_i32_e64 s[88:89], s58, v239
	v_lshl_add_u64 v[14:15], v[14:15], 0, v[28:29]
	scratch_store_dwordx4 off, v[72:75], off
	v_cndmask_b32_e64 v21, v1, v15, s[88:89]
	v_cndmask_b32_e64 v20, v185, v14, s[88:89]
	flat_load_dwordx4 v[14:17], v[16:17]
	s_mov_b32 s38, s92
	v_cmp_gt_i32_e64 s[92:93], s58, v148
	v_lshl_add_u64 v[18:19], v[18:19], 0, v[28:29]
	s_andn2_b64 vcc, exec, s[62:63]
	v_cndmask_b32_e64 v19, v1, v19, s[92:93]
	v_cndmask_b32_e64 v18, v185, v18, s[92:93]
	v_add_u32_e32 v1, 0x800, v150
	s_waitcnt vmcnt(0) lgkmcnt(0)
	ds_write_b128 v147, v[14:17]
	flat_load_dwordx4 v[14:17], v[18:19]
	s_waitcnt vmcnt(0) lgkmcnt(0)
	ds_write_b128 v149, v[14:17]
	flat_load_dwordx4 v[14:17], v[20:21]
	s_waitcnt vmcnt(0) lgkmcnt(0)
	ds_write_b128 v240, v[14:17]
	s_waitcnt lgkmcnt(0)
	s_barrier
	ds_read2_b64 v[14:17], v150 offset1:4
	s_waitcnt lgkmcnt(0)
	v_mfma_f32_16x16x16_f16 v[18:21], v[14:15], v[10:11], 0
	v_mfma_f32_16x16x16_f16 v[14:17], v[16:17], v[12:13], v[18:21]
	s_nop 6
	ds_read2_b64 v[18:21], v150 offset0:8 offset1:12
	s_waitcnt lgkmcnt(0)
	v_mfma_f32_16x16x16_f16 v[14:17], v[18:19], v[6:7], v[14:17]
	v_mfma_f32_16x16x16_f16 v[14:17], v[20:21], v[8:9], v[14:17]
	ds_read2_b64 v[18:21], v150 offset0:16 offset1:20
	s_waitcnt lgkmcnt(0)
	v_mfma_f32_16x16x16_f16 v[14:17], v[18:19], v[2:3], v[14:17]
	v_mfma_f32_16x16x16_f16 v[22:25], v[20:21], v[4:5], v[14:17]
	s_nop 6
	ds_read2_b64 v[14:17], v1 offset0:160 offset1:164
	s_waitcnt lgkmcnt(0)
	v_mfma_f32_16x16x16_f16 v[18:21], v[14:15], v[10:11], 0
	v_mfma_f32_16x16x16_f16 v[14:17], v[16:17], v[12:13], v[18:21]
	s_nop 6
	ds_read2_b64 v[18:21], v1 offset0:168 offset1:172
	s_waitcnt lgkmcnt(0)
	v_mfma_f32_16x16x16_f16 v[14:17], v[18:19], v[6:7], v[14:17]
	v_mfma_f32_16x16x16_f16 v[14:17], v[20:21], v[8:9], v[14:17]
	ds_read2_b64 v[18:21], v1 offset0:176 offset1:180
	v_add_u32_e32 v1, 0x1800, v150
	s_waitcnt lgkmcnt(0)
	v_mfma_f32_16x16x16_f16 v[14:17], v[18:19], v[2:3], v[14:17]
	v_mfma_f32_16x16x16_f16 v[18:21], v[20:21], v[4:5], v[14:17]
	s_nop 6
	ds_read2_b64 v[14:17], v1 offset0:64 offset1:68
	s_waitcnt lgkmcnt(0)
	v_mfma_f32_16x16x16_f16 v[30:33], v[14:15], v[10:11], 0
	v_mfma_f32_16x16x16_f16 v[14:17], v[16:17], v[12:13], v[30:33]
	s_nop 6
	ds_read2_b64 v[30:33], v1 offset0:72 offset1:76
	s_waitcnt lgkmcnt(0)
	v_mfma_f32_16x16x16_f16 v[14:17], v[30:31], v[6:7], v[14:17]
	v_mfma_f32_16x16x16_f16 v[14:17], v[32:33], v[8:9], v[14:17]
	ds_read2_b64 v[30:33], v1 offset0:80 offset1:84
	v_add_u32_e32 v1, 0x2000, v150
	s_waitcnt lgkmcnt(0)
	v_mfma_f32_16x16x16_f16 v[14:17], v[30:31], v[2:3], v[14:17]
	v_mfma_f32_16x16x16_f16 v[14:17], v[32:33], v[4:5], v[14:17]
	ds_read2_b64 v[30:33], v1 offset0:224 offset1:228
	s_waitcnt lgkmcnt(0)
	v_mfma_f32_16x16x16_f16 v[66:69], v[30:31], v[10:11], 0
	v_mfma_f32_16x16x16_f16 v[10:13], v[32:33], v[12:13], v[66:69]
	ds_read2_b64 v[30:33], v1 offset0:232 offset1:236
	s_waitcnt lgkmcnt(0)
	v_mfma_f32_16x16x16_f16 v[10:13], v[30:31], v[6:7], v[10:13]
	v_mfma_f32_16x16x16_f16 v[6:9], v[32:33], v[8:9], v[10:13]
	s_nop 6
	ds_read2_b64 v[10:13], v1 offset0:240 offset1:244
	s_waitcnt lgkmcnt(0)
	v_mfma_f32_16x16x16_f16 v[6:9], v[10:11], v[2:3], v[6:9]
	s_barrier
	v_mfma_f32_16x16x16_f16 v[2:5], v[12:13], v[4:5], v[6:9]
	s_cbranch_vccnz .LBB14_254
; %bb.253:                              ;   in Loop: Header=BB14_11 Depth=1
	ds_read_b32 v1, v152 offset:13312
	s_waitcnt lgkmcnt(0)
	s_nop 2
	v_cvt_f32_f16_sdwa v7, v1 dst_sel:DWORD dst_unused:UNUSED_PAD src0_sel:WORD_1
	v_cvt_f32_f16_e32 v6, v1
	ds_read_b32 v1, v153 offset:13312
	v_pk_fma_f32 v[22:23], v[82:83], v[6:7], v[22:23] op_sel_hi:[0,1,1]
	s_waitcnt lgkmcnt(0)
	v_cvt_f32_f16_sdwa v9, v1 dst_sel:DWORD dst_unused:UNUSED_PAD src0_sel:WORD_1
	v_cvt_f32_f16_e32 v8, v1
	v_add_u32_e32 v1, 0x3400, v155
	ds_read2_b32 v[6:7], v1 offset1:1
	v_add_u32_e32 v1, 0x3400, v157
	v_pk_fma_f32 v[24:25], v[82:83], v[8:9], v[24:25] op_sel_hi:[0,1,1]
	s_waitcnt lgkmcnt(0)
	v_cvt_f32_f16_e32 v8, v6
	v_cvt_f32_f16_sdwa v9, v6 dst_sel:DWORD dst_unused:UNUSED_PAD src0_sel:WORD_1
	v_cvt_f32_f16_e32 v6, v7
	v_cvt_f32_f16_sdwa v7, v7 dst_sel:DWORD dst_unused:UNUSED_PAD src0_sel:WORD_1
	v_pk_fma_f32 v[18:19], v[82:83], v[8:9], v[18:19] op_sel_hi:[0,1,1]
	v_pk_fma_f32 v[20:21], v[82:83], v[6:7], v[20:21] op_sel_hi:[0,1,1]
	ds_read2_b32 v[6:7], v1 offset1:1
	v_add_u32_e32 v1, 0x3400, v159
	s_waitcnt lgkmcnt(0)
	v_cvt_f32_f16_e32 v8, v6
	v_cvt_f32_f16_sdwa v9, v6 dst_sel:DWORD dst_unused:UNUSED_PAD src0_sel:WORD_1
	v_cvt_f32_f16_e32 v6, v7
	v_cvt_f32_f16_sdwa v7, v7 dst_sel:DWORD dst_unused:UNUSED_PAD src0_sel:WORD_1
	v_pk_fma_f32 v[14:15], v[82:83], v[8:9], v[14:15] op_sel_hi:[0,1,1]
	v_pk_fma_f32 v[16:17], v[82:83], v[6:7], v[16:17] op_sel_hi:[0,1,1]
	ds_read2_b32 v[6:7], v1 offset1:1
	s_waitcnt lgkmcnt(0)
	v_cvt_f32_f16_e32 v8, v6
	v_cvt_f32_f16_sdwa v9, v6 dst_sel:DWORD dst_unused:UNUSED_PAD src0_sel:WORD_1
	v_cvt_f32_f16_e32 v6, v7
	v_cvt_f32_f16_sdwa v7, v7 dst_sel:DWORD dst_unused:UNUSED_PAD src0_sel:WORD_1
	v_pk_fma_f32 v[2:3], v[82:83], v[8:9], v[2:3] op_sel_hi:[0,1,1]
	v_pk_fma_f32 v[4:5], v[82:83], v[6:7], v[4:5] op_sel_hi:[0,1,1]
.LBB14_254:                             ;   in Loop: Header=BB14_11 Depth=1
	v_add_f32_e32 v1, 0x40051340, v22
	s_nop 3
	v_max_f32_e32 v6, v182, v182
	v_cmp_gt_u32_e64 s[96:97], s58, v151
	v_max_f32_e32 v1, v6, v1
	v_add_f32_e32 v6, 0x40051340, v23
	v_cndmask_b32_e64 v1, v182, v1, s[96:97]
	v_max_f32_e32 v7, v1, v1
	v_cmp_gt_u32_e64 s[90:91], s58, v184
	v_max_f32_e32 v6, v7, v6
	v_cmp_gt_u32_e64 s[84:85], s58, v196
	v_cndmask_b32_e64 v1, v1, v6, s[90:91]
	v_add_f32_e32 v6, 0x40051340, v24
	v_max_f32_e32 v7, v1, v1
	v_max_f32_e32 v6, v7, v6
	v_cndmask_b32_e64 v1, v1, v6, s[84:85]
	v_add_f32_e32 v6, 0x40051340, v25
	v_max_f32_e32 v7, v1, v1
	v_cmp_gt_u32_e64 s[80:81], s58, v171
	v_max_f32_e32 v6, v7, v6
	v_cmp_gt_u32_e64 s[86:87], s58, v154
	v_cndmask_b32_e64 v1, v1, v6, s[80:81]
	v_add_f32_e32 v6, 0x40051340, v18
	v_max_f32_e32 v7, v1, v1
	v_max_f32_e32 v6, v7, v6
	v_cndmask_b32_e64 v1, v1, v6, s[86:87]
	v_add_f32_e32 v6, 0x40051340, v19
	;; [unrolled: 10-line block ×7, first 2 shown]
	v_max_f32_e32 v7, v1, v1
	v_cmp_gt_u32_e64 s[62:63], s58, v251
	v_max_f32_e32 v6, v7, v6
	v_xor_b32_e32 v7, 32, v143
	v_cndmask_b32_e64 v1, v1, v6, s[62:63]
	v_and_b32_e32 v6, 64, v143
	v_add_u32_e32 v6, 64, v6
	v_cmp_lt_i32_e32 vcc, v7, v6
	s_mul_i32 s58, s60, s51
	v_mov_b32_e32 v30, s37
	v_cndmask_b32_e32 v7, v143, v7, vcc
	v_lshlrev_b32_e32 v32, 2, v7
	ds_bpermute_b32 v7, v32, v1
	v_max_f32_e32 v1, v1, v1
	scratch_store_dwordx4 off, v[72:75], off
	s_waitcnt lgkmcnt(0)
	v_max_f32_e32 v7, v7, v7
	v_max_f32_e32 v1, v1, v7
	v_xor_b32_e32 v7, 16, v143
	v_cmp_lt_i32_e32 vcc, v7, v6
	s_nop 1
	v_cndmask_b32_e32 v6, v143, v7, vcc
	v_lshlrev_b32_e32 v27, 2, v6
	ds_bpermute_b32 v6, v27, v1
	s_waitcnt lgkmcnt(0)
	v_max_f32_e32 v6, v6, v6
	v_max_f32_e32 v26, v1, v6
	v_sub_f32_e32 v1, v22, v26
	v_mul_f32_e32 v6, 0x3fb8aa3b, v1
	v_fma_f32 v7, v1, s36, -v6
	v_rndne_f32_e32 v8, v6
	v_fmac_f32_e32 v7, 0x32a5705f, v1
	v_sub_f32_e32 v6, v6, v8
	v_add_f32_e32 v6, v6, v7
	v_exp_f32_e32 v6, v6
	v_cvt_i32_f32_e32 v7, v8
	v_cmp_ngt_f32_e32 vcc, s33, v1
	v_sub_f32_e32 v14, v14, v26
	v_sub_f32_e32 v16, v16, v26
	v_ldexp_f32 v6, v6, v7
	v_cndmask_b32_e32 v6, 0, v6, vcc
	v_cmp_nlt_f32_e32 vcc, s49, v1
	v_sub_f32_e32 v7, v23, v26
	v_mul_f32_e32 v8, 0x3fb8aa3b, v7
	v_cndmask_b32_e32 v1, v186, v6, vcc
	v_cndmask_b32_e64 v6, 0, v1, s[96:97]
	s_mul_hi_u32 s96, s60, s50
	s_add_i32 s97, s96, s58
	s_mul_i32 s96, s60, s50
	s_lshl_b64 s[96:97], s[96:97], 2
	v_lshl_add_u64 v[22:23], v[80:81], 0, s[96:97]
	v_lshl_add_u64 v[12:13], v[56:57], 2, v[22:23]
	;; [unrolled: 1-line block ×4, first 2 shown]
	v_cndmask_b32_e64 v13, v30, v13, s[94:95]
	v_cndmask_b32_e64 v12, v185, v12, s[94:95]
	flat_load_dwordx4 v[84:87], v[12:13]
	v_fma_f32 v9, v7, s36, -v8
	v_rndne_f32_e32 v10, v8
	v_fmac_f32_e32 v9, 0x32a5705f, v7
	v_sub_f32_e32 v8, v8, v10
	v_add_f32_e32 v8, v8, v9
	v_exp_f32_e32 v8, v8
	v_cvt_i32_f32_e32 v9, v10
	v_cmp_ngt_f32_e32 vcc, s33, v7
	v_sub_f32_e32 v2, v2, v26
	v_sub_f32_e32 v3, v3, v26
	v_ldexp_f32 v1, v8, v9
	v_sub_f32_e32 v8, v24, v26
	v_cndmask_b32_e32 v1, 0, v1, vcc
	v_cmp_nlt_f32_e32 vcc, s49, v7
	v_mul_f32_e32 v7, 0x3fb8aa3b, v8
	v_fma_f32 v9, v8, s36, -v7
	v_rndne_f32_e32 v10, v7
	v_fmac_f32_e32 v9, 0x32a5705f, v8
	v_sub_f32_e32 v7, v7, v10
	v_add_f32_e32 v7, v7, v9
	v_exp_f32_e32 v9, v7
	v_cvt_i32_f32_e32 v10, v10
	v_cndmask_b32_e32 v11, v186, v1, vcc
	v_mov_b32_e32 v1, s61
	v_cndmask_b32_e64 v7, v1, v11, s[90:91]
	v_ldexp_f32 v1, v9, v10
	v_cmp_ngt_f32_e32 vcc, s33, v8
	v_sub_f32_e32 v9, v25, v26
	v_sub_f32_e32 v4, v4, v26
	v_cndmask_b32_e32 v1, 0, v1, vcc
	v_cmp_nlt_f32_e32 vcc, s49, v8
	v_mul_f32_e32 v8, 0x3fb8aa3b, v9
	v_fma_f32 v10, v9, s36, -v8
	v_rndne_f32_e32 v12, v8
	v_fmac_f32_e32 v10, 0x32a5705f, v9
	v_sub_f32_e32 v8, v8, v12
	v_add_f32_e32 v8, v8, v10
	v_exp_f32_e32 v24, v8
	v_cvt_i32_f32_e32 v12, v12
	v_cndmask_b32_e32 v13, v186, v1, vcc
	v_mov_b32_e32 v8, s61
	v_cndmask_b32_e64 v10, v8, v13, s[84:85]
	v_ldexp_f32 v1, v24, v12
	v_cmp_ngt_f32_e32 vcc, s33, v9
	v_sub_f32_e32 v8, v18, v26
	;; [unrolled: 17-line block ×3, first 2 shown]
	s_waitcnt vmcnt(0) lgkmcnt(0)
	ds_write_b128 v147, v[84:87]
	v_cndmask_b32_e32 v1, 0, v1, vcc
	v_cmp_nlt_f32_e32 vcc, s49, v8
	v_mul_f32_e32 v8, 0x3fb8aa3b, v9
	v_fma_f32 v12, v9, s36, -v8
	v_rndne_f32_e32 v18, v8
	v_fmac_f32_e32 v12, 0x32a5705f, v9
	v_sub_f32_e32 v8, v8, v18
	v_add_f32_e32 v8, v8, v12
	v_exp_f32_e32 v12, v8
	v_cvt_i32_f32_e32 v18, v18
	v_cndmask_b32_e32 v67, v186, v1, vcc
	v_cmp_ngt_f32_e32 vcc, s33, v9
	v_mov_b32_e32 v8, s61
	v_ldexp_f32 v1, v12, v18
	v_cndmask_b32_e32 v1, 0, v1, vcc
	v_cmp_nlt_f32_e32 vcc, s49, v9
	v_sub_f32_e32 v9, v20, v26
	v_mul_f32_e32 v12, 0x3fb8aa3b, v9
	v_fma_f32 v18, v9, s36, -v12
	v_rndne_f32_e32 v19, v12
	v_fmac_f32_e32 v18, 0x32a5705f, v9
	v_sub_f32_e32 v12, v12, v19
	v_add_f32_e32 v12, v12, v18
	v_exp_f32_e32 v12, v12
	v_cvt_i32_f32_e32 v18, v19
	v_cndmask_b32_e32 v68, v186, v1, vcc
	v_cmp_ngt_f32_e32 vcc, s33, v9
	v_mov_b32_e32 v1, s61
	v_ldexp_f32 v12, v12, v18
	v_cndmask_b32_e32 v12, 0, v12, vcc
	v_cmp_nlt_f32_e32 vcc, s49, v9
	v_sub_f32_e32 v9, v21, v26
	v_cndmask_b32_e64 v8, v8, v67, s[86:87]
	v_cndmask_b32_e32 v69, v186, v12, vcc
	v_mul_f32_e32 v12, 0x3fb8aa3b, v9
	v_fma_f32 v18, v9, s36, -v12
	v_rndne_f32_e32 v19, v12
	v_fmac_f32_e32 v18, 0x32a5705f, v9
	v_sub_f32_e32 v12, v12, v19
	v_add_f32_e32 v12, v12, v18
	v_cvt_i32_f32_e32 v31, v19
	v_lshl_add_u64 v[18:19], v[58:59], 2, v[22:23]
	v_lshl_add_u64 v[18:19], v[18:19], 0, v[28:29]
	v_cndmask_b32_e64 v19, v30, v19, s[92:93]
	v_cndmask_b32_e64 v18, v185, v18, s[92:93]
	flat_load_dwordx4 v[18:21], v[18:19]
	v_exp_f32_e32 v25, v12
	v_cmp_ngt_f32_e32 vcc, s33, v9
	v_mov_b32_e32 v12, s61
	v_cndmask_b32_e64 v1, v1, v68, s[82:83]
	v_ldexp_f32 v25, v25, v31
	v_cndmask_b32_e32 v25, 0, v25, vcc
	v_cmp_nlt_f32_e32 vcc, s49, v9
	v_mul_f32_e32 v9, 0x3fb8aa3b, v14
	v_fma_f32 v31, v14, s36, -v9
	v_rndne_f32_e32 v33, v9
	v_fmac_f32_e32 v31, 0x32a5705f, v14
	v_sub_f32_e32 v9, v9, v33
	v_add_f32_e32 v9, v9, v31
	v_exp_f32_e32 v31, v9
	v_cvt_i32_f32_e32 v33, v33
	v_cndmask_b32_e32 v62, v186, v25, vcc
	v_mov_b32_e32 v9, s61
	v_cndmask_b32_e64 v71, v9, v62, s[74:75]
	v_ldexp_f32 v9, v31, v33
	v_cmp_ngt_f32_e32 vcc, s33, v14
	v_sub_f32_e32 v25, v15, v26
	v_cndmask_b32_e64 v12, v12, v69, s[78:79]
	v_cndmask_b32_e32 v9, 0, v9, vcc
	v_cmp_nlt_f32_e32 vcc, s49, v14
	v_mul_f32_e32 v14, 0x3fb8aa3b, v25
	v_fma_f32 v15, v25, s36, -v14
	v_rndne_f32_e32 v31, v14
	v_fmac_f32_e32 v15, 0x32a5705f, v25
	v_sub_f32_e32 v14, v14, v31
	v_add_f32_e32 v14, v14, v15
	v_exp_f32_e32 v33, v14
	v_cvt_i32_f32_e32 v31, v31
	v_cndmask_b32_e32 v15, v186, v9, vcc
	v_cmp_ngt_f32_e32 vcc, s33, v25
	v_mov_b32_e32 v14, s61
	v_ldexp_f32 v9, v33, v31
	v_cndmask_b32_e32 v9, 0, v9, vcc
	v_cmp_nlt_f32_e32 vcc, s49, v25
	v_mul_f32_e32 v25, 0x3fb8aa3b, v16
	v_fma_f32 v31, v16, s36, -v25
	v_rndne_f32_e32 v33, v25
	v_fmac_f32_e32 v31, 0x32a5705f, v16
	v_sub_f32_e32 v25, v25, v33
	v_add_f32_e32 v25, v25, v31
	v_exp_f32_e32 v25, v25
	v_cvt_i32_f32_e32 v31, v33
	v_cndmask_b32_e32 v63, v186, v9, vcc
	v_cmp_ngt_f32_e32 vcc, s33, v16
	v_mov_b32_e32 v9, s61
	v_ldexp_f32 v25, v25, v31
	v_sub_f32_e32 v31, v17, v26
	v_cndmask_b32_e32 v25, 0, v25, vcc
	v_cmp_nlt_f32_e32 vcc, s49, v16
	v_mul_f32_e32 v16, 0x3fb8aa3b, v31
	v_fma_f32 v17, v31, s36, -v16
	v_rndne_f32_e32 v33, v16
	v_fmac_f32_e32 v17, 0x32a5705f, v31
	v_sub_f32_e32 v16, v16, v33
	v_add_f32_e32 v16, v16, v17
	v_exp_f32_e32 v40, v16
	v_cvt_i32_f32_e32 v33, v33
	v_cndmask_b32_e32 v17, v186, v25, vcc
	v_cmp_ngt_f32_e32 vcc, s33, v31
	v_cmp_nlt_f32_e64 s[92:93], s49, v31
	v_mul_f32_e32 v31, 0x3fb8aa3b, v2
	v_ldexp_f32 v25, v40, v33
	v_fma_f32 v33, v2, s36, -v31
	v_rndne_f32_e32 v40, v31
	v_fmac_f32_e32 v33, 0x32a5705f, v2
	v_sub_f32_e32 v31, v31, v40
	v_add_f32_e32 v31, v31, v33
	v_exp_f32_e32 v33, v31
	v_cvt_i32_f32_e32 v40, v40
	v_cndmask_b32_e32 v25, 0, v25, vcc
	v_cmp_ngt_f32_e32 vcc, s33, v2
	v_cndmask_b32_e64 v70, v186, v25, s[92:93]
	s_mov_b32 s93, 0xc1a00000
	v_mov_b32_e32 v16, s61
	v_cndmask_b32_e64 v14, v14, v15, s[70:71]
	s_waitcnt vmcnt(0) lgkmcnt(0)
	ds_write_b128 v149, v[18:21]
	v_lshl_add_u64 v[18:19], v[60:61], 2, v[22:23]
	v_lshl_add_u64 v[18:19], v[18:19], 0, v[28:29]
	v_cndmask_b32_e64 v19, v30, v19, s[88:89]
	v_cndmask_b32_e64 v18, v185, v18, s[88:89]
	flat_load_dwordx4 v[28:31], v[18:19]
	v_ldexp_f32 v18, v33, v40
	v_mov_b32_e32 v19, s61
	v_cndmask_b32_e32 v18, 0, v18, vcc
	v_cmp_nlt_f32_e32 vcc, s49, v2
	v_mul_f32_e32 v2, 0x3fb8aa3b, v3
	v_cndmask_b32_e64 v82, v19, v70, s[68:69]
	v_fma_f32 v19, v3, s36, -v2
	v_rndne_f32_e32 v20, v2
	v_fmac_f32_e32 v19, 0x32a5705f, v3
	v_sub_f32_e32 v2, v2, v20
	v_add_f32_e32 v2, v2, v19
	v_exp_f32_e32 v19, v2
	v_cvt_i32_f32_e32 v20, v20
	v_cndmask_b32_e32 v18, v186, v18, vcc
	v_cmp_ngt_f32_e32 vcc, s33, v3
	v_cndmask_b32_e64 v9, v9, v63, s[76:77]
	v_ldexp_f32 v19, v19, v20
	v_cndmask_b32_e32 v19, 0, v19, vcc
	v_cmp_nlt_f32_e32 vcc, s49, v3
	v_mul_f32_e32 v3, 0x3fb8aa3b, v4
	v_fma_f32 v20, v4, s36, -v3
	v_rndne_f32_e32 v21, v3
	v_fmac_f32_e32 v20, 0x32a5705f, v4
	v_sub_f32_e32 v3, v3, v21
	v_add_f32_e32 v3, v3, v20
	v_exp_f32_e32 v20, v3
	v_cvt_i32_f32_e32 v21, v21
	v_cndmask_b32_e32 v19, v186, v19, vcc
	v_cmp_ngt_f32_e32 vcc, s33, v4
	v_cndmask_b32_e64 v16, v16, v17, s[72:73]
	v_ldexp_f32 v20, v20, v21
	v_cndmask_b32_e32 v20, 0, v20, vcc
	v_cmp_nlt_f32_e32 vcc, s49, v4
	v_mul_f32_e32 v4, 0x3fb8aa3b, v5
	v_fma_f32 v21, v5, s36, -v4
	v_rndne_f32_e32 v22, v4
	v_fmac_f32_e32 v21, 0x32a5705f, v5
	v_sub_f32_e32 v4, v4, v22
	v_add_f32_e32 v4, v4, v21
	v_exp_f32_e32 v21, v4
	v_cvt_i32_f32_e32 v22, v22
	v_cndmask_b32_e32 v20, v186, v20, vcc
	v_cmp_ngt_f32_e32 vcc, s33, v5
	v_mov_b32_e32 v2, s61
	v_ldexp_f32 v21, v21, v22
	v_sub_f32_e32 v22, v182, v26
	v_mul_f32_e32 v23, 0x3fb8aa3b, v22
	v_fma_f32 v25, v22, s36, -v23
	v_rndne_f32_e32 v33, v23
	v_fmac_f32_e32 v25, 0x32a5705f, v22
	v_sub_f32_e32 v23, v23, v33
	v_add_f32_e32 v23, v23, v25
	v_exp_f32_e32 v23, v23
	v_cvt_i32_f32_e32 v25, v33
	v_cndmask_b32_e32 v21, 0, v21, vcc
	v_cmp_nlt_f32_e32 vcc, s49, v5
	v_cmp_ngt_f32_e64 s[88:89], s33, v22
	v_ldexp_f32 v5, v23, v25
	v_cndmask_b32_e32 v40, v186, v21, vcc
	v_cndmask_b32_e64 v5, 0, v5, s[88:89]
	v_cmp_nlt_f32_e64 s[88:89], s49, v22
	v_mov_b32_e32 v3, s61
	v_mov_b32_e32 v4, s61
	v_cndmask_b32_e64 v5, v186, v5, s[88:89]
	v_cmp_le_f32_e64 s[88:89], s93, v22
	v_cndmask_b32_e64 v2, v2, v18, s[64:65]
	v_cndmask_b32_e64 v3, v3, v19, s[46:47]
	;; [unrolled: 1-line block ×3, first 2 shown]
	v_cvt_f16_f32_e32 v22, v33
	v_mov_b32_e32 v5, s61
	v_cndmask_b32_e64 v4, v4, v20, s[66:67]
	v_cndmask_b32_e64 v5, v5, v40, s[62:63]
	v_mul_u32_u24_e32 v21, 0x10001, v22
	v_pk_mul_f16 v22, v180, v21
	v_pk_mul_f16 v25, v142, v21
	v_cvt_f32_f16_e32 v84, v22
	v_cvt_f32_f16_sdwa v85, v22 dst_sel:DWORD dst_unused:UNUSED_PAD src0_sel:WORD_1
	v_cvt_f32_f16_e32 v86, v25
	v_cvt_f32_f16_sdwa v87, v25 dst_sel:DWORD dst_unused:UNUSED_PAD src0_sel:WORD_1
	s_waitcnt vmcnt(0) lgkmcnt(0)
	ds_write_b128 v240, v[28:31]
	s_waitcnt lgkmcnt(0)
	s_barrier
	ds_read_u16 v28, v160 offset:208
	ds_read_u16 v23, v161
	ds_read_u16 v29, v162
	;; [unrolled: 1-line block ×3, first 2 shown]
	v_cvt_pk_f16_f32 v31, v10, v24
	v_pk_mul_f16 v88, v204, v21
	v_pk_mul_f16 v89, v198, v21
	s_waitcnt lgkmcnt(1)
	v_perm_b32 v23, v29, v23, s59
	s_waitcnt lgkmcnt(0)
	v_perm_b32 v22, v28, v30, s59
	v_cvt_pk_f16_f32 v30, v6, v7
	v_cmp_eq_u64_e32 vcc, 0, v[78:79]
	s_and_b64 vcc, exec, vcc
	v_mfma_f32_16x16x16_f16 v[22:25], v[22:23], v[30:31], v[84:87]
	ds_read_u16 v28, v160 offset:3328
	ds_read_u16 v29, v161 offset:3328
	;; [unrolled: 1-line block ×4, first 2 shown]
	s_nop 3
	v_cvt_f16_f32_e32 v7, v22
	v_cvt_f16_f32_e32 v10, v23
	;; [unrolled: 1-line block ×4, first 2 shown]
	s_waitcnt lgkmcnt(1)
	v_perm_b32 v81, v80, v29, s59
	s_waitcnt lgkmcnt(0)
	v_perm_b32 v80, v84, v28, s59
	v_cvt_f32_f16_e32 v22, v7
	v_cvt_f32_f16_e32 v23, v10
	;; [unrolled: 1-line block ×4, first 2 shown]
	v_cvt_pk_f16_f32 v29, v12, v71
	v_cvt_pk_f16_f32 v28, v8, v1
	ds_read_u16 v7, v161 offset:32
	s_nop 0
	v_mfma_f32_16x16x16_f16 v[22:25], v[80:81], v[28:29], v[22:25]
	s_nop 7
	v_cvt_f16_f32_e32 v1, v22
	v_cvt_f16_f32_e32 v8, v23
	;; [unrolled: 1-line block ×4, first 2 shown]
	ds_read_u16 v22, v160 offset:6656
	ds_read_u16 v23, v161 offset:6656
	;; [unrolled: 1-line block ×4, first 2 shown]
	v_cvt_f32_f16_e32 v84, v1
	v_cvt_f32_f16_e32 v85, v8
	;; [unrolled: 1-line block ×3, first 2 shown]
	s_waitcnt lgkmcnt(1)
	v_perm_b32 v23, v24, v23, s59
	s_waitcnt lgkmcnt(0)
	v_perm_b32 v22, v25, v22, s59
	v_cvt_f32_f16_e32 v87, v12
	v_cvt_pk_f16_f32 v25, v16, v82
	v_cvt_pk_f16_f32 v24, v14, v9
	ds_read_u16 v1, v162 offset:32
	s_nop 0
	v_mfma_f32_16x16x16_f16 v[84:87], v[22:23], v[24:25], v[84:87]
	ds_read_u16 v14, v160 offset:9984
	ds_read_u16 v16, v161 offset:9984
	;; [unrolled: 1-line block ×4, first 2 shown]
	s_nop 3
	v_cvt_f16_f32_e32 v8, v84
	v_cvt_f16_f32_e32 v9, v85
	;; [unrolled: 1-line block ×4, first 2 shown]
	v_cvt_f32_f16_e32 v84, v8
	v_cvt_f32_f16_e32 v85, v9
	s_waitcnt lgkmcnt(1)
	v_perm_b32 v9, v22, v16, s59
	s_waitcnt lgkmcnt(0)
	v_perm_b32 v8, v23, v14, s59
	v_cvt_f32_f16_e32 v86, v10
	v_cvt_f32_f16_e32 v87, v12
	v_cvt_pk_f16_f32 v23, v4, v5
	v_cvt_pk_f16_f32 v22, v2, v3
	ds_read_u16 v10, v160 offset:32
	s_nop 0
	v_mfma_f32_16x16x16_f16 v[2:5], v[8:9], v[22:23], v[84:87]
	ds_read_u16 v8, v160 offset:240
	v_perm_b32 v9, v1, v7, s59
	s_waitcnt lgkmcnt(0)
	v_perm_b32 v8, v8, v10, s59
	v_cvt_f32_f16_e32 v84, v88
	v_cvt_f32_f16_sdwa v85, v88 dst_sel:DWORD dst_unused:UNUSED_PAD src0_sel:WORD_1
	v_cvt_f32_f16_e32 v86, v89
	v_cvt_f32_f16_sdwa v87, v89 dst_sel:DWORD dst_unused:UNUSED_PAD src0_sel:WORD_1
	s_nop 1
	v_mfma_f32_16x16x16_f16 v[84:87], v[8:9], v[30:31], v[84:87]
	ds_read_u16 v12, v160 offset:3360
	ds_read_u16 v9, v161 offset:3360
	;; [unrolled: 1-line block ×4, first 2 shown]
	s_nop 3
	v_cvt_f16_f32_e32 v8, v86
	v_cvt_f16_f32_e32 v1, v84
	v_cvt_f16_f32_e32 v7, v85
	v_cvt_f16_f32_e32 v10, v87
	v_cvt_f32_f16_e32 v86, v8
	s_waitcnt lgkmcnt(1)
	v_perm_b32 v9, v14, v9, s59
	s_waitcnt lgkmcnt(0)
	v_perm_b32 v8, v16, v12, s59
	v_cvt_f32_f16_e32 v84, v1
	v_cvt_f32_f16_e32 v85, v7
	;; [unrolled: 1-line block ×3, first 2 shown]
	s_nop 1
	v_mfma_f32_16x16x16_f16 v[84:87], v[8:9], v[28:29], v[84:87]
	ds_read_u16 v12, v160 offset:6688
	ds_read_u16 v9, v161 offset:6688
	;; [unrolled: 1-line block ×4, first 2 shown]
	s_nop 3
	v_cvt_f16_f32_e32 v8, v86
	v_cvt_f16_f32_e32 v1, v84
	;; [unrolled: 1-line block ×4, first 2 shown]
	v_cvt_f32_f16_e32 v86, v8
	s_waitcnt lgkmcnt(1)
	v_perm_b32 v9, v14, v9, s59
	s_waitcnt lgkmcnt(0)
	v_perm_b32 v8, v16, v12, s59
	v_cvt_f32_f16_e32 v84, v1
	v_cvt_f32_f16_e32 v85, v7
	;; [unrolled: 1-line block ×3, first 2 shown]
	v_add_f32_e32 v1, v11, v6
	ds_read_u16 v12, v160 offset:10016
	ds_read_u16 v14, v161 offset:10016
	ds_read_u16 v16, v162 offset:10016
	ds_read_u16 v71, v160 offset:10224
	v_mfma_f32_16x16x16_f16 v[8:11], v[8:9], v[24:25], v[84:87]
	v_cndmask_b32_e64 v1, v6, v1, s[90:91]
	s_waitcnt lgkmcnt(1)
	v_perm_b32 v81, v16, v14, s59
	s_waitcnt lgkmcnt(0)
	v_perm_b32 v80, v71, v12, s59
	v_pk_mul_f16 v12, v141, v21
	s_nop 1
	v_cvt_f16_f32_e32 v7, v8
	v_cvt_f16_f32_e32 v9, v9
	;; [unrolled: 1-line block ×4, first 2 shown]
	v_cvt_f32_f16_e32 v8, v7
	v_cvt_f32_f16_e32 v9, v9
	;; [unrolled: 1-line block ×4, first 2 shown]
	v_pk_mul_f16 v14, v140, v21
	v_cvt_f32_f16_e32 v84, v12
	v_mfma_f32_16x16x16_f16 v[6:9], v[80:81], v[22:23], v[8:11]
	s_nop 2
	ds_read_u16 v10, v160 offset:64
	ds_read_u16 v11, v161 offset:64
	;; [unrolled: 1-line block ×4, first 2 shown]
	v_cvt_f32_f16_sdwa v85, v12 dst_sel:DWORD dst_unused:UNUSED_PAD src0_sel:WORD_1
	v_cvt_f32_f16_e32 v86, v14
	v_cvt_f32_f16_sdwa v87, v14 dst_sel:DWORD dst_unused:UNUSED_PAD src0_sel:WORD_1
	s_waitcnt lgkmcnt(1)
	v_perm_b32 v11, v16, v11, s59
	s_waitcnt lgkmcnt(0)
	v_perm_b32 v10, v71, v10, s59
	v_add_f32_e32 v12, v1, v13
	v_cndmask_b32_e64 v1, v1, v12, s[84:85]
	v_mfma_f32_16x16x16_f16 v[10:13], v[10:11], v[30:31], v[84:87]
	v_add_f32_e32 v14, v1, v66
	ds_read_u16 v16, v160 offset:3392
	ds_read_u16 v66, v161 offset:3392
	;; [unrolled: 1-line block ×4, first 2 shown]
	v_cndmask_b32_e64 v1, v1, v14, s[80:81]
	s_nop 1
	v_cvt_f16_f32_e32 v10, v10
	v_cvt_f16_f32_e32 v11, v11
	;; [unrolled: 1-line block ×4, first 2 shown]
	s_waitcnt lgkmcnt(1)
	v_perm_b32 v81, v71, v66, s59
	s_waitcnt lgkmcnt(0)
	v_perm_b32 v80, v80, v16, s59
	v_cvt_f32_f16_e32 v10, v10
	v_cvt_f32_f16_e32 v11, v11
	v_cvt_f32_f16_e32 v12, v12
	v_cvt_f32_f16_e32 v13, v13
	v_add_f32_e32 v14, v67, v1
	v_cndmask_b32_e64 v1, v1, v14, s[86:87]
	v_mfma_f32_16x16x16_f16 v[10:13], v[80:81], v[28:29], v[10:13]
	ds_read_u16 v14, v160 offset:6720
	ds_read_u16 v16, v161 offset:6720
	;; [unrolled: 1-line block ×4, first 2 shown]
	v_cvt_f16_f32_e32 v8, v8
	v_cvt_f16_f32_e32 v9, v9
	s_nop 1
	v_cvt_f16_f32_e32 v10, v10
	v_cvt_f16_f32_e32 v11, v11
	;; [unrolled: 1-line block ×4, first 2 shown]
	s_waitcnt lgkmcnt(1)
	v_perm_b32 v67, v66, v16, s59
	s_waitcnt lgkmcnt(0)
	v_perm_b32 v66, v71, v14, s59
	v_cvt_f32_f16_e32 v10, v10
	v_cvt_f32_f16_e32 v11, v11
	;; [unrolled: 1-line block ×4, first 2 shown]
	v_add_f32_e32 v14, v68, v1
	v_cndmask_b32_e64 v1, v1, v14, s[82:83]
	v_mfma_f32_16x16x16_f16 v[10:13], v[66:67], v[24:25], v[10:13]
	ds_read_u16 v16, v160 offset:10048
	ds_read_u16 v66, v161 offset:10048
	;; [unrolled: 1-line block ×4, first 2 shown]
	v_add_f32_e32 v14, v69, v1
	ds_read_u16 v69, v160 offset:96
	ds_read_u16 v71, v161 offset:96
	;; [unrolled: 1-line block ×4, first 2 shown]
	v_cvt_f16_f32_e32 v10, v10
	v_cvt_f16_f32_e32 v11, v11
	;; [unrolled: 1-line block ×4, first 2 shown]
	s_waitcnt lgkmcnt(5)
	v_perm_b32 v67, v67, v66, s59
	s_waitcnt lgkmcnt(4)
	v_perm_b32 v66, v68, v16, s59
	v_cvt_f32_f16_e32 v10, v10
	v_cvt_f32_f16_e32 v11, v11
	;; [unrolled: 1-line block ×4, first 2 shown]
	v_cndmask_b32_e64 v1, v1, v14, s[78:79]
	v_pk_mul_f16 v14, v138, v21
	v_pk_mul_f16 v16, v139, v21
	s_waitcnt lgkmcnt(1)
	v_perm_b32 v81, v80, v71, s59
	s_waitcnt lgkmcnt(0)
	v_perm_b32 v80, v82, v69, s59
	v_mfma_f32_16x16x16_f16 v[10:13], v[66:67], v[22:23], v[10:13]
	v_cvt_f32_f16_e32 v66, v14
	v_cvt_f32_f16_sdwa v67, v14 dst_sel:DWORD dst_unused:UNUSED_PAD src0_sel:WORD_1
	v_cvt_f32_f16_e32 v68, v16
	v_cvt_f32_f16_sdwa v69, v16 dst_sel:DWORD dst_unused:UNUSED_PAD src0_sel:WORD_1
	v_add_f32_e32 v14, v62, v1
	v_cndmask_b32_e64 v1, v1, v14, s[74:75]
	v_mfma_f32_16x16x16_f16 v[66:69], v[80:81], v[30:31], v[66:69]
	ds_read_u16 v71, v160 offset:3424
	ds_read_u16 v80, v161 offset:3424
	;; [unrolled: 1-line block ×4, first 2 shown]
	v_add_f32_e32 v16, v15, v1
	v_cndmask_b32_e64 v1, v1, v16, s[70:71]
	s_nop 1
	v_cvt_f16_f32_e32 v14, v66
	v_cvt_f16_f32_e32 v15, v67
	;; [unrolled: 1-line block ×4, first 2 shown]
	v_cvt_f32_f16_e32 v66, v14
	v_cvt_f32_f16_e32 v67, v15
	s_waitcnt lgkmcnt(1)
	v_perm_b32 v15, v81, v80, s59
	s_waitcnt lgkmcnt(0)
	v_perm_b32 v14, v82, v71, s59
	v_cvt_f32_f16_e32 v68, v62
	v_cvt_f32_f16_e32 v69, v69
	v_add_f32_e32 v16, v63, v1
	v_cndmask_b32_e64 v1, v1, v16, s[76:77]
	v_mfma_f32_16x16x16_f16 v[66:69], v[14:15], v[28:29], v[66:69]
	s_nop 7
	v_cvt_f16_f32_e32 v62, v69
	ds_read_u16 v63, v160 offset:6752
	ds_read_u16 v69, v161 offset:6752
	ds_read_u16 v71, v162 offset:6752
	ds_read_u16 v80, v160 offset:6960
	v_cvt_f16_f32_e32 v14, v66
	v_cvt_f16_f32_e32 v15, v67
	;; [unrolled: 1-line block ×3, first 2 shown]
	v_cvt_f32_f16_e32 v66, v14
	v_cvt_f32_f16_e32 v67, v15
	s_waitcnt lgkmcnt(1)
	v_perm_b32 v15, v71, v69, s59
	s_waitcnt lgkmcnt(0)
	v_perm_b32 v14, v80, v63, s59
	v_cvt_f32_f16_e32 v68, v16
	v_cvt_f32_f16_e32 v69, v62
	v_add_f32_e32 v16, v17, v1
	v_cndmask_b32_e64 v1, v1, v16, s[72:73]
	v_mfma_f32_16x16x16_f16 v[14:17], v[14:15], v[24:25], v[66:69]
	ds_read_u16 v62, v160 offset:10080
	ds_read_u16 v63, v161 offset:10080
	s_nop 0
	ds_read_u16 v66, v162 offset:10080
	ds_read_u16 v67, v160 offset:10288
	v_add_f32_e32 v70, v70, v1
	v_cndmask_b32_e64 v1, v1, v70, s[68:69]
	s_nop 0
	v_cvt_f16_f32_e32 v14, v14
	v_cvt_f16_f32_e32 v15, v15
	v_cvt_f16_f32_e32 v16, v16
	v_cvt_f16_f32_e32 v17, v17
	s_waitcnt lgkmcnt(1)
	v_perm_b32 v63, v66, v63, s59
	s_waitcnt lgkmcnt(0)
	v_perm_b32 v62, v67, v62, s59
	v_cvt_f32_f16_e32 v14, v14
	v_cvt_f32_f16_e32 v15, v15
	;; [unrolled: 1-line block ×4, first 2 shown]
	v_pk_mul_f16 v67, v137, v21
	v_pk_mul_f16 v69, v136, v21
	v_mfma_f32_16x16x16_f16 v[14:17], v[62:63], v[22:23], v[14:17]
	ds_read_u16 v62, v160 offset:128
	ds_read_u16 v63, v161 offset:128
	;; [unrolled: 1-line block ×4, first 2 shown]
	v_cvt_f32_f16_e32 v66, v67
	v_cvt_f32_f16_sdwa v67, v67 dst_sel:DWORD dst_unused:UNUSED_PAD src0_sel:WORD_1
	v_cvt_f32_f16_e32 v68, v69
	s_waitcnt lgkmcnt(1)
	v_perm_b32 v63, v70, v63, s59
	s_waitcnt lgkmcnt(0)
	v_perm_b32 v62, v71, v62, s59
	v_cvt_f32_f16_sdwa v69, v69 dst_sel:DWORD dst_unused:UNUSED_PAD src0_sel:WORD_1
	v_add_f32_e32 v18, v18, v1
	v_cndmask_b32_e64 v1, v1, v18, s[64:65]
	v_mfma_f32_16x16x16_f16 v[66:69], v[62:63], v[30:31], v[66:69]
	v_add_f32_e32 v70, v19, v1
	v_cndmask_b32_e64 v1, v1, v70, s[46:47]
	v_add_f32_e32 v20, v20, v1
	v_cndmask_b32_e64 v1, v1, v20, s[66:67]
	s_nop 3
	v_cvt_f16_f32_e32 v63, v69
	ds_read_u16 v69, v160 offset:3456
	ds_read_u16 v71, v161 offset:3456
	;; [unrolled: 1-line block ×4, first 2 shown]
	v_cvt_f16_f32_e32 v18, v66
	v_cvt_f16_f32_e32 v19, v67
	;; [unrolled: 1-line block ×3, first 2 shown]
	v_cvt_f32_f16_e32 v66, v18
	v_cvt_f32_f16_e32 v67, v19
	s_waitcnt lgkmcnt(1)
	v_perm_b32 v19, v80, v71, s59
	s_waitcnt lgkmcnt(0)
	v_perm_b32 v18, v81, v69, s59
	v_cvt_f32_f16_e32 v68, v62
	v_cvt_f32_f16_e32 v69, v63
	s_nop 1
	v_mfma_f32_16x16x16_f16 v[66:69], v[18:19], v[28:29], v[66:69]
	s_nop 7
	v_cvt_f16_f32_e32 v62, v69
	ds_read_u16 v63, v160 offset:6784
	ds_read_u16 v69, v161 offset:6784
	;; [unrolled: 1-line block ×4, first 2 shown]
	v_cvt_f16_f32_e32 v18, v66
	v_cvt_f16_f32_e32 v19, v67
	;; [unrolled: 1-line block ×3, first 2 shown]
	v_cvt_f32_f16_e32 v66, v18
	v_cvt_f32_f16_e32 v67, v19
	s_waitcnt lgkmcnt(1)
	v_perm_b32 v19, v70, v69, s59
	s_waitcnt lgkmcnt(0)
	v_perm_b32 v18, v71, v63, s59
	v_cvt_f32_f16_e32 v68, v20
	v_cvt_f32_f16_e32 v69, v62
	v_add_f32_e32 v20, v40, v1
	v_cndmask_b32_e64 v40, v1, v20, s[62:63]
	v_mfma_f32_16x16x16_f16 v[66:69], v[18:19], v[24:25], v[66:69]
	v_pk_mul_f16 v1, v135, v21
	v_fmac_f32_e32 v40, v83, v33
	s_nop 5
	v_cvt_f16_f32_e32 v62, v69
	ds_read_u16 v63, v160 offset:10112
	ds_read_u16 v69, v161 offset:10112
	;; [unrolled: 1-line block ×4, first 2 shown]
	v_cvt_f16_f32_e32 v18, v66
	v_cvt_f16_f32_e32 v19, v67
	;; [unrolled: 1-line block ×3, first 2 shown]
	v_cvt_f32_f16_e32 v66, v18
	v_cvt_f32_f16_e32 v67, v19
	s_waitcnt lgkmcnt(1)
	v_perm_b32 v19, v70, v69, s59
	s_waitcnt lgkmcnt(0)
	v_perm_b32 v18, v71, v63, s59
	v_cvt_f32_f16_e32 v68, v20
	v_cvt_f32_f16_e32 v69, v62
	v_pk_mul_f16 v62, v134, v21
	v_cvt_f16_f32_e32 v63, v4
	v_cvt_f16_f32_e32 v70, v5
	v_mfma_f32_16x16x16_f16 v[18:21], v[18:19], v[22:23], v[66:69]
	ds_read_u16 v4, v160 offset:160
	ds_read_u16 v5, v161 offset:160
	s_nop 0
	ds_read_u16 v69, v162 offset:160
	ds_read_u16 v71, v160 offset:368
	v_cvt_f32_f16_e32 v66, v1
	v_cvt_f32_f16_sdwa v67, v1 dst_sel:DWORD dst_unused:UNUSED_PAD src0_sel:WORD_1
	v_cvt_f32_f16_e32 v68, v62
	s_waitcnt lgkmcnt(1)
	v_perm_b32 v5, v69, v5, s59
	s_waitcnt lgkmcnt(0)
	v_perm_b32 v4, v71, v4, s59
	v_cvt_f32_f16_sdwa v69, v62 dst_sel:DWORD dst_unused:UNUSED_PAD src0_sel:WORD_1
	v_perm_b32 v1, v70, v63, s59
	s_nop 0
	v_mfma_f32_16x16x16_f16 v[66:69], v[4:5], v[30:31], v[66:69]
	s_nop 7
	v_cvt_f16_f32_e32 v31, v69
	ds_read_u16 v33, v160 offset:3488
	ds_read_u16 v62, v161 offset:3488
	;; [unrolled: 1-line block ×4, first 2 shown]
	v_cvt_f16_f32_e32 v4, v66
	v_cvt_f16_f32_e32 v5, v67
	;; [unrolled: 1-line block ×3, first 2 shown]
	v_cvt_f32_f16_e32 v66, v4
	v_cvt_f32_f16_e32 v67, v5
	s_waitcnt lgkmcnt(1)
	v_perm_b32 v5, v63, v62, s59
	s_waitcnt lgkmcnt(0)
	v_perm_b32 v4, v69, v33, s59
	v_cvt_f32_f16_e32 v68, v30
	v_cvt_f32_f16_e32 v69, v31
	v_cvt_f16_f32_e32 v62, v13
	v_cvt_f16_f32_e32 v33, v12
	v_mfma_f32_16x16x16_f16 v[28:31], v[4:5], v[28:29], v[66:69]
	ds_read_u16 v63, v160 offset:6816
	ds_read_u16 v13, v161 offset:6816
	s_nop 0
	ds_read_u16 v66, v162 offset:6816
	ds_read_u16 v67, v160 offset:7024
	s_nop 2
	v_cvt_f16_f32_e32 v12, v30
	v_cvt_f16_f32_e32 v4, v28
	;; [unrolled: 1-line block ×4, first 2 shown]
	v_cvt_f32_f16_e32 v30, v12
	s_waitcnt lgkmcnt(1)
	v_perm_b32 v13, v66, v13, s59
	s_waitcnt lgkmcnt(0)
	v_perm_b32 v12, v67, v63, s59
	v_cvt_f32_f16_e32 v28, v4
	v_cvt_f32_f16_e32 v29, v5
	;; [unrolled: 1-line block ×3, first 2 shown]
	v_perm_b32 v5, v9, v8, s59
	v_cvt_f16_f32_e32 v8, v16
	v_mfma_f32_16x16x16_f16 v[28:31], v[12:13], v[24:25], v[28:31]
	v_perm_b32 v4, v62, v33, s59
	s_nop 6
	v_cvt_f16_f32_e32 v13, v28
	v_cvt_f16_f32_e32 v16, v29
	ds_read_u16 v12, v160 offset:10144
	ds_read_u16 v25, v161 offset:10144
	ds_read_u16 v28, v162 offset:10144
	ds_read_u16 v29, v160 offset:10352
	v_cvt_f16_f32_e32 v24, v30
	v_cvt_f16_f32_e32 v9, v31
	v_cvt_f32_f16_e32 v66, v13
	s_waitcnt lgkmcnt(1)
	v_perm_b32 v13, v28, v25, s59
	s_waitcnt lgkmcnt(0)
	v_perm_b32 v12, v29, v12, s59
	v_cvt_f32_f16_e32 v67, v16
	v_cvt_f32_f16_e32 v68, v24
	;; [unrolled: 1-line block ×3, first 2 shown]
	v_cvt_f16_f32_e32 v9, v17
	v_cvt_f16_f32_e32 v16, v20
	;; [unrolled: 1-line block ×3, first 2 shown]
	v_mfma_f32_16x16x16_f16 v[20:23], v[12:13], v[22:23], v[66:69]
	v_perm_b32 v8, v9, v8, s59
	v_perm_b32 v9, v17, v16, s59
	s_barrier
	s_nop 4
	v_cvt_f16_f32_e32 v12, v22
	ds_bpermute_b32 v22, v32, v40
	v_cvt_f16_f32_e32 v13, v23
	v_perm_b32 v12, v13, v12, s59
	s_waitcnt lgkmcnt(0)
	v_add_f32_e32 v13, v40, v22
	ds_bpermute_b32 v16, v27, v13
	s_waitcnt lgkmcnt(0)
	v_add_f32_e32 v27, v13, v16
	s_cbranch_vccnz .LBB14_256
; %bb.255:                              ;   in Loop: Header=BB14_11 Depth=1
	v_cvt_pk_f16_f32 v6, v6, v7
	v_cvt_pk_f16_f32 v7, v10, v11
	global_load_dword v10, v[78:79], off
	v_cvt_pk_f16_f32 v3, v2, v3
	v_max_f32_e32 v11, v26, v26
	v_cvt_pk_f16_f32 v13, v14, v15
	v_cvt_pk_f16_f32 v14, v18, v19
	;; [unrolled: 1-line block ×3, first 2 shown]
	s_waitcnt vmcnt(0)
	v_max_f32_e32 v2, v10, v10
	v_max_f32_e32 v2, v11, v2
	v_sub_f32_e32 v11, v26, v2
	v_mul_f32_e32 v16, 0x3fb8aa3b, v11
	v_fma_f32 v17, v11, s36, -v16
	v_rndne_f32_e32 v18, v16
	v_fmac_f32_e32 v17, 0x32a5705f, v11
	v_sub_f32_e32 v16, v16, v18
	v_add_f32_e32 v16, v16, v17
	v_exp_f32_e32 v16, v16
	v_cvt_i32_f32_e32 v17, v18
	v_cmp_ngt_f32_e32 vcc, s33, v11
	v_ldexp_f32 v16, v16, v17
	s_nop 0
	v_cndmask_b32_e32 v16, 0, v16, vcc
	v_cmp_nlt_f32_e32 vcc, s49, v11
	v_sub_f32_e32 v17, v10, v2
	s_nop 0
	v_cndmask_b32_e32 v16, v186, v16, vcc
	v_cmp_le_f32_e32 vcc, s93, v11
	s_nop 1
	v_cndmask_b32_e32 v16, 0, v16, vcc
	v_cvt_f16_f32_e32 v10, v16
	v_cmp_ngt_f32_e32 vcc, s33, v17
	v_mul_u32_u24_e32 v18, 0x10001, v10
	v_pk_mul_f16 v11, v3, v18
	v_mul_f32_e32 v3, 0x3fb8aa3b, v17
	v_pk_mul_f16 v1, v1, v18
	v_pk_mul_f16 v10, v6, v18
	;; [unrolled: 1-line block ×11, first 2 shown]
	v_fma_f32 v15, v17, s36, -v3
	v_rndne_f32_e32 v18, v3
	v_fmac_f32_e32 v15, 0x32a5705f, v17
	v_sub_f32_e32 v3, v3, v18
	v_add_f32_e32 v3, v3, v15
	v_exp_f32_e32 v3, v3
	v_cvt_i32_f32_e32 v15, v18
	v_ldexp_f32 v3, v3, v15
	v_cndmask_b32_e32 v3, 0, v3, vcc
	v_cmp_nlt_f32_e32 vcc, s49, v17
	s_nop 1
	v_cndmask_b32_e32 v3, v186, v3, vcc
	v_fmac_f32_e32 v3, v27, v16
	v_mov_b64_e32 v[26:27], v[2:3]
	s_branch .LBB14_257
.LBB14_256:                             ;   in Loop: Header=BB14_11 Depth=1
	v_cvt_f16_f32_e32 v2, v2
	v_cvt_f16_f32_e32 v3, v3
	;; [unrolled: 1-line block ×12, first 2 shown]
	v_perm_b32 v6, v11, v6, s59
	v_perm_b32 v7, v10, v7, s59
	;; [unrolled: 1-line block ×6, first 2 shown]
.LBB14_257:                             ;   in Loop: Header=BB14_11 Depth=1
	v_readlane_b32 s68, v254, 50
	s_mov_b32 s92, s38
	v_readlane_b32 s88, v255, 5
	v_readlane_b32 s38, v254, 46
	;; [unrolled: 1-line block ×24, first 2 shown]
	s_and_saveexec_b64 s[46:47], s[38:39]
	v_readlane_b32 s84, v255, 2
	v_readlane_b32 s86, v255, 4
	;; [unrolled: 1-line block ×3, first 2 shown]
	s_cbranch_execz .LBB14_259
; %bb.258:                              ;   in Loop: Header=BB14_11 Depth=1
	scratch_load_dword v2, off, off offset:44 ; 4-byte Folded Reload
	s_waitcnt vmcnt(0)
	ds_write2_b32 v2, v26, v27 offset0:48 offset1:49
.LBB14_259:                             ;   in Loop: Header=BB14_11 Depth=1
	s_or_b64 exec, exec, s[46:47]
	s_waitcnt lgkmcnt(0)
	s_barrier
	ds_write2_b32 v163, v11, v1 offset1:1
	ds_write2_b32 v163, v10, v5 offset0:8 offset1:9
	ds_write2_b32 v163, v7, v4 offset0:16 offset1:17
	;; [unrolled: 1-line block ×5, first 2 shown]
	v_mov_b32_e32 v1, 50
	s_waitcnt lgkmcnt(0)
	s_barrier
	s_and_saveexec_b64 s[46:47], s[2:3]
	s_cbranch_execz .LBB14_261
; %bb.260:                              ;   in Loop: Header=BB14_11 Depth=1
	scratch_load_dword v2, off, off offset:24 ; 4-byte Folded Reload
	ds_read_b32 v1, v179 offset:196
	s_waitcnt vmcnt(0)
	ds_read_b32 v4, v2
	v_mad_u64_u32 v[2:3], s[2:3], v177, s60, v[34:35]
	v_ashrrev_i32_e32 v3, 31, v2
	v_lshl_add_u64 v[2:3], v[2:3], 3, v[76:77]
	s_waitcnt lgkmcnt(0)
	v_cvt_f32_f16_sdwa v5, v4 dst_sel:DWORD dst_unused:UNUSED_PAD src0_sel:WORD_1
	v_cvt_f32_f16_e32 v4, v4
	v_pk_add_f32 v[4:5], v[4:5], 0 op_sel_hi:[1,0]
	s_nop 0
	v_div_scale_f32 v6, s[2:3], v1, v1, v5
	v_rcp_f32_e32 v7, v6
	s_nop 0
	v_fma_f32 v8, -v6, v7, 1.0
	v_fmac_f32_e32 v7, v8, v7
	v_div_scale_f32 v8, vcc, v5, v1, v5
	v_mul_f32_e32 v9, v8, v7
	v_fma_f32 v10, -v6, v9, v8
	v_fmac_f32_e32 v9, v10, v7
	v_fma_f32 v6, -v6, v9, v8
	v_div_fmas_f32 v6, v6, v7, v9
	v_div_fixup_f32 v5, v6, v1, v5
	v_div_scale_f32 v6, s[2:3], v1, v1, v4
	v_rcp_f32_e32 v7, v6
	s_nop 0
	v_fma_f32 v8, -v6, v7, 1.0
	v_fmac_f32_e32 v7, v8, v7
	v_div_scale_f32 v8, vcc, v4, v1, v4
	v_mul_f32_e32 v9, v8, v7
	v_fma_f32 v10, -v6, v9, v8
	v_fmac_f32_e32 v9, v10, v7
	v_fma_f32 v6, -v6, v9, v8
	v_div_fmas_f32 v6, v6, v7, v9
	v_div_fixup_f32 v4, v6, v1, v4
	v_mov_b32_e32 v1, 0
	global_store_dwordx2 v[2:3], v[4:5], off
.LBB14_261:                             ;   in Loop: Header=BB14_11 Depth=1
	s_or_b64 exec, exec, s[46:47]
	v_cmp_gt_i32_e32 vcc, 50, v1
	s_mov_b64 s[46:47], -1
	s_and_saveexec_b64 s[2:3], vcc
; %bb.262:                              ;   in Loop: Header=BB14_11 Depth=1
	v_cmp_eq_u32_e32 vcc, 0, v1
	s_orn2_b64 s[46:47], vcc, exec
; %bb.263:                              ;   in Loop: Header=BB14_11 Depth=1
	s_or_b64 exec, exec, s[2:3]
	s_and_saveexec_b64 s[2:3], s[46:47]
	s_cbranch_execz .LBB14_296
; %bb.264:                              ;   in Loop: Header=BB14_11 Depth=1
	v_readlane_b32 s38, v255, 12
	v_mov_b32_e32 v1, 50
	v_readlane_b32 s39, v255, 13
	s_and_saveexec_b64 s[46:47], s[38:39]
	s_cbranch_execz .LBB14_266
; %bb.265:                              ;   in Loop: Header=BB14_11 Depth=1
	scratch_load_dword v2, off, off offset:84 ; 4-byte Folded Reload
	v_add_u32_e32 v1, 0x680, v179
	ds_read_b32 v1, v1 offset:196
	s_waitcnt vmcnt(0)
	ds_read_b32 v4, v2
	v_mad_u64_u32 v[2:3], s[62:63], v205, s60, v[34:35]
	v_ashrrev_i32_e32 v3, 31, v2
	v_lshl_add_u64 v[2:3], v[2:3], 3, v[76:77]
	s_waitcnt lgkmcnt(0)
	v_cvt_f32_f16_sdwa v5, v4 dst_sel:DWORD dst_unused:UNUSED_PAD src0_sel:WORD_1
	v_cvt_f32_f16_e32 v4, v4
	v_pk_add_f32 v[4:5], v[4:5], 0 op_sel_hi:[1,0]
	s_nop 0
	v_div_scale_f32 v6, s[62:63], v1, v1, v5
	v_rcp_f32_e32 v7, v6
	s_nop 0
	v_fma_f32 v8, -v6, v7, 1.0
	v_fmac_f32_e32 v7, v8, v7
	v_div_scale_f32 v8, vcc, v5, v1, v5
	v_mul_f32_e32 v9, v8, v7
	v_fma_f32 v10, -v6, v9, v8
	v_fmac_f32_e32 v9, v10, v7
	v_fma_f32 v6, -v6, v9, v8
	v_div_fmas_f32 v6, v6, v7, v9
	v_div_fixup_f32 v5, v6, v1, v5
	v_div_scale_f32 v6, s[62:63], v1, v1, v4
	v_rcp_f32_e32 v7, v6
	s_nop 0
	v_fma_f32 v8, -v6, v7, 1.0
	v_fmac_f32_e32 v7, v8, v7
	v_div_scale_f32 v8, vcc, v4, v1, v4
	v_mul_f32_e32 v9, v8, v7
	v_fma_f32 v10, -v6, v9, v8
	v_fmac_f32_e32 v9, v10, v7
	v_fma_f32 v6, -v6, v9, v8
	v_div_fmas_f32 v6, v6, v7, v9
	v_div_fixup_f32 v4, v6, v1, v4
	v_mov_b32_e32 v1, 0
	global_store_dwordx2 v[2:3], v[4:5], off
.LBB14_266:                             ;   in Loop: Header=BB14_11 Depth=1
	s_or_b64 exec, exec, s[46:47]
	v_cmp_gt_i32_e32 vcc, 50, v1
	s_mov_b64 s[46:47], -1
	s_and_saveexec_b64 s[62:63], vcc
; %bb.267:                              ;   in Loop: Header=BB14_11 Depth=1
	v_cmp_eq_u32_e32 vcc, 0, v1
	s_orn2_b64 s[46:47], vcc, exec
; %bb.268:                              ;   in Loop: Header=BB14_11 Depth=1
	s_or_b64 exec, exec, s[62:63]
	s_and_b64 exec, exec, s[46:47]
	s_cbranch_execz .LBB14_296
; %bb.269:                              ;   in Loop: Header=BB14_11 Depth=1
	v_readlane_b32 s38, v255, 14
	v_mov_b32_e32 v1, 50
	v_readlane_b32 s39, v255, 15
	s_and_saveexec_b64 s[46:47], s[38:39]
	s_cbranch_execz .LBB14_271
; %bb.270:                              ;   in Loop: Header=BB14_11 Depth=1
	scratch_load_dword v1, off, off offset:108 ; 4-byte Folded Reload
	scratch_load_dword v2, off, off offset:104 ; 4-byte Folded Reload
	s_waitcnt vmcnt(1)
	ds_read_b32 v1, v1 offset:196
	s_waitcnt vmcnt(0)
	ds_read_b32 v4, v2
	v_mad_u64_u32 v[2:3], s[62:63], v201, s60, v[34:35]
	v_ashrrev_i32_e32 v3, 31, v2
	v_lshl_add_u64 v[2:3], v[2:3], 3, v[76:77]
	s_waitcnt lgkmcnt(0)
	v_cvt_f32_f16_sdwa v5, v4 dst_sel:DWORD dst_unused:UNUSED_PAD src0_sel:WORD_1
	v_cvt_f32_f16_e32 v4, v4
	v_pk_add_f32 v[4:5], v[4:5], 0 op_sel_hi:[1,0]
	s_nop 0
	v_div_scale_f32 v6, s[62:63], v1, v1, v5
	v_rcp_f32_e32 v7, v6
	s_nop 0
	v_fma_f32 v8, -v6, v7, 1.0
	v_fmac_f32_e32 v7, v8, v7
	v_div_scale_f32 v8, vcc, v5, v1, v5
	v_mul_f32_e32 v9, v8, v7
	v_fma_f32 v10, -v6, v9, v8
	v_fmac_f32_e32 v9, v10, v7
	v_fma_f32 v6, -v6, v9, v8
	v_div_fmas_f32 v6, v6, v7, v9
	v_div_fixup_f32 v5, v6, v1, v5
	v_div_scale_f32 v6, s[62:63], v1, v1, v4
	v_rcp_f32_e32 v7, v6
	s_nop 0
	v_fma_f32 v8, -v6, v7, 1.0
	v_fmac_f32_e32 v7, v8, v7
	v_div_scale_f32 v8, vcc, v4, v1, v4
	v_mul_f32_e32 v9, v8, v7
	v_fma_f32 v10, -v6, v9, v8
	v_fmac_f32_e32 v9, v10, v7
	v_fma_f32 v6, -v6, v9, v8
	v_div_fmas_f32 v6, v6, v7, v9
	v_div_fixup_f32 v4, v6, v1, v4
	v_mov_b32_e32 v1, 0
	global_store_dwordx2 v[2:3], v[4:5], off
.LBB14_271:                             ;   in Loop: Header=BB14_11 Depth=1
	s_or_b64 exec, exec, s[46:47]
	v_cmp_gt_i32_e32 vcc, 50, v1
	s_mov_b64 s[46:47], -1
	s_and_saveexec_b64 s[62:63], vcc
; %bb.272:                              ;   in Loop: Header=BB14_11 Depth=1
	v_cmp_eq_u32_e32 vcc, 0, v1
	s_orn2_b64 s[46:47], vcc, exec
; %bb.273:                              ;   in Loop: Header=BB14_11 Depth=1
	s_or_b64 exec, exec, s[62:63]
	s_and_b64 exec, exec, s[46:47]
	s_cbranch_execz .LBB14_296
; %bb.274:                              ;   in Loop: Header=BB14_11 Depth=1
	v_readlane_b32 s38, v255, 16
	v_mov_b32_e32 v1, 50
	v_readlane_b32 s39, v255, 17
	s_and_saveexec_b64 s[46:47], s[38:39]
	s_cbranch_execz .LBB14_276
; %bb.275:                              ;   in Loop: Header=BB14_11 Depth=1
	scratch_load_dword v2, off, off offset:124 ; 4-byte Folded Reload
	v_add_u32_e32 v1, 0x1380, v179
	ds_read_b32 v1, v1 offset:196
	s_waitcnt vmcnt(0)
	ds_read_b32 v4, v2
	v_mad_u64_u32 v[2:3], s[62:63], v199, s60, v[34:35]
	v_ashrrev_i32_e32 v3, 31, v2
	v_lshl_add_u64 v[2:3], v[2:3], 3, v[76:77]
	s_waitcnt lgkmcnt(0)
	v_cvt_f32_f16_sdwa v5, v4 dst_sel:DWORD dst_unused:UNUSED_PAD src0_sel:WORD_1
	v_cvt_f32_f16_e32 v4, v4
	v_pk_add_f32 v[4:5], v[4:5], 0 op_sel_hi:[1,0]
	s_nop 0
	v_div_scale_f32 v6, s[62:63], v1, v1, v5
	v_rcp_f32_e32 v7, v6
	s_nop 0
	v_fma_f32 v8, -v6, v7, 1.0
	v_fmac_f32_e32 v7, v8, v7
	v_div_scale_f32 v8, vcc, v5, v1, v5
	v_mul_f32_e32 v9, v8, v7
	v_fma_f32 v10, -v6, v9, v8
	v_fmac_f32_e32 v9, v10, v7
	v_fma_f32 v6, -v6, v9, v8
	v_div_fmas_f32 v6, v6, v7, v9
	v_div_fixup_f32 v5, v6, v1, v5
	v_div_scale_f32 v6, s[62:63], v1, v1, v4
	v_rcp_f32_e32 v7, v6
	s_nop 0
	v_fma_f32 v8, -v6, v7, 1.0
	v_fmac_f32_e32 v7, v8, v7
	v_div_scale_f32 v8, vcc, v4, v1, v4
	v_mul_f32_e32 v9, v8, v7
	v_fma_f32 v10, -v6, v9, v8
	v_fmac_f32_e32 v9, v10, v7
	v_fma_f32 v6, -v6, v9, v8
	v_div_fmas_f32 v6, v6, v7, v9
	v_div_fixup_f32 v4, v6, v1, v4
	v_mov_b32_e32 v1, 0
	global_store_dwordx2 v[2:3], v[4:5], off
.LBB14_276:                             ;   in Loop: Header=BB14_11 Depth=1
	s_or_b64 exec, exec, s[46:47]
	v_cmp_gt_i32_e32 vcc, 50, v1
	s_mov_b64 s[46:47], -1
	s_and_saveexec_b64 s[62:63], vcc
; %bb.277:                              ;   in Loop: Header=BB14_11 Depth=1
	v_cmp_eq_u32_e32 vcc, 0, v1
	s_orn2_b64 s[46:47], vcc, exec
; %bb.278:                              ;   in Loop: Header=BB14_11 Depth=1
	s_or_b64 exec, exec, s[62:63]
	s_and_b64 exec, exec, s[46:47]
	s_cbranch_execz .LBB14_296
; %bb.279:                              ;   in Loop: Header=BB14_11 Depth=1
	v_readlane_b32 s38, v255, 18
	v_mov_b32_e32 v1, 50
	v_readlane_b32 s39, v255, 19
	s_and_saveexec_b64 s[46:47], s[38:39]
	s_cbranch_execz .LBB14_281
; %bb.280:                              ;   in Loop: Header=BB14_11 Depth=1
	scratch_load_dword v1, off, off offset:140 ; 4-byte Folded Reload
	scratch_load_dword v2, off, off offset:144 ; 4-byte Folded Reload
	s_waitcnt vmcnt(1)
	ds_read_b32 v1, v1 offset:196
	s_waitcnt vmcnt(0)
	ds_read_b32 v4, v2
	v_mad_u64_u32 v[2:3], s[62:63], v194, s60, v[34:35]
	v_ashrrev_i32_e32 v3, 31, v2
	v_lshl_add_u64 v[2:3], v[2:3], 3, v[76:77]
	s_waitcnt lgkmcnt(0)
	v_cvt_f32_f16_sdwa v5, v4 dst_sel:DWORD dst_unused:UNUSED_PAD src0_sel:WORD_1
	v_cvt_f32_f16_e32 v4, v4
	v_pk_add_f32 v[4:5], v[4:5], 0 op_sel_hi:[1,0]
	s_nop 0
	v_div_scale_f32 v6, s[62:63], v1, v1, v5
	v_rcp_f32_e32 v7, v6
	s_nop 0
	v_fma_f32 v8, -v6, v7, 1.0
	v_fmac_f32_e32 v7, v8, v7
	v_div_scale_f32 v8, vcc, v5, v1, v5
	v_mul_f32_e32 v9, v8, v7
	v_fma_f32 v10, -v6, v9, v8
	v_fmac_f32_e32 v9, v10, v7
	v_fma_f32 v6, -v6, v9, v8
	v_div_fmas_f32 v6, v6, v7, v9
	v_div_fixup_f32 v5, v6, v1, v5
	v_div_scale_f32 v6, s[62:63], v1, v1, v4
	v_rcp_f32_e32 v7, v6
	s_nop 0
	v_fma_f32 v8, -v6, v7, 1.0
	v_fmac_f32_e32 v7, v8, v7
	v_div_scale_f32 v8, vcc, v4, v1, v4
	v_mul_f32_e32 v9, v8, v7
	v_fma_f32 v10, -v6, v9, v8
	v_fmac_f32_e32 v9, v10, v7
	v_fma_f32 v6, -v6, v9, v8
	v_div_fmas_f32 v6, v6, v7, v9
	v_div_fixup_f32 v4, v6, v1, v4
	v_mov_b32_e32 v1, 0
	global_store_dwordx2 v[2:3], v[4:5], off
.LBB14_281:                             ;   in Loop: Header=BB14_11 Depth=1
	s_or_b64 exec, exec, s[46:47]
	v_cmp_gt_i32_e32 vcc, 50, v1
	s_mov_b64 s[46:47], -1
	s_and_saveexec_b64 s[62:63], vcc
; %bb.282:                              ;   in Loop: Header=BB14_11 Depth=1
	v_cmp_eq_u32_e32 vcc, 0, v1
	s_orn2_b64 s[46:47], vcc, exec
; %bb.283:                              ;   in Loop: Header=BB14_11 Depth=1
	s_or_b64 exec, exec, s[62:63]
	s_and_b64 exec, exec, s[46:47]
	s_cbranch_execz .LBB14_296
; %bb.284:                              ;   in Loop: Header=BB14_11 Depth=1
	v_readlane_b32 s38, v255, 20
	v_mov_b32_e32 v1, 50
	v_readlane_b32 s39, v255, 21
	s_and_saveexec_b64 s[46:47], s[38:39]
	s_cbranch_execz .LBB14_286
; %bb.285:                              ;   in Loop: Header=BB14_11 Depth=1
	scratch_load_dword v2, off, off offset:148 ; 4-byte Folded Reload
	v_add_u32_e32 v1, 0x2080, v179
	ds_read_b32 v1, v1 offset:196
	s_waitcnt vmcnt(0)
	ds_read_b32 v4, v2
	v_mad_u64_u32 v[2:3], s[62:63], v193, s60, v[34:35]
	v_ashrrev_i32_e32 v3, 31, v2
	v_lshl_add_u64 v[2:3], v[2:3], 3, v[76:77]
	s_waitcnt lgkmcnt(0)
	v_cvt_f32_f16_sdwa v5, v4 dst_sel:DWORD dst_unused:UNUSED_PAD src0_sel:WORD_1
	v_cvt_f32_f16_e32 v4, v4
	v_pk_add_f32 v[4:5], v[4:5], 0 op_sel_hi:[1,0]
	s_nop 0
	v_div_scale_f32 v6, s[62:63], v1, v1, v5
	v_rcp_f32_e32 v7, v6
	s_nop 0
	v_fma_f32 v8, -v6, v7, 1.0
	v_fmac_f32_e32 v7, v8, v7
	v_div_scale_f32 v8, vcc, v5, v1, v5
	v_mul_f32_e32 v9, v8, v7
	v_fma_f32 v10, -v6, v9, v8
	v_fmac_f32_e32 v9, v10, v7
	v_fma_f32 v6, -v6, v9, v8
	v_div_fmas_f32 v6, v6, v7, v9
	v_div_fixup_f32 v5, v6, v1, v5
	v_div_scale_f32 v6, s[62:63], v1, v1, v4
	v_rcp_f32_e32 v7, v6
	s_nop 0
	v_fma_f32 v8, -v6, v7, 1.0
	v_fmac_f32_e32 v7, v8, v7
	v_div_scale_f32 v8, vcc, v4, v1, v4
	v_mul_f32_e32 v9, v8, v7
	v_fma_f32 v10, -v6, v9, v8
	v_fmac_f32_e32 v9, v10, v7
	v_fma_f32 v6, -v6, v9, v8
	v_div_fmas_f32 v6, v6, v7, v9
	v_div_fixup_f32 v4, v6, v1, v4
	v_mov_b32_e32 v1, 0
	global_store_dwordx2 v[2:3], v[4:5], off
.LBB14_286:                             ;   in Loop: Header=BB14_11 Depth=1
	s_or_b64 exec, exec, s[46:47]
	v_cmp_gt_i32_e32 vcc, 50, v1
	s_mov_b64 s[46:47], -1
	s_and_saveexec_b64 s[62:63], vcc
; %bb.287:                              ;   in Loop: Header=BB14_11 Depth=1
	v_cmp_eq_u32_e32 vcc, 0, v1
	s_orn2_b64 s[46:47], vcc, exec
; %bb.288:                              ;   in Loop: Header=BB14_11 Depth=1
	s_or_b64 exec, exec, s[62:63]
	s_and_b64 exec, exec, s[46:47]
	s_cbranch_execz .LBB14_296
; %bb.289:                              ;   in Loop: Header=BB14_11 Depth=1
	v_readlane_b32 s38, v255, 22
	v_mov_b32_e32 v1, 50
	v_readlane_b32 s39, v255, 23
	s_and_saveexec_b64 s[46:47], s[38:39]
	s_cbranch_execz .LBB14_291
; %bb.290:                              ;   in Loop: Header=BB14_11 Depth=1
	scratch_load_dword v1, off, off offset:156 ; 4-byte Folded Reload
	scratch_load_dword v2, off, off offset:160 ; 4-byte Folded Reload
	s_waitcnt vmcnt(1)
	ds_read_b32 v1, v1 offset:196
	s_waitcnt vmcnt(0)
	ds_read_b32 v4, v2
	v_mad_u64_u32 v[2:3], s[62:63], v183, s60, v[34:35]
	v_ashrrev_i32_e32 v3, 31, v2
	v_lshl_add_u64 v[2:3], v[2:3], 3, v[76:77]
	s_waitcnt lgkmcnt(0)
	v_cvt_f32_f16_sdwa v5, v4 dst_sel:DWORD dst_unused:UNUSED_PAD src0_sel:WORD_1
	v_cvt_f32_f16_e32 v4, v4
	v_pk_add_f32 v[4:5], v[4:5], 0 op_sel_hi:[1,0]
	s_nop 0
	v_div_scale_f32 v6, s[62:63], v1, v1, v5
	v_rcp_f32_e32 v7, v6
	s_nop 0
	v_fma_f32 v8, -v6, v7, 1.0
	v_fmac_f32_e32 v7, v8, v7
	v_div_scale_f32 v8, vcc, v5, v1, v5
	v_mul_f32_e32 v9, v8, v7
	v_fma_f32 v10, -v6, v9, v8
	v_fmac_f32_e32 v9, v10, v7
	v_fma_f32 v6, -v6, v9, v8
	v_div_fmas_f32 v6, v6, v7, v9
	v_div_fixup_f32 v5, v6, v1, v5
	v_div_scale_f32 v6, s[62:63], v1, v1, v4
	v_rcp_f32_e32 v7, v6
	s_nop 0
	v_fma_f32 v8, -v6, v7, 1.0
	v_fmac_f32_e32 v7, v8, v7
	v_div_scale_f32 v8, vcc, v4, v1, v4
	v_mul_f32_e32 v9, v8, v7
	v_fma_f32 v10, -v6, v9, v8
	v_fmac_f32_e32 v9, v10, v7
	v_fma_f32 v6, -v6, v9, v8
	v_div_fmas_f32 v6, v6, v7, v9
	v_div_fixup_f32 v4, v6, v1, v4
	v_mov_b32_e32 v1, 0
	global_store_dwordx2 v[2:3], v[4:5], off
.LBB14_291:                             ;   in Loop: Header=BB14_11 Depth=1
	s_or_b64 exec, exec, s[46:47]
	v_cmp_gt_i32_e32 vcc, 50, v1
	s_mov_b64 s[46:47], -1
	s_and_saveexec_b64 s[62:63], vcc
; %bb.292:                              ;   in Loop: Header=BB14_11 Depth=1
	v_cmp_eq_u32_e32 vcc, 0, v1
	s_orn2_b64 s[46:47], vcc, exec
; %bb.293:                              ;   in Loop: Header=BB14_11 Depth=1
	s_or_b64 exec, exec, s[62:63]
	s_and_b64 exec, exec, s[46:47]
	s_cbranch_execz .LBB14_296
; %bb.294:                              ;   in Loop: Header=BB14_11 Depth=1
	v_readlane_b32 s38, v255, 24
	v_readlane_b32 s39, v255, 25
	s_and_b64 exec, exec, s[38:39]
	s_cbranch_execz .LBB14_296
; %bb.295:                              ;   in Loop: Header=BB14_11 Depth=1
	scratch_load_dword v2, off, off offset:164 ; 4-byte Folded Reload
	v_add_u32_e32 v1, 0x2d80, v179
	ds_read_b32 v1, v1 offset:196
	s_waitcnt vmcnt(0)
	ds_read_b32 v4, v2
	v_mad_u64_u32 v[2:3], s[46:47], v181, s60, v[34:35]
	v_ashrrev_i32_e32 v3, 31, v2
	v_lshl_add_u64 v[2:3], v[2:3], 3, v[76:77]
	s_waitcnt lgkmcnt(0)
	v_cvt_f32_f16_sdwa v5, v4 dst_sel:DWORD dst_unused:UNUSED_PAD src0_sel:WORD_1
	v_cvt_f32_f16_e32 v4, v4
	v_pk_add_f32 v[4:5], v[4:5], 0 op_sel_hi:[1,0]
	s_nop 0
	v_div_scale_f32 v6, s[46:47], v1, v1, v5
	v_rcp_f32_e32 v7, v6
	s_nop 0
	v_fma_f32 v8, -v6, v7, 1.0
	v_fmac_f32_e32 v7, v8, v7
	v_div_scale_f32 v8, vcc, v5, v1, v5
	v_mul_f32_e32 v9, v8, v7
	v_fma_f32 v10, -v6, v9, v8
	v_fmac_f32_e32 v9, v10, v7
	v_fma_f32 v6, -v6, v9, v8
	v_div_fmas_f32 v6, v6, v7, v9
	v_div_fixup_f32 v5, v6, v1, v5
	v_div_scale_f32 v6, s[46:47], v1, v1, v4
	v_rcp_f32_e32 v7, v6
	s_nop 0
	v_fma_f32 v8, -v6, v7, 1.0
	v_fmac_f32_e32 v7, v8, v7
	v_div_scale_f32 v8, vcc, v4, v1, v4
	v_mul_f32_e32 v9, v8, v7
	v_fma_f32 v10, -v6, v9, v8
	v_fmac_f32_e32 v9, v10, v7
	v_fma_f32 v6, -v6, v9, v8
	v_div_fmas_f32 v6, v6, v7, v9
	v_div_fixup_f32 v4, v6, v1, v4
	global_store_dwordx2 v[2:3], v[4:5], off
.LBB14_296:                             ;   in Loop: Header=BB14_11 Depth=1
	s_or_b64 exec, exec, s[2:3]
	v_mov_b32_e32 v1, 50
	s_mov_b64 s[2:3], exec
	v_readlane_b32 s38, v255, 26
	v_readlane_b32 s39, v255, 27
	s_and_b64 s[38:39], s[2:3], s[38:39]
	s_mov_b64 exec, s[38:39]
	s_cbranch_execz .LBB14_298
; %bb.297:                              ;   in Loop: Header=BB14_11 Depth=1
	ds_read_b32 v1, v55 offset:196
	ds_read_b32 v4, v197 offset:128
	v_mul_lo_u32 v2, v176, s60
	v_ashrrev_i32_e32 v3, 31, v2
	v_lshl_add_u64 v[2:3], v[2:3], 0, v[36:37]
	v_lshl_add_u64 v[2:3], v[2:3], 3, v[76:77]
	s_waitcnt lgkmcnt(0)
	v_cvt_f32_f16_sdwa v5, v4 dst_sel:DWORD dst_unused:UNUSED_PAD src0_sel:WORD_1
	v_cvt_f32_f16_e32 v4, v4
	v_pk_add_f32 v[4:5], v[4:5], 0 op_sel_hi:[1,0]
	s_nop 0
	v_div_scale_f32 v6, s[38:39], v1, v1, v5
	v_rcp_f32_e32 v7, v6
	s_nop 0
	v_fma_f32 v8, -v6, v7, 1.0
	v_fmac_f32_e32 v7, v8, v7
	v_div_scale_f32 v8, vcc, v5, v1, v5
	v_mul_f32_e32 v9, v8, v7
	v_fma_f32 v10, -v6, v9, v8
	v_fmac_f32_e32 v9, v10, v7
	v_fma_f32 v6, -v6, v9, v8
	v_div_fmas_f32 v6, v6, v7, v9
	v_div_fixup_f32 v5, v6, v1, v5
	v_div_scale_f32 v6, s[38:39], v1, v1, v4
	v_rcp_f32_e32 v7, v6
	s_nop 0
	v_fma_f32 v8, -v6, v7, 1.0
	v_fmac_f32_e32 v7, v8, v7
	v_div_scale_f32 v8, vcc, v4, v1, v4
	v_mul_f32_e32 v9, v8, v7
	v_fma_f32 v10, -v6, v9, v8
	v_fmac_f32_e32 v9, v10, v7
	v_fma_f32 v6, -v6, v9, v8
	v_div_fmas_f32 v6, v6, v7, v9
	v_div_fixup_f32 v4, v6, v1, v4
	v_mov_b32_e32 v1, 0
	global_store_dwordx2 v[2:3], v[4:5], off offset:256
.LBB14_298:                             ;   in Loop: Header=BB14_11 Depth=1
	s_or_b64 exec, exec, s[2:3]
	v_cmp_gt_i32_e32 vcc, 50, v1
	s_mov_b64 s[38:39], -1
	s_and_saveexec_b64 s[2:3], vcc
; %bb.299:                              ;   in Loop: Header=BB14_11 Depth=1
	v_cmp_eq_u32_e32 vcc, 0, v1
	s_orn2_b64 s[38:39], vcc, exec
; %bb.300:                              ;   in Loop: Header=BB14_11 Depth=1
	s_or_b64 exec, exec, s[2:3]
                                        ; implicit-def: $vgpr2_vgpr3
	s_and_saveexec_b64 s[2:3], s[38:39]
	s_cbranch_execz .LBB14_316
; %bb.301:                              ;   in Loop: Header=BB14_11 Depth=1
	v_mov_b32_e32 v1, 50
	s_mov_b64 s[38:39], exec
	v_readlane_b32 s46, v255, 28
	v_readlane_b32 s47, v255, 29
	s_and_b64 s[46:47], s[38:39], s[46:47]
	s_mov_b64 exec, s[46:47]
	s_cbranch_execz .LBB14_303
; %bb.302:                              ;   in Loop: Header=BB14_11 Depth=1
	scratch_load_dword v1, off, off offset:88 ; 4-byte Folded Reload
	scratch_load_dword v3, off, off offset:92 ; 4-byte Folded Reload
	v_mul_lo_u32 v2, v175, s60
	s_waitcnt vmcnt(1)
	ds_read_b32 v1, v1 offset:196
	s_waitcnt vmcnt(0)
	ds_read_b32 v4, v3 offset:128
	v_ashrrev_i32_e32 v3, 31, v2
	v_lshl_add_u64 v[2:3], v[2:3], 0, v[36:37]
	v_lshl_add_u64 v[2:3], v[2:3], 3, v[76:77]
	s_waitcnt lgkmcnt(0)
	v_cvt_f32_f16_sdwa v5, v4 dst_sel:DWORD dst_unused:UNUSED_PAD src0_sel:WORD_1
	v_cvt_f32_f16_e32 v4, v4
	v_pk_add_f32 v[4:5], v[4:5], 0 op_sel_hi:[1,0]
	s_nop 0
	v_div_scale_f32 v6, s[46:47], v1, v1, v5
	v_rcp_f32_e32 v7, v6
	s_nop 0
	v_fma_f32 v8, -v6, v7, 1.0
	v_fmac_f32_e32 v7, v8, v7
	v_div_scale_f32 v8, vcc, v5, v1, v5
	v_mul_f32_e32 v9, v8, v7
	v_fma_f32 v10, -v6, v9, v8
	v_fmac_f32_e32 v9, v10, v7
	v_fma_f32 v6, -v6, v9, v8
	v_div_fmas_f32 v6, v6, v7, v9
	v_div_fixup_f32 v5, v6, v1, v5
	v_div_scale_f32 v6, s[46:47], v1, v1, v4
	v_rcp_f32_e32 v7, v6
	s_nop 0
	v_fma_f32 v8, -v6, v7, 1.0
	v_fmac_f32_e32 v7, v8, v7
	v_div_scale_f32 v8, vcc, v4, v1, v4
	v_mul_f32_e32 v9, v8, v7
	v_fma_f32 v10, -v6, v9, v8
	v_fmac_f32_e32 v9, v10, v7
	v_fma_f32 v6, -v6, v9, v8
	v_div_fmas_f32 v6, v6, v7, v9
	v_div_fixup_f32 v4, v6, v1, v4
	v_mov_b32_e32 v1, 0
	global_store_dwordx2 v[2:3], v[4:5], off offset:256
.LBB14_303:                             ;   in Loop: Header=BB14_11 Depth=1
	s_or_b64 exec, exec, s[38:39]
	v_cmp_gt_i32_e32 vcc, 50, v1
	s_mov_b64 s[62:63], -1
	s_and_saveexec_b64 s[38:39], vcc
; %bb.304:                              ;   in Loop: Header=BB14_11 Depth=1
	v_cmp_eq_u32_e32 vcc, 0, v1
	s_orn2_b64 s[62:63], vcc, exec
; %bb.305:                              ;   in Loop: Header=BB14_11 Depth=1
	s_or_b64 exec, exec, s[38:39]
	s_mov_b64 s[46:47], s[40:41]
                                        ; implicit-def: $vgpr2_vgpr3
	s_and_saveexec_b64 s[38:39], s[62:63]
	s_cbranch_execz .LBB14_315
; %bb.306:                              ;   in Loop: Header=BB14_11 Depth=1
	v_mov_b32_e32 v1, 50
	s_mov_b64 s[46:47], exec
	v_readlane_b32 s62, v255, 30
	v_readlane_b32 s63, v255, 31
	s_and_b64 s[62:63], s[46:47], s[62:63]
	s_mov_b64 exec, s[62:63]
	s_cbranch_execz .LBB14_308
; %bb.307:                              ;   in Loop: Header=BB14_11 Depth=1
	scratch_load_dword v1, off, off offset:112 ; 4-byte Folded Reload
	scratch_load_dword v3, off, off offset:116 ; 4-byte Folded Reload
	v_mul_lo_u32 v2, v39, s60
	s_waitcnt vmcnt(1)
	ds_read_b32 v1, v1 offset:196
	s_waitcnt vmcnt(0)
	ds_read_b32 v4, v3 offset:128
	v_ashrrev_i32_e32 v3, 31, v2
	v_lshl_add_u64 v[2:3], v[2:3], 0, v[36:37]
	v_lshl_add_u64 v[2:3], v[2:3], 3, v[76:77]
	s_waitcnt lgkmcnt(0)
	v_cvt_f32_f16_sdwa v5, v4 dst_sel:DWORD dst_unused:UNUSED_PAD src0_sel:WORD_1
	v_cvt_f32_f16_e32 v4, v4
	v_pk_add_f32 v[4:5], v[4:5], 0 op_sel_hi:[1,0]
	s_nop 0
	v_div_scale_f32 v6, s[62:63], v1, v1, v5
	v_rcp_f32_e32 v7, v6
	s_nop 0
	v_fma_f32 v8, -v6, v7, 1.0
	v_fmac_f32_e32 v7, v8, v7
	v_div_scale_f32 v8, vcc, v5, v1, v5
	v_mul_f32_e32 v9, v8, v7
	v_fma_f32 v10, -v6, v9, v8
	v_fmac_f32_e32 v9, v10, v7
	v_fma_f32 v6, -v6, v9, v8
	v_div_fmas_f32 v6, v6, v7, v9
	v_div_fixup_f32 v5, v6, v1, v5
	v_div_scale_f32 v6, s[62:63], v1, v1, v4
	v_rcp_f32_e32 v7, v6
	s_nop 0
	v_fma_f32 v8, -v6, v7, 1.0
	v_fmac_f32_e32 v7, v8, v7
	v_div_scale_f32 v8, vcc, v4, v1, v4
	v_mul_f32_e32 v9, v8, v7
	v_fma_f32 v10, -v6, v9, v8
	v_fmac_f32_e32 v9, v10, v7
	v_fma_f32 v6, -v6, v9, v8
	v_div_fmas_f32 v6, v6, v7, v9
	v_div_fixup_f32 v4, v6, v1, v4
	v_mov_b32_e32 v1, 0
	global_store_dwordx2 v[2:3], v[4:5], off offset:256
.LBB14_308:                             ;   in Loop: Header=BB14_11 Depth=1
	s_or_b64 exec, exec, s[46:47]
	v_cmp_gt_i32_e32 vcc, 50, v1
	s_mov_b64 s[64:65], -1
	s_and_saveexec_b64 s[46:47], vcc
; %bb.309:                              ;   in Loop: Header=BB14_11 Depth=1
	v_cmp_eq_u32_e32 vcc, 0, v1
	s_orn2_b64 s[64:65], vcc, exec
; %bb.310:                              ;   in Loop: Header=BB14_11 Depth=1
	s_or_b64 exec, exec, s[46:47]
	s_mov_b64 s[62:63], s[40:41]
                                        ; implicit-def: $vgpr2_vgpr3
	s_and_saveexec_b64 s[46:47], s[64:65]
	s_cbranch_execz .LBB14_314
; %bb.311:                              ;   in Loop: Header=BB14_11 Depth=1
	s_mov_b64 s[64:65], s[40:41]
                                        ; implicit-def: $vgpr2_vgpr3
	s_mov_b64 s[62:63], exec
	v_readlane_b32 s66, v255, 32
	v_readlane_b32 s67, v255, 33
	s_and_b64 s[66:67], s[62:63], s[66:67]
	s_mov_b64 exec, s[66:67]
	s_cbranch_execz .LBB14_313
; %bb.312:                              ;   in Loop: Header=BB14_11 Depth=1
	scratch_load_dword v1, off, off offset:128 ; 4-byte Folded Reload
	scratch_load_dword v2, off, off offset:132 ; 4-byte Folded Reload
	s_waitcnt vmcnt(1)
	ds_read_b32 v1, v1 offset:196
	s_waitcnt vmcnt(0)
	ds_read_b32 v2, v2 offset:128
	s_waitcnt lgkmcnt(0)
	v_cvt_f32_f16_sdwa v3, v2 dst_sel:DWORD dst_unused:UNUSED_PAD src0_sel:WORD_1
	v_cvt_f32_f16_e32 v2, v2
	v_pk_add_f32 v[2:3], v[2:3], 0 op_sel_hi:[1,0]
	s_nop 0
	v_div_scale_f32 v4, s[64:65], v1, v1, v3
	v_rcp_f32_e32 v5, v4
	s_nop 0
	v_fma_f32 v6, -v4, v5, 1.0
	v_fmac_f32_e32 v5, v6, v5
	v_div_scale_f32 v6, vcc, v3, v1, v3
	v_mul_f32_e32 v7, v6, v5
	v_fma_f32 v8, -v4, v7, v6
	v_fmac_f32_e32 v7, v8, v5
	v_fma_f32 v4, -v4, v7, v6
	v_div_fmas_f32 v4, v4, v5, v7
	v_div_fixup_f32 v3, v4, v1, v3
	v_div_scale_f32 v4, s[64:65], v1, v1, v2
	v_rcp_f32_e32 v5, v4
	s_or_b64 s[64:65], s[40:41], exec
	v_fma_f32 v6, -v4, v5, 1.0
	v_fmac_f32_e32 v5, v6, v5
	v_div_scale_f32 v6, vcc, v2, v1, v2
	v_mul_f32_e32 v7, v6, v5
	v_fma_f32 v8, -v4, v7, v6
	v_fmac_f32_e32 v7, v8, v5
	v_fma_f32 v4, -v4, v7, v6
	v_div_fmas_f32 v4, v4, v5, v7
	v_div_fixup_f32 v2, v4, v1, v2
.LBB14_313:                             ;   in Loop: Header=BB14_11 Depth=1
	s_or_b64 exec, exec, s[62:63]
	s_andn2_b64 s[62:63], s[40:41], exec
	s_and_b64 s[64:65], s[64:65], exec
	s_or_b64 s[62:63], s[62:63], s[64:65]
.LBB14_314:                             ;   in Loop: Header=BB14_11 Depth=1
	s_or_b64 exec, exec, s[46:47]
	s_andn2_b64 s[46:47], s[40:41], exec
	s_and_b64 s[62:63], s[62:63], exec
	s_or_b64 s[46:47], s[46:47], s[62:63]
.LBB14_315:                             ;   in Loop: Header=BB14_11 Depth=1
	s_or_b64 exec, exec, s[38:39]
	s_andn2_b64 s[38:39], s[40:41], exec
	s_and_b64 s[40:41], s[46:47], exec
	s_or_b64 s[40:41], s[38:39], s[40:41]
.LBB14_316:                             ;   in Loop: Header=BB14_11 Depth=1
	s_or_b64 exec, exec, s[2:3]
.LBB14_317:                             ;   in Loop: Header=BB14_11 Depth=1
	s_and_saveexec_b64 s[2:3], s[40:41]
	s_cbranch_execz .LBB14_10
; %bb.318:                              ;   in Loop: Header=BB14_11 Depth=1
	v_mul_lo_u32 v4, v200, s60
	v_ashrrev_i32_e32 v5, 31, v4
	v_lshl_add_u64 v[4:5], v[4:5], 0, v[36:37]
	v_lshl_add_u64 v[4:5], v[4:5], 3, v[76:77]
	global_store_dwordx2 v[4:5], v[2:3], off offset:256
	s_branch .LBB14_10
.LBB14_319:
	s_andn2_b64 vcc, exec, s[2:3]
	s_cbranch_vccnz .LBB14_433
; %bb.320:
	v_readlane_b32 s6, v254, 7
	s_abs_i32 s0, s6
	v_cvt_f32_u32_e32 v1, s0
	s_sub_i32 s3, 0, s0
	s_abs_i32 s2, s92
	s_xor_b32 s1, s92, s6
	v_rcp_iflag_f32_e32 v1, v1
	s_ashr_i32 s1, s1, 31
	v_readlane_b32 s8, v254, 6
	v_readlane_b32 s9, v254, 3
	v_mul_f32_e32 v1, 0x4f7ffffe, v1
	v_cvt_u32_f32_e32 v1, v1
	s_mov_b64 s[40:41], 0
	v_readfirstlane_b32 s4, v1
	s_mul_i32 s3, s3, s4
	s_mul_hi_u32 s3, s4, s3
	s_add_i32 s4, s4, s3
	s_mul_hi_u32 s3, s2, s4
	s_mul_i32 s4, s3, s0
	s_sub_i32 s2, s2, s4
	s_add_i32 s5, s3, 1
	s_sub_i32 s4, s2, s0
	s_cmp_ge_u32 s2, s0
	s_cselect_b32 s3, s5, s3
	s_cselect_b32 s2, s4, s2
	s_add_i32 s4, s3, 1
	s_cmp_ge_u32 s2, s0
	s_cselect_b32 s0, s4, s3
	s_abs_i32 s2, s8
	v_cvt_f32_u32_e32 v1, s2
	s_xor_b32 s0, s0, s1
	s_sub_i32 s4, s0, s1
	s_sub_i32 s3, 0, s2
	v_rcp_iflag_f32_e32 v1, v1
	s_mul_i32 s0, s4, s6
	s_sub_i32 s0, s92, s0
	s_abs_i32 s5, s0
	v_mul_f32_e32 v1, 0x4f7ffffe, v1
	v_cvt_u32_f32_e32 v1, v1
	s_xor_b32 s1, s0, s8
	s_ashr_i32 s1, s1, 31
	v_readfirstlane_b32 s6, v1
	s_mul_i32 s3, s3, s6
	s_mul_hi_u32 s3, s6, s3
	s_add_i32 s6, s6, s3
	s_mul_hi_u32 s3, s5, s6
	s_mul_i32 s6, s3, s2
	s_sub_i32 s5, s5, s6
	s_add_i32 s7, s3, 1
	s_sub_i32 s6, s5, s2
	s_cmp_ge_u32 s5, s2
	s_cselect_b32 s3, s7, s3
	s_cselect_b32 s5, s6, s5
	s_add_i32 s6, s3, 1
	s_cmp_ge_u32 s5, s2
	s_cselect_b32 s2, s6, s3
	s_abs_i32 s3, s9
	v_cvt_f32_u32_e32 v1, s3
	s_xor_b32 s2, s2, s1
	s_sub_i32 s6, 0, s3
	s_sub_i32 s5, s2, s1
	v_rcp_iflag_f32_e32 v1, v1
	s_mul_i32 s1, s5, s8
	s_sub_i32 s1, s0, s1
	s_abs_i32 s2, s1
	v_mul_f32_e32 v1, 0x4f7ffffe, v1
	v_cvt_u32_f32_e32 v1, v1
	s_xor_b32 s0, s1, s9
	s_ashr_i32 s0, s0, 31
	v_readfirstlane_b32 s7, v1
	s_mul_i32 s6, s6, s7
	s_mul_hi_u32 s6, s7, s6
	s_add_i32 s7, s7, s6
	s_mul_hi_u32 s6, s2, s7
	s_mul_i32 s7, s6, s3
	s_sub_i32 s2, s2, s7
	s_add_i32 s8, s6, 1
	s_sub_i32 s7, s2, s3
	s_cmp_ge_u32 s2, s3
	s_cselect_b32 s6, s8, s6
	s_cselect_b32 s2, s7, s2
	s_add_i32 s7, s6, 1
	s_cmp_ge_u32 s2, s3
	s_cselect_b32 s2, s7, s6
	s_xor_b32 s2, s2, s0
	s_sub_i32 s0, s2, s0
	s_mul_i32 s2, s0, s9
	s_sub_i32 s1, s1, s2
	s_abs_i32 s8, s1
	v_readlane_b32 s2, v254, 28
	s_ashr_i32 s6, s4, 31
	s_mul_hi_u32 s7, s8, s2
	s_cmp_eq_u64 s[74:75], 0
	s_cbranch_scc1 .LBB14_322
; %bb.321:
	s_abs_i32 s2, s96
	v_cvt_f32_u32_e32 v1, s2
	s_sub_i32 s9, 0, s2
	s_abs_i32 s3, s4
	v_readlane_b32 s12, v254, 19
	v_rcp_iflag_f32_e32 v1, v1
	v_readlane_b32 s13, v254, 20
	v_mul_f32_e32 v1, 0x4f7ffffe, v1
	v_cvt_u32_f32_e32 v1, v1
	s_nop 0
	v_readfirstlane_b32 s10, v1
	s_mul_i32 s9, s9, s10
	s_mul_hi_u32 s9, s10, s9
	s_add_i32 s10, s10, s9
	s_mul_hi_u32 s9, s3, s10
	s_mul_i32 s9, s9, s2
	s_sub_i32 s3, s3, s9
	s_sub_i32 s9, s3, s2
	s_cmp_ge_u32 s3, s2
	s_cselect_b32 s3, s9, s3
	s_sub_i32 s9, s3, s2
	s_cmp_ge_u32 s3, s2
	s_cselect_b32 s2, s9, s3
	s_xor_b32 s2, s2, s6
	s_sub_i32 s2, s2, s6
	s_ashr_i32 s3, s2, 31
	s_mul_hi_u32 s9, s12, s2
	s_mul_i32 s3, s12, s3
	s_mul_i32 s10, s13, s2
	s_add_i32 s3, s9, s3
	s_add_i32 s3, s3, s10
	s_mul_i32 s2, s12, s2
	s_add_u32 s40, s74, s2
	s_addc_u32 s41, s75, s3
.LBB14_322:
	s_ashr_i32 s10, s1, 31
	v_readlane_b32 s1, v254, 2
	s_mul_i32 s9, s5, s1
	s_add_i32 s9, s9, s0
	v_cmp_le_f32_e64 s[0:1], s89, 0
	s_and_b64 vcc, exec, s[0:1]
	v_mov_b32_e32 v38, 1.0
	s_cbranch_vccnz .LBB14_324
; %bb.323:
	v_readlane_b32 s0, v254, 16
	v_mov_b32_e32 v2, s91
	v_mov_b32_e32 v3, s90
	;; [unrolled: 1-line block ×3, first 2 shown]
	v_sub_co_u32_e32 v1, vcc, s9, v1
	s_add_i32 s0, s9, 1
	v_lshlrev_b32_e32 v1, 1, v1
	v_cndmask_b32_e32 v2, v2, v3, vcc
	v_or_b32_e32 v1, 1, v1
	v_mov_b32_e32 v3, s0
	v_cndmask_b32_e32 v1, v1, v3, vcc
	v_cvt_f32_i32_e32 v1, v1
	v_cmp_neq_f32_e32 vcc, 1.0, v2
	s_mov_b32 s0, 0x3f2aaaab
	s_movk_i32 s2, 0x204
	v_cndmask_b32_e32 v1, 1.0, v1, vcc
	v_cmp_neq_f32_e32 vcc, 0, v1
	s_mov_b32 s1, 0x42b17218
	s_mov_b32 s3, 0x3fb8aa3b
	v_cndmask_b32_e32 v18, 1.0, v2, vcc
	v_frexp_mant_f32_e64 v2, |v18|
	v_cmp_gt_f32_e32 vcc, s0, v2
	s_mov_b32 s0, 0x3f317218
	s_brev_b32 s11, -2
	v_cndmask_b32_e64 v3, 1.0, 2.0, vcc
	v_mul_f32_e32 v2, v2, v3
	v_add_f32_e32 v5, 1.0, v2
	v_rcp_f32_e32 v10, v5
	v_add_f32_e32 v3, -1.0, v5
	v_sub_f32_e32 v7, v2, v3
	v_add_f32_e32 v3, -1.0, v2
	v_mul_f32_e32 v11, v3, v10
	v_mul_f32_e32 v4, v5, v11
	v_fma_f32 v6, v11, v5, -v4
	v_fmac_f32_e32 v6, v11, v7
	v_add_f32_e32 v2, v4, v6
	v_sub_f32_e32 v5, v3, v2
	v_pk_add_f32 v[8:9], v[2:3], v[4:5] neg_lo:[0,1] neg_hi:[0,1]
	v_mov_b32_e32 v7, v2
	v_pk_add_f32 v[2:3], v[8:9], v[6:7] neg_lo:[0,1] neg_hi:[0,1]
	v_mov_b32_e32 v6, 0x3e91f4c4
	v_add_f32_e32 v2, v2, v3
	v_add_f32_e32 v2, v5, v2
	v_mul_f32_e32 v3, v10, v2
	v_add_f32_e32 v2, v11, v3
	v_sub_f32_e32 v4, v2, v11
	v_sub_f32_e32 v12, v3, v4
	v_mul_f32_e32 v3, v2, v2
	v_fma_f32 v5, v2, v2, -v3
	v_add_f32_e32 v4, v12, v12
	v_fmac_f32_e32 v5, v2, v4
	v_add_f32_e32 v4, v3, v5
	v_fmac_f32_e32 v6, 0x3e76c4e1, v4
	v_fmaak_f32 v6, v4, v6, 0x3ecccdef
	v_sub_f32_e32 v3, v4, v3
	v_sub_f32_e32 v13, v5, v3
	v_mul_f32_e32 v3, v4, v6
	v_fma_f32 v5, v4, v6, -v3
	v_fmac_f32_e32 v5, v13, v6
	v_add_f32_e32 v6, v3, v5
	v_add_f32_e32 v7, 0x3f2aaaaa, v6
	v_sub_f32_e32 v3, v6, v3
	v_sub_f32_e32 v3, v5, v3
	v_add_f32_e32 v5, 0xbf2aaaaa, v7
	v_add_f32_e32 v3, 0x31739010, v3
	v_sub_f32_e32 v5, v6, v5
	v_pk_mul_f32 v[8:9], v[2:3], v[4:5]
	v_pk_add_f32 v[10:11], v[2:3], v[4:5]
	v_fma_f32 v6, v4, v2, -v8
	v_fmac_f32_e32 v6, v4, v12
	v_mov_b32_e32 v9, v11
	v_fmac_f32_e32 v6, v13, v2
	v_pk_add_f32 v[4:5], v[8:9], v[6:7]
	v_ldexp_f32 v14, v12, 1
	v_sub_f32_e32 v3, v4, v8
	v_sub_f32_e32 v3, v6, v3
	;; [unrolled: 1-line block ×3, first 2 shown]
	v_add_f32_e32 v9, v11, v6
	v_pk_mul_f32 v[6:7], v[4:5], v[4:5] op_sel:[0,1] op_sel_hi:[1,0]
	v_cvt_f64_f32_e64 v[10:11], |v18|
	v_frexp_exp_i32_f64_e32 v7, v[10:11]
	v_subbrev_co_u32_e32 v7, vcc, 0, v7, vcc
	v_cvt_f32_i32_e32 v7, v7
	v_fma_f32 v8, v4, v5, -v6
	v_fmac_f32_e32 v8, v4, v9
	v_fmac_f32_e32 v8, v3, v5
	v_mul_f32_e32 v4, 0x3f317218, v7
	v_fma_f32 v3, v7, s0, -v4
	v_fmamk_f32 v10, v7, 0xb102e308, v3
	v_ldexp_f32 v11, v2, 1
	v_add_f32_e32 v5, v6, v8
	v_pk_add_f32 v[2:3], v[4:5], v[10:11]
	v_mov_b32_e32 v12, v5
	v_mov_b32_e32 v13, v3
	v_mov_b32_e32 v7, v11
	v_pk_add_f32 v[6:7], v[12:13], v[6:7] neg_lo:[0,1] neg_hi:[0,1]
	v_mov_b32_e32 v9, v5
	v_pk_add_f32 v[6:7], v[8:9], v[6:7] neg_lo:[0,1] neg_hi:[0,1]
	v_mov_b32_e32 v11, v2
	v_add_f32_e32 v5, v14, v6
	v_add_f32_e32 v5, v5, v7
	v_pk_add_f32 v[6:7], v[2:3], v[4:5] neg_lo:[0,1] neg_hi:[0,1]
	v_pk_add_f32 v[8:9], v[2:3], v[4:5]
	v_mov_b32_e32 v16, v3
	v_mov_b32_e32 v7, v9
	v_pk_add_f32 v[12:13], v[10:11], v[6:7] neg_lo:[0,1] neg_hi:[0,1]
	v_pk_add_f32 v[6:7], v[10:11], v[6:7]
	v_mov_b32_e32 v4, v5
	v_pk_add_f32 v[10:11], v[6:7], v[2:3] op_sel:[1,0] op_sel_hi:[0,1] neg_lo:[0,1] neg_hi:[0,1]
	v_pk_add_f32 v[14:15], v[8:9], v[10:11] op_sel_hi:[1,0] neg_lo:[0,1] neg_hi:[0,1]
	v_mov_b32_e32 v8, v9
	v_mov_b32_e32 v9, v7
	;; [unrolled: 1-line block ×3, first 2 shown]
	v_pk_add_f32 v[8:9], v[8:9], v[16:17] neg_lo:[0,1] neg_hi:[0,1]
	v_mov_b32_e32 v5, v2
	v_pk_add_f32 v[2:3], v[4:5], v[8:9] neg_lo:[0,1] neg_hi:[0,1]
	v_mov_b32_e32 v14, v12
	v_pk_add_f32 v[4:5], v[14:15], v[2:3]
	v_mov_b32_e32 v13, v7
	v_pk_add_f32 v[8:9], v[4:5], v[4:5] op_sel:[0,1] op_sel_hi:[1,0]
	s_mov_b32 s0, 0x7f800000
	v_pk_add_f32 v[6:7], v[6:7], v[8:9] op_sel:[1,0] op_sel_hi:[0,1]
	v_mov_b32_e32 v5, v6
	v_pk_add_f32 v[10:11], v[4:5], v[12:13] neg_lo:[0,1] neg_hi:[0,1]
	v_mov_b32_e32 v3, v8
	v_sub_f32_e32 v4, v4, v10
	v_pk_add_f32 v[2:3], v[2:3], v[10:11] neg_lo:[0,1] neg_hi:[0,1]
	v_sub_f32_e32 v4, v12, v4
	v_add_f32_e32 v2, v2, v4
	v_add_f32_e32 v2, v2, v3
	;; [unrolled: 1-line block ×3, first 2 shown]
	v_sub_f32_e32 v4, v3, v6
	v_sub_f32_e32 v2, v2, v4
	v_mul_f32_e32 v4, v1, v3
	v_fma_f32 v3, v1, v3, -v4
	v_fmac_f32_e32 v3, v1, v2
	v_add_f32_e32 v2, v4, v3
	v_cmp_class_f32_e64 vcc, v4, s2
	v_sub_f32_e32 v5, v2, v4
	v_sub_f32_e32 v3, v3, v5
	v_cndmask_b32_e32 v2, v2, v4, vcc
	v_mov_b32_e32 v4, 0x37000000
	v_cmp_eq_f32_e32 vcc, s1, v2
	v_cmp_class_f32_e64 s[12:13], v18, s2
	s_nop 0
	v_cndmask_b32_e32 v4, 0, v4, vcc
	v_sub_f32_e32 v5, v2, v4
	v_mul_f32_e32 v6, 0x3fb8aa3b, v5
	v_fma_f32 v7, v5, s3, -v6
	v_rndne_f32_e32 v8, v6
	v_fmamk_f32 v7, v5, 0x32a5705f, v7
	v_sub_f32_e32 v6, v6, v8
	v_add_f32_e32 v6, v6, v7
	v_exp_f32_e32 v6, v6
	v_cvt_i32_f32_e32 v7, v8
	v_cmp_neq_f32_e64 vcc, |v2|, s0
	s_mov_b32 s0, 0xc2ce8ed0
	s_nop 0
	v_cndmask_b32_e32 v2, 0, v3, vcc
	v_ldexp_f32 v3, v6, v7
	v_cmp_ngt_f32_e32 vcc, s0, v5
	v_add_f32_e32 v2, v4, v2
	v_mov_b32_e32 v4, 0x7f800000
	v_cndmask_b32_e32 v3, 0, v3, vcc
	v_cmp_nlt_f32_e32 vcc, s1, v5
	v_mov_b32_e32 v5, 0x7fc00000
	s_nop 0
	v_cndmask_b32_e32 v3, v4, v3, vcc
	v_fma_f32 v2, v3, v2, v3
	v_cmp_class_f32_e64 vcc, v3, s2
	v_cmp_gt_f32_e64 s[2:3], 0, v1
	s_nop 0
	v_cndmask_b32_e32 v2, v2, v3, vcc
	v_trunc_f32_e32 v3, v1
	v_cmp_eq_f32_e32 vcc, v3, v1
	v_mul_f32_e32 v3, 0.5, v1
	v_trunc_f32_e32 v6, v3
	v_cmp_neq_f32_e64 s[0:1], v6, v3
	s_and_b64 s[0:1], vcc, s[0:1]
	s_nop 0
	v_cndmask_b32_e64 v3, 1.0, v18, s[0:1]
	v_bfi_b32 v2, s11, v2, v3
	v_cndmask_b32_e32 v3, v5, v2, vcc
	v_cmp_gt_f32_e32 vcc, 0, v18
	s_nop 1
	v_cndmask_b32_e32 v2, v2, v3, vcc
	v_cmp_eq_f32_e32 vcc, 0, v18
	s_xor_b64 s[2:3], s[2:3], vcc
	v_cndmask_b32_e64 v1, v4, 0, s[2:3]
	v_cndmask_b32_e64 v3, 0, v18, s[0:1]
	v_bfi_b32 v1, s11, v1, v3
	s_or_b64 vcc, vcc, s[12:13]
	v_cndmask_b32_e32 v1, v2, v1, vcc
	v_cmp_o_f32_e32 vcc, v18, v18
	s_nop 1
	v_cndmask_b32_e32 v38, v5, v1, vcc
.LBB14_324:
	v_readlane_b32 s0, v254, 27
	s_xor_b32 s0, s10, s0
	v_readlane_b32 s10, v254, 29
	s_mul_i32 s1, s7, s10
	s_sub_i32 s1, s8, s1
	s_add_i32 s2, s7, 1
	s_sub_i32 s3, s1, s10
	s_cmp_ge_u32 s1, s10
	s_cselect_b32 s2, s2, s7
	s_cselect_b32 s1, s3, s1
	s_add_i32 s3, s2, 1
	s_cmp_ge_u32 s1, s10
	s_cselect_b32 s1, s3, s2
	s_xor_b32 s1, s1, s0
	s_sub_i32 s2, s1, s0
	s_cmp_eq_u64 s[78:79], 0
	v_mov_b32_e32 v12, s58
	s_cbranch_scc1 .LBB14_326
; %bb.325:
	v_readlane_b32 s0, v254, 0
	s_mul_i32 s0, s4, s0
	s_add_i32 s0, s2, s0
	s_ashr_i32 s1, s0, 31
	s_lshl_b64 s[0:1], s[0:1], 2
	s_add_u32 s0, s78, s0
	s_addc_u32 s1, s79, s1
	v_mov_b32_e32 v1, 0
	global_load_dword v1, v1, s[0:1]
	s_waitcnt vmcnt(0)
	v_ashrrev_i32_e32 v2, 31, v1
	v_lshrrev_b32_e32 v2, 26, v2
	v_add_u32_e32 v1, v1, v2
	v_ashrrev_i32_e32 v1, 6, v1
	v_min_i32_e32 v12, s58, v1
.LBB14_326:
	v_readlane_b32 s10, v254, 10
	v_readlane_b32 s11, v254, 11
	s_mul_i32 s0, s4, s11
	s_ashr_i32 s1, s0, 31
	s_add_u32 s0, s68, s0
	s_mul_i32 s9, s9, s10
	s_addc_u32 s1, s69, s1
	s_ashr_i32 s3, s9, 31
	s_add_u32 s0, s0, s9
	s_addc_u32 s1, s1, s3
	s_lshl_b32 s51, s2, 6
	v_add_u32_e32 v2, s51, v35
	s_mov_b32 s7, 0x10001
	v_lshl_add_u32 v92, v34, 2, 0
	v_cmp_le_i32_e32 vcc, s48, v2
	s_and_saveexec_b64 s[2:3], vcc
	s_xor_b64 s[2:3], exec, s[2:3]
; %bb.327:
	s_movk_i32 s8, 0xd0
	v_mad_u32_u24 v1, v35, s8, v92
	v_mov_b32_e32 v2, 0
	ds_write_b32 v1, v2
                                        ; implicit-def: $vgpr2
; %bb.328:
	s_or_saveexec_b64 s[2:3], s[2:3]
	v_mul_lo_u32 v1, v104, s7
	s_xor_b64 exec, exec, s[2:3]
	s_cbranch_execz .LBB14_330
; %bb.329:
	v_mad_u64_u32 v[2:3], s[8:9], v2, s86, v[34:35]
	v_ashrrev_i32_e32 v3, 31, v2
	v_lshl_add_u64 v[2:3], v[2:3], 3, s[0:1]
	global_load_dwordx2 v[2:3], v[2:3], off
	s_movk_i32 s7, 0xd0
	s_waitcnt vmcnt(0)
	v_cvt_pk_f16_f32 v2, v2, v3
	v_pk_mul_f16 v2, v2, v1
	v_mad_u32_u24 v3, v35, s7, v92
	ds_write_b32 v3, v2
.LBB14_330:
	s_or_b64 exec, exec, s[2:3]
	v_add_u32_e32 v2, 8, v35
	v_add_u32_e32 v3, s51, v2
	v_cmp_le_i32_e32 vcc, s48, v3
	s_and_saveexec_b64 s[2:3], vcc
	s_xor_b64 s[2:3], exec, s[2:3]
; %bb.331:
	s_movk_i32 s7, 0xd0
	v_mad_u32_u24 v2, v2, s7, v92
	v_mov_b32_e32 v3, 0
	ds_write_b32 v2, v3
                                        ; implicit-def: $vgpr3
                                        ; implicit-def: $vgpr2
; %bb.332:
	s_andn2_saveexec_b64 s[2:3], s[2:3]
	s_cbranch_execz .LBB14_334
; %bb.333:
	v_mad_u64_u32 v[4:5], s[8:9], v3, s86, v[34:35]
	v_ashrrev_i32_e32 v5, 31, v4
	v_lshl_add_u64 v[4:5], v[4:5], 3, s[0:1]
	global_load_dwordx2 v[4:5], v[4:5], off
	s_movk_i32 s7, 0xd0
	v_mad_u32_u24 v2, v2, s7, v92
	s_waitcnt vmcnt(0)
	v_cvt_pk_f16_f32 v3, v4, v5
	v_pk_mul_f16 v3, v3, v1
	ds_write_b32 v2, v3
.LBB14_334:
	s_or_b64 exec, exec, s[2:3]
	v_add_u32_e32 v93, 16, v35
	v_add_u32_e32 v2, s51, v93
	v_cmp_le_i32_e32 vcc, s48, v2
	s_and_saveexec_b64 s[2:3], vcc
	s_xor_b64 s[2:3], exec, s[2:3]
; %bb.335:
	s_movk_i32 s7, 0xd0
	v_mad_u32_u24 v2, v93, s7, v92
	v_mov_b32_e32 v3, 0
	ds_write_b32 v2, v3
                                        ; implicit-def: $vgpr2
; %bb.336:
	s_andn2_saveexec_b64 s[2:3], s[2:3]
	s_cbranch_execz .LBB14_338
; %bb.337:
	v_mad_u64_u32 v[2:3], s[8:9], v2, s86, v[34:35]
	v_ashrrev_i32_e32 v3, 31, v2
	v_lshl_add_u64 v[2:3], v[2:3], 3, s[0:1]
	global_load_dwordx2 v[2:3], v[2:3], off
	s_movk_i32 s7, 0xd0
	s_waitcnt vmcnt(0)
	v_cvt_pk_f16_f32 v2, v2, v3
	v_pk_mul_f16 v2, v2, v1
	v_mad_u32_u24 v3, v93, s7, v92
	ds_write_b32 v3, v2
.LBB14_338:
	s_or_b64 exec, exec, s[2:3]
	v_add_u32_e32 v2, 24, v35
	v_add_u32_e32 v3, s51, v2
	v_cmp_le_i32_e32 vcc, s48, v3
	s_and_saveexec_b64 s[2:3], vcc
	s_xor_b64 s[2:3], exec, s[2:3]
; %bb.339:
	s_movk_i32 s7, 0xd0
	v_mad_u32_u24 v2, v2, s7, v92
	v_mov_b32_e32 v3, 0
	ds_write_b32 v2, v3
                                        ; implicit-def: $vgpr3
                                        ; implicit-def: $vgpr2
; %bb.340:
	s_andn2_saveexec_b64 s[2:3], s[2:3]
	s_cbranch_execz .LBB14_342
; %bb.341:
	v_mad_u64_u32 v[4:5], s[8:9], v3, s86, v[34:35]
	v_ashrrev_i32_e32 v5, 31, v4
	v_lshl_add_u64 v[4:5], v[4:5], 3, s[0:1]
	global_load_dwordx2 v[4:5], v[4:5], off
	s_movk_i32 s7, 0xd0
	v_mad_u32_u24 v2, v2, s7, v92
	s_waitcnt vmcnt(0)
	v_cvt_pk_f16_f32 v3, v4, v5
	v_pk_mul_f16 v3, v3, v1
	ds_write_b32 v2, v3
.LBB14_342:
	s_or_b64 exec, exec, s[2:3]
	v_add_u32_e32 v94, 32, v35
	v_add_u32_e32 v2, s51, v94
	v_cmp_le_i32_e32 vcc, s48, v2
	s_and_saveexec_b64 s[2:3], vcc
	s_xor_b64 s[2:3], exec, s[2:3]
; %bb.343:
	s_movk_i32 s7, 0xd0
	v_mad_u32_u24 v2, v94, s7, v92
	v_mov_b32_e32 v3, 0
	ds_write_b32 v2, v3
                                        ; implicit-def: $vgpr2
; %bb.344:
	s_andn2_saveexec_b64 s[2:3], s[2:3]
	;; [unrolled: 55-line block ×3, first 2 shown]
	s_cbranch_execz .LBB14_354
; %bb.353:
	v_mad_u64_u32 v[2:3], s[8:9], v2, s86, v[34:35]
	v_ashrrev_i32_e32 v3, 31, v2
	v_lshl_add_u64 v[2:3], v[2:3], 3, s[0:1]
	global_load_dwordx2 v[2:3], v[2:3], off
	s_movk_i32 s7, 0xd0
	s_waitcnt vmcnt(0)
	v_cvt_pk_f16_f32 v2, v2, v3
	v_pk_mul_f16 v2, v2, v1
	v_mad_u32_u24 v3, v96, s7, v92
	ds_write_b32 v3, v2
.LBB14_354:
	s_or_b64 exec, exec, s[2:3]
	v_add_u32_e32 v2, 56, v35
	v_add_u32_e32 v3, s51, v2
	v_cmp_le_i32_e32 vcc, s48, v3
	s_and_saveexec_b64 s[2:3], vcc
	s_xor_b64 s[2:3], exec, s[2:3]
; %bb.355:
	s_movk_i32 s7, 0xd0
	v_mad_u32_u24 v2, v2, s7, v92
	v_mov_b32_e32 v3, 0
	ds_write_b32 v2, v3
                                        ; implicit-def: $vgpr3
                                        ; implicit-def: $vgpr2
; %bb.356:
	s_or_saveexec_b64 s[2:3], s[2:3]
	v_and_b32_e32 v101, 0x3ff, v0
	s_xor_b64 exec, exec, s[2:3]
	s_cbranch_execz .LBB14_358
; %bb.357:
	v_mad_u64_u32 v[4:5], s[8:9], v3, s86, v[34:35]
	v_ashrrev_i32_e32 v5, 31, v4
	v_lshl_add_u64 v[4:5], v[4:5], 3, s[0:1]
	global_load_dwordx2 v[4:5], v[4:5], off
	s_movk_i32 s7, 0xd0
	v_mad_u32_u24 v2, v2, s7, v92
	s_waitcnt vmcnt(0)
	v_cvt_pk_f16_f32 v0, v4, v5
	v_pk_mul_f16 v0, v0, v1
	ds_write_b32 v2, v0
.LBB14_358:
	s_or_b64 exec, exec, s[2:3]
	v_lshrrev_b32_e32 v0, 4, v101
	v_lshl_add_u32 v95, v144, 2, v0
	v_add_u32_e32 v0, s51, v95
	v_and_b32_e32 v36, 15, v101
	v_cmp_le_i32_e32 vcc, s48, v0
	s_and_saveexec_b64 s[2:3], vcc
	s_xor_b64 s[2:3], exec, s[2:3]
; %bb.359:
	v_mul_u32_u24_e32 v0, 0xd0, v95
	v_lshlrev_b32_e32 v2, 2, v36
	v_add3_u32 v0, 0, v0, v2
	v_mov_b32_e32 v2, 0
	ds_write_b32 v0, v2 offset:128
                                        ; implicit-def: $vgpr0
; %bb.360:
	s_or_saveexec_b64 s[2:3], s[2:3]
	v_lshl_add_u32 v97, v36, 2, 0
	s_xor_b64 exec, exec, s[2:3]
	s_cbranch_execz .LBB14_362
; %bb.361:
	v_mul_lo_u32 v2, v0, s86
	v_ashrrev_i32_e32 v3, 31, v2
	v_mov_b32_e32 v37, 0
	v_lshl_add_u64 v[2:3], v[2:3], 0, v[36:37]
	v_lshl_add_u64 v[2:3], v[2:3], 3, s[0:1]
	global_load_dwordx2 v[2:3], v[2:3], off offset:256
	s_movk_i32 s7, 0xd0
	s_waitcnt vmcnt(0)
	v_cvt_pk_f16_f32 v0, v2, v3
	v_pk_mul_f16 v0, v0, v1
	v_mad_u32_u24 v2, v95, s7, v97
	ds_write_b32 v2, v0 offset:128
.LBB14_362:
	s_or_b64 exec, exec, s[2:3]
	v_add_u32_e32 v98, 16, v95
	v_add_u32_e32 v0, s51, v98
	v_cmp_le_i32_e32 vcc, s48, v0
	s_and_saveexec_b64 s[2:3], vcc
	s_xor_b64 s[2:3], exec, s[2:3]
; %bb.363:
	v_mul_u32_u24_e32 v0, 0xd0, v98
	v_lshlrev_b32_e32 v2, 2, v36
	v_add3_u32 v0, 0, v0, v2
	v_mov_b32_e32 v2, 0
	ds_write_b32 v0, v2 offset:128
                                        ; implicit-def: $vgpr0
; %bb.364:
	s_andn2_saveexec_b64 s[2:3], s[2:3]
	s_cbranch_execz .LBB14_366
; %bb.365:
	v_mul_lo_u32 v2, v0, s86
	v_ashrrev_i32_e32 v3, 31, v2
	v_mov_b32_e32 v37, 0
	v_lshl_add_u64 v[2:3], v[2:3], 0, v[36:37]
	v_lshl_add_u64 v[2:3], v[2:3], 3, s[0:1]
	global_load_dwordx2 v[2:3], v[2:3], off offset:256
	s_movk_i32 s7, 0xd0
	s_waitcnt vmcnt(0)
	v_cvt_pk_f16_f32 v0, v2, v3
	v_pk_mul_f16 v0, v0, v1
	v_mad_u32_u24 v2, v98, s7, v97
	ds_write_b32 v2, v0 offset:128
.LBB14_366:
	s_or_b64 exec, exec, s[2:3]
	v_add_u32_e32 v99, 32, v95
	v_add_u32_e32 v0, s51, v99
	v_cmp_le_i32_e32 vcc, s48, v0
	s_and_saveexec_b64 s[2:3], vcc
	s_xor_b64 s[2:3], exec, s[2:3]
; %bb.367:
	v_mul_u32_u24_e32 v0, 0xd0, v99
	v_lshlrev_b32_e32 v2, 2, v36
	v_add3_u32 v0, 0, v0, v2
	v_mov_b32_e32 v2, 0
	ds_write_b32 v0, v2 offset:128
                                        ; implicit-def: $vgpr0
; %bb.368:
	s_andn2_saveexec_b64 s[2:3], s[2:3]
	s_cbranch_execz .LBB14_370
; %bb.369:
	v_mul_lo_u32 v2, v0, s86
	v_ashrrev_i32_e32 v3, 31, v2
	v_mov_b32_e32 v37, 0
	v_lshl_add_u64 v[2:3], v[2:3], 0, v[36:37]
	v_lshl_add_u64 v[2:3], v[2:3], 3, s[0:1]
	global_load_dwordx2 v[2:3], v[2:3], off offset:256
	s_movk_i32 s7, 0xd0
	s_waitcnt vmcnt(0)
	v_cvt_pk_f16_f32 v0, v2, v3
	v_pk_mul_f16 v0, v0, v1
	v_mad_u32_u24 v2, v99, s7, v97
	ds_write_b32 v2, v0 offset:128
.LBB14_370:
	s_or_b64 exec, exec, s[2:3]
	v_add_u32_e32 v100, 48, v95
	v_add_u32_e32 v0, s51, v100
	v_cmp_le_i32_e32 vcc, s48, v0
	s_and_saveexec_b64 s[2:3], vcc
	s_xor_b64 s[2:3], exec, s[2:3]
; %bb.371:
	v_mul_u32_u24_e32 v0, 0xd0, v100
	v_lshlrev_b32_e32 v1, 2, v36
	v_add3_u32 v0, 0, v0, v1
	v_mov_b32_e32 v1, 0
	ds_write_b32 v0, v1 offset:128
                                        ; implicit-def: $vgpr0
                                        ; implicit-def: $vgpr1
; %bb.372:
	s_andn2_saveexec_b64 s[2:3], s[2:3]
	s_cbranch_execz .LBB14_374
; %bb.373:
	v_mul_lo_u32 v2, v0, s86
	v_ashrrev_i32_e32 v3, 31, v2
	v_mov_b32_e32 v37, 0
	v_lshl_add_u64 v[2:3], v[2:3], 0, v[36:37]
	v_lshl_add_u64 v[2:3], v[2:3], 3, s[0:1]
	global_load_dwordx2 v[2:3], v[2:3], off offset:256
	s_movk_i32 s0, 0xd0
	s_waitcnt vmcnt(0)
	v_cvt_pk_f16_f32 v0, v2, v3
	v_pk_mul_f16 v0, v0, v1
	v_mad_u32_u24 v1, v100, s0, v97
	ds_write_b32 v1, v0 offset:128
.LBB14_374:
	s_or_b64 exec, exec, s[2:3]
	v_readlane_b32 s2, v254, 17
	v_readlane_b32 s3, v254, 18
	s_mul_i32 s0, s2, s6
	s_mul_hi_u32 s1, s2, s4
	s_add_i32 s0, s1, s0
	s_mul_i32 s1, s3, s4
	v_readlane_b32 s8, v254, 23
	s_add_i32 s0, s0, s1
	s_mul_i32 s1, s2, s4
	v_readlane_b32 s11, v254, 26
	s_add_u32 s1, s72, s1
	s_mul_i32 s2, s5, s11
	s_addc_u32 s0, s73, s0
	s_ashr_i32 s3, s2, 31
	s_add_u32 s33, s1, s2
	v_readlane_b32 s9, v254, 24
	s_addc_u32 s49, s0, s3
	s_mul_i32 s0, s8, s6
	s_mul_hi_u32 s1, s8, s4
	s_add_i32 s0, s1, s0
	s_mul_i32 s1, s9, s4
	v_readlane_b32 s2, v254, 21
	s_add_i32 s0, s0, s1
	s_mul_i32 s1, s8, s4
	v_readlane_b32 s3, v254, 22
	s_add_u32 s1, s70, s1
	s_mul_i32 s5, s5, s3
	s_addc_u32 s0, s71, s0
	s_ashr_i32 s2, s5, 31
	s_add_u32 s57, s1, s5
	v_lshrrev_b32_e32 v14, 3, v101
	s_addc_u32 s58, s0, s2
	s_movk_i32 s0, 0xd00
	v_and_b32_e32 v0, 0x7e, v14
	v_mad_u32_u24 v13, v144, s0, 0
	v_mul_u32_u24_e32 v117, 0xd0, v36
	v_lshlrev_b32_e32 v37, 2, v0
	v_add3_u32 v0, v13, v117, v37
	s_waitcnt lgkmcnt(0)
	s_barrier
	ds_read2_b64 v[8:11], v0 offset1:4
	ds_read2_b64 v[4:7], v0 offset0:8 offset1:12
	ds_read2_b64 v[0:3], v0 offset0:16 offset1:20
	v_add_u32_e32 v121, -1, v12
	v_cmp_ge_i32_e32 vcc, s66, v121
	s_movk_i32 s4, 0xd0
	s_mov_b32 s59, 0
	s_and_b64 vcc, exec, vcc
	v_lshlrev_b32_e32 v32, 1, v101
	v_lshrrev_b32_e32 v115, 2, v101
	v_lshlrev_b32_e32 v118, 2, v101
	v_lshl_add_u32 v114, v144, 3, v14
	v_lshl_or_b32 v116, v14, 2, 4
	v_lshlrev_b32_e32 v112, 1, v14
	v_lshlrev_b32_e32 v111, 1, v36
	v_readlane_b32 s10, v254, 25
	s_waitcnt lgkmcnt(0)
	s_barrier
	s_cbranch_vccnz .LBB14_391
; %bb.375:
	v_mov_b32_e32 v41, 0
	v_mov_b32_e32 v33, v41
	v_mul_i32_i24_e32 v12, 0xfffff390, v144
	v_lshl_add_u64 v[42:43], s[40:41], 0, v[32:33]
	v_add3_u32 v33, v13, v12, v32
	v_add_u32_e32 v12, s51, v144
	v_mul_hi_u32 v13, s42, v12
	v_add_u32_e32 v13, v12, v13
	v_lshrrev_b32_e32 v13, s43, v13
	v_mul_lo_u32 v13, v13, s48
	v_sub_u32_e32 v13, v12, v13
	v_mad_i64_i32 v[44:45], s[6:7], v13, s84, 0
	v_add_u32_e32 v13, 4, v12
	v_mul_hi_u32 v14, s42, v13
	v_add_u32_e32 v14, v13, v14
	v_lshrrev_b32_e32 v14, s43, v14
	v_mul_lo_u32 v14, v14, s48
	v_sub_u32_e32 v13, v13, v14
	v_mad_i64_i32 v[46:47], s[6:7], v13, s84, 0
	;; [unrolled: 7-line block ×14, first 2 shown]
	v_add_u32_e32 v13, 56, v12
	v_mul_hi_u32 v14, s42, v13
	v_add_u32_e32 v14, v13, v14
	v_lshrrev_b32_e32 v14, s43, v14
	v_mul_lo_u32 v14, v14, s48
	v_sub_u32_e32 v13, v13, v14
	v_add_u32_e32 v12, 60, v12
	v_mad_i64_i32 v[72:73], s[6:7], v13, s84, 0
	v_mul_hi_u32 v13, s42, v12
	v_add_u32_e32 v13, v12, v13
	v_lshrrev_b32_e32 v13, s43, v13
	v_mul_lo_u32 v13, v13, s48
	v_mov_b32_e32 v15, v122
	v_sub_u32_e32 v12, v12, v13
	v_mad_i64_i32 v[74:75], s[6:7], v12, s84, 0
	v_mbcnt_hi_u32_b32 v12, -1, v15
	v_and_b32_e32 v13, 64, v12
	v_add_u32_e32 v13, 64, v13
	v_xor_b32_e32 v14, 32, v12
	v_cmp_lt_i32_e32 vcc, v14, v13
	v_mov_b32_e32 v17, v132
	s_mov_b64 s[2:3], src_private_base
	v_cndmask_b32_e32 v14, v12, v14, vcc
	v_lshlrev_b32_e32 v137, 2, v14
	v_xor_b32_e32 v14, 16, v12
	v_cmp_lt_i32_e32 vcc, v14, v13
	v_add_u32_e32 v13, v115, v17
	s_movk_i32 s2, 0x80
	v_cndmask_b32_e32 v12, v12, v14, vcc
	v_lshlrev_b32_e32 v138, 2, v12
	v_and_b32_e32 v12, 12, v118
	v_mad_u32_u24 v14, v13, s4, 0
	v_lshlrev_b32_e32 v15, 2, v12
	v_add3_u32 v139, v14, v15, s2
	v_and_b32_e32 v14, 28, v118
	v_mul_u32_u24_e32 v15, 0xd0, v114
	v_lshlrev_b32_e32 v16, 2, v14
	v_add3_u32 v140, 0, v15, v16
	v_or_b32_e32 v16, v36, v17
	s_movk_i32 s10, 0x90
	v_and_b32_e32 v15, 0xfc, v115
	v_mad_u32_u24 v16, v16, s10, 0
	v_cmp_gt_u32_e64 s[4:5], 64, v13
	v_mul_lo_u32 v76, s56, v13
	v_mul_lo_u32 v78, s56, v114
	v_lshl_add_u32 v143, v15, 1, v16
	v_cmp_gt_u32_e64 s[14:15], 47, v15
	v_cmp_gt_u32_e64 s[16:17], 46, v15
	;; [unrolled: 1-line block ×9, first 2 shown]
	v_mul_lo_u32 v82, s50, v13
	v_mul_lo_u32 v84, s50, v114
	v_and_b32_e32 v13, 0xfc, v112
	v_or_b32_e32 v15, 2, v112
	v_or_b32_e32 v19, 3, v112
	s_cmp_lg_u64 s[40:41], 0
	v_lshl_add_u32 v80, s56, 5, v78
	v_add_u32_e32 v145, v16, v116
	v_add_u32_e32 v16, 32, v143
	;; [unrolled: 1-line block ×4, first 2 shown]
	s_movk_i32 s10, 0x100
	s_movk_i32 s12, 0xc0
	v_lshl_add_u32 v86, s50, 5, v84
	v_mul_u32_u24_e32 v13, 0xd0, v13
	v_mul_u32_u24_e32 v15, 0xd0, v15
	;; [unrolled: 1-line block ×3, first 2 shown]
	s_cselect_b64 s[44:45], -1, 0
	v_cmp_gt_u32_e64 s[0:1], 64, v101
	v_cmp_lt_u32_e64 s[38:39], 63, v101
	v_add_u32_e32 v122, 0x240, v33
	v_add_u32_e32 v123, 0x480, v33
	;; [unrolled: 1-line block ×15, first 2 shown]
	v_ashrrev_i32_e32 v77, 31, v76
	v_cmp_gt_u32_e64 s[6:7], 64, v114
	v_ashrrev_i32_e32 v79, 31, v78
	v_add_u32_e32 v141, 0x1a00, v140
	v_cmp_gt_u32_e64 s[8:9], 32, v114
	v_ashrrev_i32_e32 v81, 31, v80
	v_add3_u32 v142, 0, v117, v37
	v_cmp_gt_u32_e64 s[10:11], s10, v101
	v_cmp_gt_u32_e64 s[12:13], s12, v101
	v_cmp_gt_u32_e64 s[20:21], s2, v101
	v_ashrrev_i32_e32 v83, 31, v82
	v_ashrrev_i32_e32 v85, 31, v84
	;; [unrolled: 1-line block ×3, first 2 shown]
	v_add3_u32 v146, 0, v13, v111
	v_add3_u32 v147, 0, v15, v111
	;; [unrolled: 1-line block ×3, first 2 shown]
	v_mov_b32_e32 v88, v38
	v_mov_b32_e32 v89, v38
	s_lshl_b32 s46, s66, 6
	v_mov_b32_e32 v30, 0xfeffffff
	v_lshlrev_b32_e32 v40, 2, v12
	s_mov_b64 s[52:53], 0x80
	v_lshlrev_b32_e32 v90, 2, v14
	v_add_u32_e32 v149, 0x3400, v16
	v_add_u32_e32 v150, 0x3400, v17
	;; [unrolled: 1-line block ×3, first 2 shown]
	s_mov_b32 s2, 0x3fb8aa3b
	s_mov_b32 s60, 0xc2ce8ed0
	s_mov_b32 s61, 0x42b17218
	s_mov_b32 s62, 0xc1a00000
	s_mov_b32 s63, 0x5040100
	v_mov_b32_e32 v152, 0
	v_mov_b32_e32 v172, v41
	;; [unrolled: 1-line block ×19, first 2 shown]
.LBB14_376:                             ; =>This Inner Loop Header: Depth=1
	v_cndmask_b32_e64 v12, 0, 1, s[44:45]
	v_cmp_ne_u32_e64 s[36:37], 1, v12
	s_andn2_b64 vcc, exec, s[44:45]
	s_ashr_i32 s47, s46, 31
	s_cbranch_vccnz .LBB14_386
; %bb.377:                              ;   in Loop: Header=BB14_376 Depth=1
	s_and_saveexec_b64 s[54:55], s[38:39]
	s_xor_b64 s[54:55], exec, s[54:55]
	s_cbranch_execz .LBB14_379
; %bb.378:                              ;   in Loop: Header=BB14_376 Depth=1
	ds_write_b16 v33, v41 offset:13312
	ds_write_b16 v122, v41 offset:13312
	;; [unrolled: 1-line block ×4, first 2 shown]
.LBB14_379:                             ;   in Loop: Header=BB14_376 Depth=1
	s_or_saveexec_b64 s[54:55], s[54:55]
	v_lshl_add_u64 v[12:13], s[46:47], 1, v[42:43]
	v_mov_b32_e32 v14, 0
	v_mov_b32_e32 v15, 0
	v_mov_b32_e32 v16, 0
	v_mov_b32_e32 v17, 0
	s_xor_b64 exec, exec, s[54:55]
	s_cbranch_execz .LBB14_381
; %bb.380:                              ;   in Loop: Header=BB14_376 Depth=1
	v_lshl_add_u64 v[14:15], v[44:45], 1, v[12:13]
	v_lshl_add_u64 v[16:17], v[46:47], 1, v[12:13]
	;; [unrolled: 1-line block ×8, first 2 shown]
	global_load_ushort v31, v[14:15], off
	global_load_ushort v39, v[16:17], off
	s_nop 0
	global_load_ushort v18, v[18:19], off
	s_nop 0
	global_load_ushort v19, v[20:21], off
	global_load_ushort v14, v[22:23], off
	;; [unrolled: 1-line block ×5, first 2 shown]
	s_waitcnt vmcnt(7)
	ds_write_b16 v33, v31 offset:13312
	s_waitcnt vmcnt(6)
	ds_write_b16 v122, v39 offset:13312
	;; [unrolled: 2-line block ×4, first 2 shown]
.LBB14_381:                             ;   in Loop: Header=BB14_376 Depth=1
	s_or_b64 exec, exec, s[54:55]
	s_waitcnt vmcnt(3)
	ds_write_b16 v125, v14 offset:13312
	s_waitcnt vmcnt(2)
	ds_write_b16 v126, v15 offset:13312
	;; [unrolled: 2-line block ×4, first 2 shown]
	s_and_saveexec_b64 s[54:55], s[38:39]
	s_xor_b64 s[54:55], exec, s[54:55]
	s_cbranch_execz .LBB14_383
; %bb.382:                              ;   in Loop: Header=BB14_376 Depth=1
	ds_write_b16 v129, v41 offset:13312
	ds_write_b16 v130, v41 offset:13312
	;; [unrolled: 1-line block ×4, first 2 shown]
                                        ; implicit-def: $vgpr12_vgpr13
.LBB14_383:                             ;   in Loop: Header=BB14_376 Depth=1
	s_or_saveexec_b64 s[54:55], s[54:55]
	v_mov_b32_e32 v14, 0
	v_mov_b32_e32 v15, 0
	;; [unrolled: 1-line block ×4, first 2 shown]
	s_xor_b64 exec, exec, s[54:55]
	s_cbranch_execz .LBB14_385
; %bb.384:                              ;   in Loop: Header=BB14_376 Depth=1
	v_lshl_add_u64 v[14:15], v[60:61], 1, v[12:13]
	v_lshl_add_u64 v[16:17], v[62:63], 1, v[12:13]
	;; [unrolled: 1-line block ×8, first 2 shown]
	global_load_ushort v28, v[14:15], off
	global_load_ushort v29, v[16:17], off
	s_nop 0
	global_load_ushort v18, v[18:19], off
	s_nop 0
	global_load_ushort v19, v[20:21], off
	global_load_ushort v14, v[22:23], off
	;; [unrolled: 1-line block ×5, first 2 shown]
	s_waitcnt vmcnt(7)
	ds_write_b16 v129, v28 offset:13312
	s_waitcnt vmcnt(6)
	ds_write_b16 v130, v29 offset:13312
	;; [unrolled: 2-line block ×4, first 2 shown]
.LBB14_385:                             ;   in Loop: Header=BB14_376 Depth=1
	s_or_b64 exec, exec, s[54:55]
	s_waitcnt vmcnt(3)
	ds_write_b16 v133, v14 offset:13312
	s_waitcnt vmcnt(2)
	ds_write_b16 v134, v15 offset:13312
	;; [unrolled: 2-line block ×4, first 2 shown]
.LBB14_386:                             ;   in Loop: Header=BB14_376 Depth=1
	s_mul_hi_i32 s55, s46, s56
	s_mul_i32 s54, s46, s56
	s_lshl_b64 s[54:55], s[54:55], 2
	s_add_u32 s54, s57, s54
	s_addc_u32 s55, s58, s55
	v_lshl_add_u64 v[12:13], v[76:77], 2, s[54:55]
	v_lshl_add_u64 v[12:13], v[12:13], 0, v[40:41]
	;; [unrolled: 1-line block ×3, first 2 shown]
	v_mov_b32_e32 v18, s3
	v_cndmask_b32_e64 v13, v18, v13, s[4:5]
	v_cndmask_b32_e64 v12, v152, v12, s[4:5]
	scratch_store_dwordx4 off, v[172:175], off
	flat_load_dwordx4 v[12:15], v[12:13]
	v_mov_b32_e32 v91, v41
	v_lshl_add_u64 v[16:17], v[78:79], 2, s[54:55]
	v_lshl_add_u64 v[16:17], v[16:17], 0, v[90:91]
	v_cndmask_b32_e64 v17, v18, v17, s[6:7]
	v_cndmask_b32_e64 v16, v152, v16, s[6:7]
	v_add_u32_e32 v28, 0x800, v142
	v_add_u32_e32 v29, 0x1800, v142
	;; [unrolled: 1-line block ×3, first 2 shown]
	s_and_b64 vcc, exec, s[36:37]
	s_waitcnt vmcnt(0) lgkmcnt(0)
	ds_write_b128 v139, v[12:15]
	flat_load_dwordx4 v[12:15], v[16:17]
	v_lshl_add_u64 v[16:17], v[80:81], 2, s[54:55]
	v_lshl_add_u64 v[16:17], v[16:17], 0, v[90:91]
	v_cndmask_b32_e64 v17, v18, v17, s[8:9]
	v_cndmask_b32_e64 v16, v152, v16, s[8:9]
	s_waitcnt vmcnt(0) lgkmcnt(0)
	ds_write_b128 v140, v[12:15]
	flat_load_dwordx4 v[12:15], v[16:17]
	s_waitcnt vmcnt(0) lgkmcnt(0)
	ds_write_b128 v141, v[12:15]
	s_waitcnt lgkmcnt(0)
	s_barrier
	ds_read2_b64 v[12:15], v142 offset1:4
	ds_read2_b64 v[20:23], v28 offset0:160 offset1:164
	ds_read2_b64 v[156:159], v29 offset0:64 offset1:68
	;; [unrolled: 1-line block ×3, first 2 shown]
	s_waitcnt lgkmcnt(3)
	v_mfma_f32_16x16x16_f16 v[16:19], v[12:13], v[8:9], 0
	ds_read2_b64 v[176:179], v31 offset0:240 offset1:244
	s_waitcnt lgkmcnt(3)
	v_mfma_f32_16x16x16_f16 v[24:27], v[20:21], v[8:9], 0
	s_waitcnt lgkmcnt(2)
	v_mfma_f32_16x16x16_f16 v[160:163], v[156:157], v[8:9], 0
	;; [unrolled: 2-line block ×3, first 2 shown]
	v_mfma_f32_16x16x16_f16 v[12:15], v[14:15], v[10:11], v[16:19]
	v_mfma_f32_16x16x16_f16 v[16:19], v[22:23], v[10:11], v[24:27]
	;; [unrolled: 1-line block ×3, first 2 shown]
	ds_read2_b64 v[156:159], v142 offset0:8 offset1:12
	v_mfma_f32_16x16x16_f16 v[24:27], v[166:167], v[10:11], v[168:171]
	s_nop 0
	ds_read2_b64 v[160:163], v28 offset0:168 offset1:172
	ds_read2_b64 v[164:167], v29 offset0:72 offset1:76
	;; [unrolled: 1-line block ×3, first 2 shown]
	s_waitcnt lgkmcnt(3)
	v_mfma_f32_16x16x16_f16 v[12:15], v[156:157], v[4:5], v[12:15]
	s_waitcnt lgkmcnt(2)
	v_mfma_f32_16x16x16_f16 v[16:19], v[160:161], v[4:5], v[16:19]
	;; [unrolled: 2-line block ×3, first 2 shown]
	v_mfma_f32_16x16x16_f16 v[12:15], v[158:159], v[6:7], v[12:15]
	ds_read2_b64 v[156:159], v142 offset0:16 offset1:20
	v_mfma_f32_16x16x16_f16 v[16:19], v[162:163], v[6:7], v[16:19]
	ds_read2_b64 v[160:163], v28 offset0:176 offset1:180
	;; [unrolled: 2-line block ×3, first 2 shown]
	s_waitcnt lgkmcnt(0)
	s_barrier
	v_mfma_f32_16x16x16_f16 v[24:27], v[168:169], v[4:5], v[24:27]
	v_mfma_f32_16x16x16_f16 v[24:27], v[170:171], v[6:7], v[24:27]
	;; [unrolled: 1-line block ×10, first 2 shown]
	s_cbranch_vccnz .LBB14_388
; %bb.387:                              ;   in Loop: Header=BB14_376 Depth=1
	ds_read_b32 v31, v143 offset:13312
	ds_read_b32 v39, v145 offset:13312
	ds_read2_b32 v[12:13], v149 offset1:1
	ds_read2_b32 v[156:157], v150 offset1:1
	s_waitcnt lgkmcnt(3)
	v_cvt_f32_f16_sdwa v159, v31 dst_sel:DWORD dst_unused:UNUSED_PAD src0_sel:WORD_1
	v_cvt_f32_f16_e32 v158, v31
	s_waitcnt lgkmcnt(1)
	v_cvt_f32_f16_e32 v162, v12
	v_cvt_f32_f16_e32 v164, v13
	v_cvt_f32_f16_sdwa v165, v13 dst_sel:DWORD dst_unused:UNUSED_PAD src0_sel:WORD_1
	v_cvt_f32_f16_sdwa v163, v12 dst_sel:DWORD dst_unused:UNUSED_PAD src0_sel:WORD_1
	ds_read2_b32 v[12:13], v151 offset1:1
	v_cvt_f32_f16_sdwa v161, v39 dst_sel:DWORD dst_unused:UNUSED_PAD src0_sel:WORD_1
	v_cvt_f32_f16_e32 v160, v39
	v_mov_b32_e32 v39, v38
	v_pk_fma_f32 v[22:23], v[88:89], v[158:159], v[22:23]
	v_pk_fma_f32 v[26:27], v[88:89], v[162:163], v[26:27]
	;; [unrolled: 1-line block ×3, first 2 shown]
	s_waitcnt lgkmcnt(1)
	v_cvt_f32_f16_e32 v158, v156
	v_cvt_f32_f16_sdwa v159, v156 dst_sel:DWORD dst_unused:UNUSED_PAD src0_sel:WORD_1
	v_cvt_f32_f16_e32 v156, v157
	v_cvt_f32_f16_sdwa v157, v157 dst_sel:DWORD dst_unused:UNUSED_PAD src0_sel:WORD_1
	s_waitcnt lgkmcnt(0)
	v_cvt_f32_f16_e32 v160, v12
	v_cvt_f32_f16_e32 v162, v13
	v_cvt_f32_f16_sdwa v163, v13 dst_sel:DWORD dst_unused:UNUSED_PAD src0_sel:WORD_1
	v_cvt_f32_f16_sdwa v161, v12 dst_sel:DWORD dst_unused:UNUSED_PAD src0_sel:WORD_1
	v_pk_fma_f32 v[28:29], v[38:39], v[164:165], v[28:29]
	v_pk_fma_f32 v[20:21], v[38:39], v[156:157], v[20:21]
	;; [unrolled: 1-line block ×5, first 2 shown]
.LBB14_388:                             ;   in Loop: Header=BB14_376 Depth=1
	s_nop 3
	v_add_f32_e32 v12, 0x40051340, v22
	v_max_f32_e32 v13, v30, v30
	v_max_f32_e32 v12, v13, v12
	v_cndmask_b32_e64 v12, v30, v12, s[10:11]
	v_add_f32_e32 v13, 0x40051340, v23
	v_max_f32_e32 v12, v12, v12
	v_max_f32_e32 v12, v12, v13
	v_cndmask_b32_e64 v12, v30, v12, s[10:11]
	;; [unrolled: 4-line block ×16, first 2 shown]
	ds_bpermute_b32 v13, v137, v12
	v_max_f32_e32 v12, v12, v12
	s_mul_hi_i32 s37, s46, s50
	s_mul_i32 s36, s46, s50
	s_lshl_b64 s[36:37], s[36:37], 2
	s_waitcnt lgkmcnt(0)
	v_max_f32_e32 v13, v13, v13
	v_max_f32_e32 v12, v12, v13
	ds_bpermute_b32 v13, v138, v12
	s_add_u32 s36, s33, s36
	s_addc_u32 s37, s49, s37
	v_mov_b32_e32 v170, s3
	scratch_store_dwordx4 off, v[172:175], off
	s_waitcnt lgkmcnt(0)
	v_max_f32_e32 v13, v13, v13
	v_max_f32_e32 v39, v12, v13
	v_sub_f32_e32 v12, v22, v39
	v_mul_f32_e32 v13, 0x3fb8aa3b, v12
	v_fma_f32 v22, v12, s2, -v13
	v_rndne_f32_e32 v31, v13
	v_fmac_f32_e32 v22, 0x32a5705f, v12
	v_sub_f32_e32 v13, v13, v31
	v_add_f32_e32 v13, v13, v22
	v_exp_f32_e32 v13, v13
	v_cvt_i32_f32_e32 v22, v31
	v_sub_f32_e32 v31, v23, v39
	v_cmp_ngt_f32_e32 vcc, s60, v12
	v_sub_f32_e32 v24, v24, v39
	v_ldexp_f32 v13, v13, v22
	v_mul_f32_e32 v22, 0x3fb8aa3b, v31
	v_fma_f32 v23, v31, s2, -v22
	v_rndne_f32_e32 v155, v22
	v_fmac_f32_e32 v23, 0x32a5705f, v31
	v_sub_f32_e32 v22, v22, v155
	v_add_f32_e32 v22, v22, v23
	v_exp_f32_e32 v22, v22
	v_cvt_i32_f32_e32 v23, v155
	v_cndmask_b32_e32 v13, 0, v13, vcc
	v_cmp_nlt_f32_e32 vcc, s61, v12
	v_sub_f32_e32 v26, v26, v39
	v_sub_f32_e32 v28, v28, v39
	v_cndmask_b32_e32 v155, v153, v13, vcc
	v_ldexp_f32 v13, v22, v23
	v_mul_f32_e32 v22, 0x3fb8aa3b, v24
	v_fma_f32 v23, v24, s2, -v22
	v_rndne_f32_e32 v156, v22
	v_fmac_f32_e32 v23, 0x32a5705f, v24
	v_sub_f32_e32 v22, v22, v156
	v_add_f32_e32 v22, v22, v23
	v_exp_f32_e32 v157, v22
	v_lshl_add_u64 v[22:23], v[82:83], 2, s[36:37]
	v_lshl_add_u64 v[22:23], v[22:23], 0, v[40:41]
	;; [unrolled: 1-line block ×3, first 2 shown]
	v_cndmask_b32_e64 v23, v170, v23, s[4:5]
	v_cndmask_b32_e64 v22, v152, v22, s[4:5]
	flat_load_dwordx4 v[162:165], v[22:23]
	v_cvt_i32_f32_e32 v158, v156
	v_sub_f32_e32 v23, v25, v39
	v_cmp_ngt_f32_e32 vcc, s60, v31
	v_mul_f32_e32 v25, 0x3fb8aa3b, v23
	v_ldexp_f32 v22, v157, v158
	v_cndmask_b32_e32 v13, 0, v13, vcc
	v_cmp_nlt_f32_e32 vcc, s61, v31
	v_fma_f32 v31, v23, s2, -v25
	v_rndne_f32_e32 v157, v25
	v_fmac_f32_e32 v31, 0x32a5705f, v23
	v_sub_f32_e32 v25, v25, v157
	v_add_f32_e32 v25, v25, v31
	v_exp_f32_e32 v25, v25
	v_cvt_i32_f32_e32 v31, v157
	v_cndmask_b32_e32 v156, v153, v13, vcc
	v_cmp_ngt_f32_e32 vcc, s60, v24
	v_sub_f32_e32 v29, v29, v39
	v_sub_f32_e32 v18, v18, v39
	v_cndmask_b32_e32 v22, 0, v22, vcc
	v_cmp_nlt_f32_e32 vcc, s61, v24
	v_sub_f32_e32 v19, v19, v39
	v_sub_f32_e32 v20, v20, v39
	v_cndmask_b32_e32 v157, v153, v22, vcc
	v_mov_b32_e32 v22, s59
	v_cndmask_b32_e64 v24, v22, v157, s[10:11]
	v_ldexp_f32 v22, v25, v31
	v_mul_f32_e32 v25, 0x3fb8aa3b, v26
	v_fma_f32 v31, v26, s2, -v25
	v_rndne_f32_e32 v158, v25
	v_fmac_f32_e32 v31, 0x32a5705f, v26
	v_sub_f32_e32 v25, v25, v158
	v_cmp_ngt_f32_e32 vcc, s60, v23
	v_add_f32_e32 v25, v25, v31
	v_exp_f32_e32 v31, v25
	v_cndmask_b32_e32 v22, 0, v22, vcc
	v_cvt_i32_f32_e32 v159, v158
	v_cmp_nlt_f32_e32 vcc, s61, v23
	v_mov_b32_e32 v23, s59
	v_sub_f32_e32 v21, v21, v39
	v_cndmask_b32_e32 v158, v153, v22, vcc
	v_cndmask_b32_e64 v25, v23, v158, s[10:11]
	v_sub_f32_e32 v23, v27, v39
	v_mul_f32_e32 v27, 0x3fb8aa3b, v23
	v_ldexp_f32 v22, v31, v159
	v_fma_f32 v31, v23, s2, -v27
	v_rndne_f32_e32 v159, v27
	v_fmac_f32_e32 v31, 0x32a5705f, v23
	v_sub_f32_e32 v27, v27, v159
	v_add_f32_e32 v27, v27, v31
	v_exp_f32_e32 v27, v27
	v_cvt_i32_f32_e32 v31, v159
	v_cmp_ngt_f32_e32 vcc, s60, v26
	v_sub_f32_e32 v14, v14, v39
	v_sub_f32_e32 v15, v15, v39
	v_cndmask_b32_e32 v22, 0, v22, vcc
	v_cmp_nlt_f32_e32 vcc, s61, v26
	v_ldexp_f32 v26, v27, v31
	v_mul_f32_e32 v27, 0x3fb8aa3b, v28
	v_fma_f32 v31, v28, s2, -v27
	v_rndne_f32_e32 v160, v27
	v_fmac_f32_e32 v31, 0x32a5705f, v28
	v_sub_f32_e32 v27, v27, v160
	v_add_f32_e32 v27, v27, v31
	v_exp_f32_e32 v27, v27
	v_cvt_i32_f32_e32 v31, v160
	v_cndmask_b32_e32 v159, v153, v22, vcc
	v_cmp_ngt_f32_e32 vcc, s60, v23
	v_sub_f32_e32 v16, v16, v39
	v_sub_f32_e32 v17, v17, v39
	v_cndmask_b32_e32 v26, 0, v26, vcc
	v_cmp_nlt_f32_e32 vcc, s61, v23
	v_sub_f32_e32 v30, v30, v39
	v_mov_b32_e32 v13, s59
	v_cndmask_b32_e32 v160, v153, v26, vcc
	v_ldexp_f32 v26, v27, v31
	v_cmp_ngt_f32_e32 vcc, s60, v28
	v_cndmask_b32_e64 v12, 0, v155, s[10:11]
	v_cndmask_b32_e64 v13, v13, v156, s[10:11]
	v_cndmask_b32_e32 v31, 0, v26, vcc
	v_mul_f32_e32 v26, 0x3fb8aa3b, v29
	v_fma_f32 v27, v29, s2, -v26
	v_rndne_f32_e32 v161, v26
	v_fmac_f32_e32 v27, 0x32a5705f, v29
	v_sub_f32_e32 v26, v26, v161
	v_add_f32_e32 v26, v26, v27
	v_exp_f32_e32 v171, v26
	v_lshl_add_u64 v[26:27], v[84:85], 2, s[36:37]
	v_lshl_add_u64 v[26:27], v[26:27], 0, v[90:91]
	s_waitcnt vmcnt(0) lgkmcnt(0)
	ds_write_b128 v139, v[162:165]
	v_cndmask_b32_e64 v27, v170, v27, s[6:7]
	v_cndmask_b32_e64 v26, v152, v26, s[6:7]
	flat_load_dwordx4 v[166:169], v[26:27]
	v_cmp_nlt_f32_e32 vcc, s61, v28
	v_mul_f32_e32 v28, 0x3fb8aa3b, v18
	v_cvt_i32_f32_e32 v27, v161
	v_cndmask_b32_e32 v161, v153, v31, vcc
	v_fma_f32 v31, v18, s2, -v28
	v_rndne_f32_e32 v162, v28
	v_fmac_f32_e32 v31, 0x32a5705f, v18
	v_sub_f32_e32 v28, v28, v162
	v_add_f32_e32 v28, v28, v31
	v_exp_f32_e32 v28, v28
	v_cvt_i32_f32_e32 v31, v162
	v_ldexp_f32 v27, v171, v27
	v_cmp_ngt_f32_e32 vcc, s60, v29
	v_cvt_pk_f16_f32 v25, v24, v25
	v_ldexp_f32 v28, v28, v31
	v_cndmask_b32_e32 v27, 0, v27, vcc
	v_cmp_nlt_f32_e32 vcc, s61, v29
	v_mul_f32_e32 v29, 0x3fb8aa3b, v19
	v_fma_f32 v31, v19, s2, -v29
	v_rndne_f32_e32 v163, v29
	v_fmac_f32_e32 v31, 0x32a5705f, v19
	v_sub_f32_e32 v29, v29, v163
	v_add_f32_e32 v29, v29, v31
	v_exp_f32_e32 v29, v29
	v_cvt_i32_f32_e32 v31, v163
	v_cndmask_b32_e32 v162, v153, v27, vcc
	v_cmp_ngt_f32_e32 vcc, s60, v18
	v_cvt_pk_f16_f32 v24, v12, v13
	v_mov_b32_e32 v22, s59
	v_cndmask_b32_e32 v28, 0, v28, vcc
	v_cmp_nlt_f32_e32 vcc, s61, v18
	v_mov_b32_e32 v23, s59
	v_mov_b32_e32 v26, s59
	v_cndmask_b32_e32 v163, v153, v28, vcc
	v_ldexp_f32 v28, v29, v31
	v_mul_f32_e32 v29, 0x3fb8aa3b, v20
	v_fma_f32 v31, v20, s2, -v29
	v_rndne_f32_e32 v164, v29
	v_fmac_f32_e32 v31, 0x32a5705f, v20
	v_sub_f32_e32 v29, v29, v164
	v_add_f32_e32 v29, v29, v31
	v_exp_f32_e32 v29, v29
	v_cvt_i32_f32_e32 v31, v164
	v_cmp_ngt_f32_e32 vcc, s60, v19
	v_mov_b32_e32 v27, s59
	v_cndmask_b32_e64 v22, v22, v159, s[12:13]
	v_cndmask_b32_e32 v28, 0, v28, vcc
	v_cmp_nlt_f32_e32 vcc, s61, v19
	v_cndmask_b32_e64 v23, v23, v160, s[14:15]
	v_cndmask_b32_e64 v26, v26, v161, s[16:17]
	v_cndmask_b32_e32 v164, v153, v28, vcc
	v_ldexp_f32 v28, v29, v31
	v_mul_f32_e32 v29, 0x3fb8aa3b, v21
	v_fma_f32 v31, v21, s2, -v29
	v_rndne_f32_e32 v165, v29
	v_fmac_f32_e32 v31, 0x32a5705f, v21
	v_sub_f32_e32 v29, v29, v165
	v_add_f32_e32 v29, v29, v31
	v_exp_f32_e32 v29, v29
	v_cvt_i32_f32_e32 v31, v165
	v_cmp_ngt_f32_e32 vcc, s60, v20
	v_cndmask_b32_e64 v27, v27, v162, s[18:19]
	v_cvt_pk_f16_f32 v27, v26, v27
	v_cndmask_b32_e32 v28, 0, v28, vcc
	v_cmp_nlt_f32_e32 vcc, s61, v20
	v_cvt_pk_f16_f32 v26, v22, v23
	v_mov_b32_e32 v18, s59
	v_cndmask_b32_e32 v165, v153, v28, vcc
	v_ldexp_f32 v28, v29, v31
	v_cmp_ngt_f32_e32 vcc, s60, v21
	v_mov_b32_e32 v19, s59
	v_mov_b32_e32 v20, s59
	v_cndmask_b32_e32 v31, 0, v28, vcc
	v_mul_f32_e32 v28, 0x3fb8aa3b, v14
	v_fma_f32 v29, v14, s2, -v28
	v_rndne_f32_e32 v171, v28
	v_fmac_f32_e32 v29, 0x32a5705f, v14
	v_sub_f32_e32 v28, v28, v171
	v_add_f32_e32 v180, v28, v29
	v_lshl_add_u64 v[28:29], v[86:87], 2, s[36:37]
	v_lshl_add_u64 v[28:29], v[28:29], 0, v[90:91]
	s_waitcnt vmcnt(0) lgkmcnt(0)
	ds_write_b128 v140, v[166:169]
	v_cndmask_b32_e64 v29, v170, v29, s[8:9]
	v_cndmask_b32_e64 v28, v152, v28, s[8:9]
	flat_load_dwordx4 v[176:179], v[28:29]
	v_exp_f32_e32 v28, v180
	v_cvt_i32_f32_e32 v29, v171
	v_cmp_nlt_f32_e32 vcc, s61, v21
	v_mov_b32_e32 v21, s59
	v_cndmask_b32_e64 v18, v18, v163, s[20:21]
	v_ldexp_f32 v28, v28, v29
	v_mul_f32_e32 v29, 0x3fb8aa3b, v15
	v_cndmask_b32_e32 v91, v153, v31, vcc
	v_fma_f32 v31, v15, s2, -v29
	v_rndne_f32_e32 v166, v29
	v_fmac_f32_e32 v31, 0x32a5705f, v15
	v_sub_f32_e32 v29, v29, v166
	v_add_f32_e32 v29, v29, v31
	v_exp_f32_e32 v29, v29
	v_cvt_i32_f32_e32 v31, v166
	v_cmp_ngt_f32_e32 vcc, s60, v14
	v_cndmask_b32_e64 v19, v19, v164, s[22:23]
	v_cndmask_b32_e64 v20, v20, v165, s[24:25]
	v_cndmask_b32_e32 v28, 0, v28, vcc
	v_cmp_nlt_f32_e32 vcc, s61, v14
	v_cndmask_b32_e64 v21, v21, v91, s[26:27]
	v_cvt_pk_f16_f32 v21, v20, v21
	v_cndmask_b32_e32 v166, v153, v28, vcc
	v_ldexp_f32 v28, v29, v31
	v_mul_f32_e32 v29, 0x3fb8aa3b, v16
	v_fma_f32 v31, v16, s2, -v29
	v_rndne_f32_e32 v167, v29
	v_fmac_f32_e32 v31, 0x32a5705f, v16
	v_sub_f32_e32 v29, v29, v167
	v_add_f32_e32 v29, v29, v31
	v_exp_f32_e32 v29, v29
	v_cvt_i32_f32_e32 v31, v167
	v_cmp_ngt_f32_e32 vcc, s60, v15
	v_cvt_pk_f16_f32 v20, v18, v19
	v_mov_b32_e32 v14, s59
	v_cndmask_b32_e32 v28, 0, v28, vcc
	v_cmp_nlt_f32_e32 vcc, s61, v15
	v_mov_b32_e32 v15, s59
	v_cndmask_b32_e64 v14, v14, v166, s[0:1]
	v_cndmask_b32_e32 v168, v153, v28, vcc
	v_ldexp_f32 v28, v29, v31
	v_cmp_ngt_f32_e32 vcc, s60, v16
	v_cndmask_b32_e64 v15, v15, v168, s[28:29]
	s_add_i32 s66, s66, 1
	v_cndmask_b32_e32 v28, 0, v28, vcc
	v_cmp_nlt_f32_e32 vcc, s61, v16
	v_mul_f32_e32 v16, 0x3fb8aa3b, v17
	v_rndne_f32_e32 v29, v16
	v_cndmask_b32_e32 v167, v153, v28, vcc
	v_fma_f32 v28, v17, s2, -v16
	v_fmac_f32_e32 v28, 0x32a5705f, v17
	v_sub_f32_e32 v16, v16, v29
	v_add_f32_e32 v16, v16, v28
	v_exp_f32_e32 v28, v16
	v_mul_f32_e32 v16, 0x3fb8aa3b, v30
	v_fma_f32 v31, v30, s2, -v16
	v_rndne_f32_e32 v169, v16
	v_fmac_f32_e32 v31, 0x32a5705f, v30
	v_sub_f32_e32 v16, v16, v169
	v_add_f32_e32 v16, v16, v31
	v_cvt_i32_f32_e32 v29, v29
	v_exp_f32_e32 v31, v16
	v_cvt_i32_f32_e32 v169, v169
	v_cmp_ngt_f32_e32 vcc, s60, v30
	v_ldexp_f32 v28, v28, v29
	v_mov_b32_e32 v16, s59
	v_ldexp_f32 v29, v31, v169
	v_cndmask_b32_e32 v29, 0, v29, vcc
	v_cmp_nlt_f32_e32 vcc, s61, v30
	v_cndmask_b32_e64 v16, v16, v167, s[30:31]
	s_add_i32 s46, s46, 64
	v_cndmask_b32_e32 v29, v153, v29, vcc
	v_cmp_le_f32_e32 vcc, s62, v30
	s_waitcnt vmcnt(0) lgkmcnt(0)
	ds_write_b128 v141, v[176:179]
	v_cndmask_b32_e32 v169, 0, v29, vcc
	v_cvt_f16_f32_e32 v29, v169
	v_cmp_ngt_f32_e32 vcc, s60, v17
	s_waitcnt lgkmcnt(0)
	s_barrier
	v_mul_u32_u24_e32 v171, 0x10001, v29
	v_cndmask_b32_e32 v28, 0, v28, vcc
	v_cmp_nlt_f32_e32 vcc, s61, v17
	v_pk_mul_f16 v17, v120, v171
	v_pk_mul_f16 v31, v119, v171
	v_cndmask_b32_e32 v170, v153, v28, vcc
	v_cvt_f32_f16_e32 v28, v17
	v_cvt_f32_f16_sdwa v29, v17 dst_sel:DWORD dst_unused:UNUSED_PAD src0_sel:WORD_1
	ds_read_u16 v17, v147
	ds_read_u16 v119, v147 offset:32
	ds_read_u16 v120, v147 offset:3328
	;; [unrolled: 1-line block ×7, first 2 shown]
	ds_read_u16 v176, v148
	ds_read_u16 v183, v148 offset:32
	ds_read_u16 v184, v148 offset:3328
	;; [unrolled: 1-line block ×7, first 2 shown]
	s_waitcnt lgkmcnt(7)
	v_perm_b32 v177, v176, v17, s63
	ds_read_u16 v17, v146 offset:208
	ds_read_u16 v176, v146
	ds_read_u16 v190, v146 offset:32
	ds_read_u16 v191, v146 offset:240
	;; [unrolled: 1-line block ×6, first 2 shown]
	s_waitcnt lgkmcnt(6)
	v_perm_b32 v176, v17, v176, s63
	v_cvt_f32_f16_e32 v30, v31
	v_cvt_f32_f16_sdwa v31, v31 dst_sel:DWORD dst_unused:UNUSED_PAD src0_sel:WORD_1
	v_mov_b32_e32 v17, s59
	v_cndmask_b32_e64 v17, v17, v170, s[34:35]
	v_mfma_f32_16x16x16_f16 v[28:31], v[176:177], v[24:25], v[28:31]
	v_pk_mul_f16 v110, v110, v171
	v_cvt_pk_f16_f32 v17, v16, v17
	v_cvt_pk_f16_f32 v16, v14, v15
	v_pk_mul_f16 v109, v109, v171
	s_nop 3
	v_cvt_f16_f32_e32 v12, v28
	v_cvt_f16_f32_e32 v13, v29
	;; [unrolled: 1-line block ×4, first 2 shown]
	v_cvt_f32_f16_e32 v28, v12
	v_cvt_f32_f16_e32 v29, v13
	v_perm_b32 v13, v184, v120, s63
	ds_read_u16 v12, v146 offset:3328
	ds_read_u16 v120, v146 offset:3360
	;; [unrolled: 1-line block ×12, first 2 shown]
	s_waitcnt lgkmcnt(6)
	v_perm_b32 v12, v176, v12, s63
	v_cvt_f32_f16_e32 v30, v30
	v_cvt_f32_f16_e32 v31, v31
	v_pk_mul_f16 v108, v108, v171
	v_pk_mul_f16 v107, v107, v171
	v_mfma_f32_16x16x16_f16 v[28:31], v[12:13], v[26:27], v[28:31]
	v_pk_mul_f16 v105, v105, v171
	v_pk_mul_f16 v104, v104, v171
	;; [unrolled: 1-line block ×3, first 2 shown]
	v_cmp_lt_i32_e32 vcc, s66, v121
	s_nop 3
	v_cvt_f16_f32_e32 v12, v28
	v_cvt_f16_f32_e32 v13, v29
	;; [unrolled: 1-line block ×4, first 2 shown]
	v_cvt_f32_f16_e32 v28, v12
	v_cvt_f32_f16_e32 v29, v13
	v_cvt_f32_f16_e32 v30, v22
	ds_read_u16 v12, v147 offset:6656
	ds_read_u16 v22, v147 offset:6688
	;; [unrolled: 1-line block ×10, first 2 shown]
	s_waitcnt lgkmcnt(4)
	v_perm_b32 v13, v13, v12, s63
	ds_read_u16 v12, v146 offset:6656
	ds_read_u16 v31, v146 offset:6864
	;; [unrolled: 1-line block ×8, first 2 shown]
	s_waitcnt lgkmcnt(6)
	v_perm_b32 v12, v31, v12, s63
	v_cvt_f32_f16_e32 v31, v23
	v_pk_mul_f16 v23, v113, v171
	s_and_b64 vcc, exec, vcc
	v_mfma_f32_16x16x16_f16 v[28:31], v[12:13], v[20:21], v[28:31]
	s_nop 7
	v_cvt_f16_f32_e32 v12, v28
	v_cvt_f16_f32_e32 v13, v29
	;; [unrolled: 1-line block ×4, first 2 shown]
	v_cvt_f32_f16_e32 v28, v12
	v_cvt_f32_f16_e32 v29, v13
	ds_read_u16 v12, v147 offset:9984
	ds_read_u16 v113, v147 offset:10016
	;; [unrolled: 1-line block ×14, first 2 shown]
	v_cvt_f32_f16_e32 v30, v18
	s_waitcnt lgkmcnt(6)
	v_perm_b32 v13, v13, v12, s63
	ds_read_u16 v12, v146 offset:9984
	ds_read_u16 v226, v146 offset:10016
	;; [unrolled: 1-line block ×12, first 2 shown]
	s_waitcnt lgkmcnt(6)
	v_perm_b32 v12, v18, v12, s63
	v_cvt_f32_f16_e32 v31, v19
	v_perm_b32 v19, v183, v119, s63
	v_perm_b32 v18, v191, v190, s63
	v_mfma_f32_16x16x16_f16 v[12:15], v[12:13], v[16:17], v[28:31]
	s_nop 2
	v_cvt_f32_f16_e32 v28, v23
	v_cvt_f32_f16_sdwa v29, v23 dst_sel:DWORD dst_unused:UNUSED_PAD src0_sel:WORD_1
	v_cvt_f32_f16_e32 v30, v110
	v_cvt_f32_f16_sdwa v31, v110 dst_sel:DWORD dst_unused:UNUSED_PAD src0_sel:WORD_1
	s_nop 1
	v_mfma_f32_16x16x16_f16 v[28:31], v[18:19], v[24:25], v[28:31]
	s_nop 7
	v_cvt_f16_f32_e32 v18, v28
	v_cvt_f16_f32_e32 v19, v29
	;; [unrolled: 1-line block ×4, first 2 shown]
	v_cvt_f32_f16_e32 v28, v18
	v_cvt_f32_f16_e32 v29, v19
	v_perm_b32 v19, v185, v178, s63
	v_perm_b32 v18, v177, v120, s63
	v_cvt_f32_f16_e32 v30, v23
	v_cvt_f32_f16_e32 v31, v31
	v_cvt_f32_f16_sdwa v177, v109 dst_sel:DWORD dst_unused:UNUSED_PAD src0_sel:WORD_1
	v_cvt_f32_f16_e32 v178, v108
	v_mfma_f32_16x16x16_f16 v[28:31], v[18:19], v[26:27], v[28:31]
	s_nop 7
	v_cvt_f16_f32_e32 v18, v28
	v_cvt_f16_f32_e32 v19, v29
	;; [unrolled: 1-line block ×4, first 2 shown]
	v_cvt_f32_f16_e32 v28, v18
	v_cvt_f32_f16_e32 v29, v19
	v_perm_b32 v19, v176, v22, s63
	v_perm_b32 v18, v210, v209, s63
	v_cvt_f32_f16_e32 v30, v23
	v_cvt_f32_f16_e32 v31, v31
	ds_read_u16 v22, v146 offset:272
	ds_read_u16 v23, v146 offset:304
	;; [unrolled: 1-line block ×3, first 2 shown]
	v_mfma_f32_16x16x16_f16 v[28:31], v[18:19], v[20:21], v[28:31]
	v_cvt_f32_f16_e32 v176, v109
	s_nop 6
	v_cvt_f16_f32_e32 v18, v28
	v_cvt_f16_f32_e32 v19, v29
	;; [unrolled: 1-line block ×4, first 2 shown]
	v_cvt_f32_f16_e32 v28, v18
	v_cvt_f32_f16_e32 v29, v19
	v_perm_b32 v19, v220, v113, s63
	s_waitcnt lgkmcnt(8)
	v_perm_b32 v18, v230, v226, s63
	v_cvt_f32_f16_e32 v30, v30
	v_cvt_f32_f16_e32 v31, v31
	ds_read_u16 v113, v147 offset:3392
	ds_read_u16 v119, v147 offset:3424
	;; [unrolled: 1-line block ×3, first 2 shown]
	v_mfma_f32_16x16x16_f16 v[28:31], v[18:19], v[16:17], v[28:31]
	v_perm_b32 v19, v186, v179, s63
	s_waitcnt lgkmcnt(5)
	v_perm_b32 v18, v22, v192, s63
	v_cvt_f32_f16_sdwa v179, v108 dst_sel:DWORD dst_unused:UNUSED_PAD src0_sel:WORD_1
	ds_read_u16 v22, v148 offset:3392
	ds_read_u16 v183, v148 offset:3424
	ds_read_u16 v185, v148 offset:3456
	v_mfma_f32_16x16x16_f16 v[176:179], v[18:19], v[24:25], v[176:179]
	s_nop 7
	v_cvt_f16_f32_e32 v18, v176
	v_cvt_f16_f32_e32 v19, v177
	;; [unrolled: 1-line block ×4, first 2 shown]
	v_cvt_f32_f16_e32 v176, v18
	v_cvt_f32_f16_e32 v177, v19
	s_waitcnt lgkmcnt(2)
	v_perm_b32 v19, v22, v113, s63
	v_perm_b32 v18, v198, v184, s63
	v_cvt_f32_f16_e32 v178, v108
	v_cvt_f32_f16_e32 v179, v109
	ds_read_u16 v22, v146 offset:6928
	ds_read_u16 v113, v146 offset:6960
	;; [unrolled: 1-line block ×3, first 2 shown]
	v_mfma_f32_16x16x16_f16 v[176:179], v[18:19], v[26:27], v[176:179]
	s_nop 7
	v_cvt_f16_f32_e32 v18, v176
	v_cvt_f16_f32_e32 v19, v177
	;; [unrolled: 1-line block ×4, first 2 shown]
	v_cvt_f32_f16_e32 v176, v18
	v_cvt_f32_f16_e32 v177, v19
	v_perm_b32 v19, v206, v203, s63
	s_waitcnt lgkmcnt(2)
	v_perm_b32 v18, v22, v211, s63
	v_cvt_f32_f16_e32 v178, v108
	v_cvt_f32_f16_e32 v179, v109
	v_pk_mul_f16 v109, v106, v171
	v_cvt_f32_f16_e32 v106, v107
	v_mfma_f32_16x16x16_f16 v[176:179], v[18:19], v[20:21], v[176:179]
	v_cvt_f32_f16_sdwa v107, v107 dst_sel:DWORD dst_unused:UNUSED_PAD src0_sel:WORD_1
	s_nop 6
	v_cvt_f16_f32_e32 v18, v176
	v_cvt_f16_f32_e32 v19, v177
	;; [unrolled: 1-line block ×4, first 2 shown]
	v_cvt_f32_f16_e32 v176, v18
	v_cvt_f32_f16_e32 v177, v19
	v_perm_b32 v19, v221, v215, s63
	v_perm_b32 v18, v231, v227, s63
	v_cvt_f32_f16_e32 v178, v22
	v_cvt_f32_f16_e32 v179, v108
	;; [unrolled: 1-line block ×3, first 2 shown]
	v_cvt_f32_f16_sdwa v109, v109 dst_sel:DWORD dst_unused:UNUSED_PAD src0_sel:WORD_1
	v_mfma_f32_16x16x16_f16 v[176:179], v[18:19], v[16:17], v[176:179]
	v_perm_b32 v19, v187, v180, s63
	v_perm_b32 v18, v23, v193, s63
	ds_read_u16 v22, v146 offset:3456
	ds_read_u16 v23, v147 offset:6784
	;; [unrolled: 1-line block ×4, first 2 shown]
	v_mfma_f32_16x16x16_f16 v[106:109], v[18:19], v[24:25], v[106:109]
	s_waitcnt lgkmcnt(0)
	s_barrier
	s_nop 5
	v_cvt_f16_f32_e32 v18, v106
	v_cvt_f16_f32_e32 v19, v107
	;; [unrolled: 1-line block ×4, first 2 shown]
	v_cvt_f32_f16_e32 v106, v18
	v_cvt_f32_f16_e32 v107, v19
	v_perm_b32 v19, v183, v119, s63
	v_perm_b32 v18, v199, v196, s63
	v_cvt_f32_f16_e32 v108, v108
	v_cvt_f32_f16_e32 v109, v109
	v_add_f32_e32 v119, v155, v156
	v_add_f32_e32 v119, v119, v157
	v_mfma_f32_16x16x16_f16 v[106:109], v[18:19], v[26:27], v[106:109]
	v_add_f32_e32 v119, v119, v158
	v_cvt_f32_f16_e32 v156, v105
	v_cvt_f32_f16_sdwa v157, v105 dst_sel:DWORD dst_unused:UNUSED_PAD src0_sel:WORD_1
	v_cvt_f32_f16_e32 v158, v104
	s_nop 3
	v_cvt_f16_f32_e32 v18, v106
	v_cvt_f16_f32_e32 v19, v107
	;; [unrolled: 1-line block ×4, first 2 shown]
	v_cvt_f32_f16_e32 v106, v18
	v_cvt_f32_f16_e32 v107, v19
	v_perm_b32 v19, v207, v204, s63
	v_perm_b32 v18, v113, v212, s63
	v_cvt_f32_f16_e32 v108, v108
	v_cvt_f32_f16_e32 v109, v109
	v_cndmask_b32_e64 v113, 0, v119, s[10:11]
	v_add_f32_e32 v119, v159, v113
	v_mfma_f32_16x16x16_f16 v[106:109], v[18:19], v[20:21], v[106:109]
	v_cvt_f32_f16_sdwa v159, v104 dst_sel:DWORD dst_unused:UNUSED_PAD src0_sel:WORD_1
	v_cndmask_b32_e64 v113, v113, v119, s[12:13]
	v_add_f32_e32 v119, v160, v113
	v_cndmask_b32_e64 v104, v113, v119, s[14:15]
	s_nop 3
	v_cvt_f16_f32_e32 v18, v106
	v_cvt_f16_f32_e32 v19, v107
	;; [unrolled: 1-line block ×4, first 2 shown]
	v_cvt_f32_f16_e32 v106, v18
	v_cvt_f32_f16_e32 v107, v19
	v_perm_b32 v19, v222, v216, s63
	v_perm_b32 v18, v232, v228, s63
	v_cvt_f32_f16_e32 v108, v108
	v_cvt_f32_f16_e32 v109, v109
	v_add_f32_e32 v105, v161, v104
	v_cndmask_b32_e64 v104, v104, v105, s[16:17]
	v_mfma_f32_16x16x16_f16 v[106:109], v[18:19], v[16:17], v[106:109]
	v_perm_b32 v19, v188, v181, s63
	v_perm_b32 v18, v110, v194, s63
	v_cvt_pk_f16_f32 v113, v28, v29
	v_cvt_pk_f16_f32 v119, v14, v15
	v_mfma_f32_16x16x16_f16 v[156:159], v[18:19], v[24:25], v[156:159]
	s_nop 2
	v_cvt_pk_f16_f32 v107, v106, v107
	v_cvt_pk_f16_f32 v106, v108, v109
	;; [unrolled: 1-line block ×3, first 2 shown]
	s_nop 1
	v_cvt_f16_f32_e32 v18, v156
	v_cvt_f16_f32_e32 v19, v157
	;; [unrolled: 1-line block ×4, first 2 shown]
	v_cvt_f32_f16_e32 v156, v18
	v_cvt_f32_f16_e32 v157, v19
	v_perm_b32 v19, v185, v120, s63
	v_perm_b32 v18, v200, v22, s63
	v_cvt_f32_f16_e32 v158, v105
	v_cvt_f32_f16_e32 v159, v110
	v_add_f32_e32 v22, v162, v104
	v_cndmask_b32_e64 v22, v104, v22, s[18:19]
	v_mfma_f32_16x16x16_f16 v[156:159], v[18:19], v[26:27], v[156:159]
	v_add_f32_e32 v104, v163, v22
	v_cndmask_b32_e64 v22, v22, v104, s[20:21]
	v_cvt_pk_f16_f32 v108, v178, v179
	v_cvt_pk_f16_f32 v120, v12, v13
	s_nop 3
	v_cvt_f16_f32_e32 v18, v156
	v_cvt_f16_f32_e32 v19, v157
	;; [unrolled: 1-line block ×4, first 2 shown]
	v_cvt_f32_f16_e32 v156, v18
	v_cvt_f32_f16_e32 v157, v19
	v_perm_b32 v19, v180, v23, s63
	v_perm_b32 v18, v184, v213, s63
	v_cvt_f32_f16_e32 v158, v105
	v_cvt_f32_f16_e32 v159, v110
	v_add_f32_e32 v23, v164, v22
	v_cndmask_b32_e64 v22, v22, v23, s[22:23]
	v_mfma_f32_16x16x16_f16 v[156:159], v[18:19], v[20:21], v[156:159]
	v_pk_mul_f16 v105, v102, v171
	v_cvt_f32_f16_e32 v102, v103
	v_cvt_f32_f16_sdwa v103, v103 dst_sel:DWORD dst_unused:UNUSED_PAD src0_sel:WORD_1
	v_cvt_pk_f16_f32 v110, v30, v31
	s_nop 3
	v_cvt_f16_f32_e32 v18, v156
	v_cvt_f16_f32_e32 v19, v157
	v_cvt_f16_f32_e32 v23, v158
	v_cvt_f16_f32_e32 v104, v159
	v_cvt_f32_f16_e32 v156, v18
	v_cvt_f32_f16_e32 v157, v19
	v_perm_b32 v19, v223, v217, s63
	v_perm_b32 v18, v233, v186, s63
	v_cvt_f32_f16_e32 v158, v23
	v_cvt_f32_f16_e32 v159, v104
	;; [unrolled: 1-line block ×3, first 2 shown]
	v_cvt_f32_f16_sdwa v105, v105 dst_sel:DWORD dst_unused:UNUSED_PAD src0_sel:WORD_1
	v_mfma_f32_16x16x16_f16 v[156:159], v[18:19], v[16:17], v[156:159]
	v_perm_b32 v19, v189, v182, s63
	v_perm_b32 v18, v197, v195, s63
	v_add_f32_e32 v23, v165, v22
	v_cndmask_b32_e64 v22, v22, v23, s[24:25]
	v_add_f32_e32 v23, v91, v22
	v_cndmask_b32_e64 v91, v22, v23, s[26:27]
	v_mfma_f32_16x16x16_f16 v[22:25], v[18:19], v[24:25], v[102:105]
	s_nop 2
	v_add_f32_e32 v102, v166, v91
	v_cndmask_b32_e64 v91, v91, v102, s[0:1]
	s_nop 2
	v_cvt_f16_f32_e32 v18, v22
	v_cvt_f16_f32_e32 v19, v23
	;; [unrolled: 1-line block ×4, first 2 shown]
	v_cvt_f32_f16_e32 v22, v18
	v_cvt_f32_f16_e32 v23, v19
	v_perm_b32 v19, v208, v205, s63
	v_perm_b32 v18, v201, v202, s63
	v_cvt_f32_f16_e32 v24, v24
	v_cvt_f32_f16_e32 v25, v25
	v_add_f32_e32 v102, v168, v91
	v_cvt_pk_f16_f32 v105, v156, v157
	v_mfma_f32_16x16x16_f16 v[22:25], v[18:19], v[26:27], v[22:25]
	v_cndmask_b32_e64 v26, v91, v102, s[28:29]
	v_add_f32_e32 v27, v167, v26
	v_cndmask_b32_e64 v26, v26, v27, s[30:31]
	v_cvt_pk_f16_f32 v104, v158, v159
	s_nop 3
	v_cvt_f16_f32_e32 v18, v22
	v_cvt_f16_f32_e32 v19, v23
	;; [unrolled: 1-line block ×4, first 2 shown]
	v_cvt_f32_f16_e32 v22, v18
	v_cvt_f32_f16_e32 v23, v19
	v_perm_b32 v19, v225, v219, s63
	v_perm_b32 v18, v229, v214, s63
	v_cvt_f32_f16_e32 v24, v24
	v_cvt_f32_f16_e32 v25, v25
	s_nop 1
	v_mfma_f32_16x16x16_f16 v[18:21], v[18:19], v[20:21], v[22:25]
	s_nop 2
	v_perm_b32 v23, v224, v218, s63
	v_perm_b32 v22, v234, v235, s63
	s_nop 2
	v_cvt_f16_f32_e32 v18, v18
	v_cvt_f16_f32_e32 v19, v19
	;; [unrolled: 1-line block ×4, first 2 shown]
	v_cvt_f32_f16_e32 v18, v18
	v_cvt_f32_f16_e32 v19, v19
	;; [unrolled: 1-line block ×4, first 2 shown]
	v_add_f32_e32 v24, v170, v26
	v_cndmask_b32_e64 v91, v26, v24, s[34:35]
	v_mfma_f32_16x16x16_f16 v[16:19], v[22:23], v[16:17], v[18:21]
	v_fmac_f32_e32 v91, v154, v169
	s_nop 6
	v_cvt_pk_f16_f32 v103, v16, v17
	v_cvt_pk_f16_f32 v102, v18, v19
	s_cbranch_vccz .LBB14_392
; %bb.389:                              ;   in Loop: Header=BB14_376 Depth=1
	v_mov_b32_e32 v154, v91
	v_mov_b32_e32 v30, v39
	s_branch .LBB14_376
.LBB14_390:
                                        ; implicit-def: $sgpr4_sgpr5
                                        ; kill: killed $sgpr4_sgpr5
	s_load_dwordx2 s[42:43], s[0:1], 0x5c
	s_branch .LBB14_7
.LBB14_391:
	v_mov_b32_e32 v39, 0xfeffffff
	v_mov_b32_e32 v91, 0
	;; [unrolled: 1-line block ×14, first 2 shown]
	s_branch .LBB14_393
.LBB14_392:
	v_lshlrev_b32_e32 v132, 4, v144
	v_mbcnt_lo_u32_b32 v122, -1, 0
.LBB14_393:
	s_lshl_b32 s44, s66, 6
	v_readlane_b32 s0, v254, 4
	s_sub_i32 s46, s0, s44
	v_readlane_b32 s1, v254, 5
	s_cmp_lg_u64 s[40:41], 0
	s_cselect_b64 s[0:1], -1, 0
	s_ashr_i32 s45, s44, 31
	s_cmp_eq_u64 s[40:41], 0
	s_cbranch_scc1 .LBB14_427
; %bb.394:
	s_lshl_b64 s[2:3], s[44:45], 1
	s_add_u32 s2, s40, s2
	s_addc_u32 s3, s41, s3
	v_mov_b32_e32 v33, 0
	v_cmp_gt_i32_e32 vcc, s46, v101
	v_lshl_add_u64 v[12:13], s[2:3], 0, v[32:33]
	v_mov_b32_e32 v15, 0
	s_and_saveexec_b64 s[2:3], vcc
	s_cbranch_execz .LBB14_396
; %bb.395:
	v_add_u32_e32 v14, s51, v144
	v_mul_hi_u32 v15, s42, v14
	v_add_u32_e32 v15, v14, v15
	v_lshrrev_b32_e32 v15, s43, v15
	v_mul_lo_u32 v15, v15, s48
	v_sub_u32_e32 v14, v14, v15
	v_mad_i64_i32 v[14:15], s[4:5], v14, s84, 0
	v_lshl_add_u64 v[14:15], v[14:15], 1, v[12:13]
	global_load_ushort v15, v[14:15], off
.LBB14_396:
	s_or_b64 exec, exec, s[2:3]
	s_movk_i32 s2, 0x90
	v_mad_u32_u24 v14, v144, s2, 0
	v_lshl_add_u32 v16, v101, 1, v14
	s_waitcnt vmcnt(0)
	ds_write_b16 v16, v15 offset:13312
	s_and_saveexec_b64 s[2:3], vcc
	s_cbranch_execz .LBB14_398
; %bb.397:
	v_add3_u32 v15, v144, s51, 4
	v_mul_hi_u32 v16, s42, v15
	v_add_u32_e32 v16, v15, v16
	v_lshrrev_b32_e32 v16, s43, v16
	v_mul_lo_u32 v16, v16, s48
	v_sub_u32_e32 v15, v15, v16
	v_mad_i64_i32 v[16:17], s[4:5], v15, s84, 0
	v_lshl_add_u64 v[16:17], v[16:17], 1, v[12:13]
	global_load_ushort v33, v[16:17], off
.LBB14_398:
	s_or_b64 exec, exec, s[2:3]
	v_add_u32_e32 v15, 0x240, v14
	v_lshl_add_u32 v14, v101, 1, v15
	s_waitcnt vmcnt(0)
	ds_write_b16 v14, v33 offset:13312
	v_mov_b32_e32 v14, 0
	v_mov_b32_e32 v16, 0
	s_and_saveexec_b64 s[2:3], vcc
	s_cbranch_execz .LBB14_400
; %bb.399:
	v_add3_u32 v16, v144, s51, 8
	v_mul_hi_u32 v17, s42, v16
	v_add_u32_e32 v17, v16, v17
	v_lshrrev_b32_e32 v17, s43, v17
	v_mul_lo_u32 v17, v17, s48
	v_sub_u32_e32 v16, v16, v17
	v_mad_i64_i32 v[16:17], s[4:5], v16, s84, 0
	v_lshl_add_u64 v[16:17], v[16:17], 1, v[12:13]
	global_load_ushort v16, v[16:17], off
.LBB14_400:
	s_or_b64 exec, exec, s[2:3]
	v_add_u32_e32 v15, 0x240, v15
	v_lshl_add_u32 v17, v101, 1, v15
	s_waitcnt vmcnt(0)
	ds_write_b16 v17, v16 offset:13312
	s_and_saveexec_b64 s[2:3], vcc
	s_cbranch_execz .LBB14_402
; %bb.401:
	v_add3_u32 v14, v144, s51, 12
	v_mul_hi_u32 v16, s42, v14
	v_add_u32_e32 v16, v14, v16
	v_lshrrev_b32_e32 v16, s43, v16
	v_mul_lo_u32 v16, v16, s48
	v_sub_u32_e32 v14, v14, v16
	v_mad_i64_i32 v[16:17], s[4:5], v14, s84, 0
	v_lshl_add_u64 v[16:17], v[16:17], 1, v[12:13]
	global_load_ushort v14, v[16:17], off
.LBB14_402:
	s_or_b64 exec, exec, s[2:3]
	v_add_u32_e32 v15, 0x240, v15
	v_lshl_add_u32 v16, v101, 1, v15
	s_waitcnt vmcnt(0)
	ds_write_b16 v16, v14 offset:13312
	v_mov_b32_e32 v14, 0
	v_mov_b32_e32 v16, 0
	s_and_saveexec_b64 s[2:3], vcc
	s_cbranch_execz .LBB14_404
; %bb.403:
	v_add3_u32 v16, v144, s51, 16
	v_mul_hi_u32 v17, s42, v16
	v_add_u32_e32 v17, v16, v17
	v_lshrrev_b32_e32 v17, s43, v17
	v_mul_lo_u32 v17, v17, s48
	v_sub_u32_e32 v16, v16, v17
	v_mad_i64_i32 v[16:17], s[4:5], v16, s84, 0
	v_lshl_add_u64 v[16:17], v[16:17], 1, v[12:13]
	global_load_ushort v16, v[16:17], off
.LBB14_404:
	s_or_b64 exec, exec, s[2:3]
	v_add_u32_e32 v15, 0x240, v15
	;; [unrolled: 38-line block ×7, first 2 shown]
	v_lshl_add_u32 v15, v101, 1, v15
	s_waitcnt vmcnt(0)
	ds_write_b16 v15, v16 offset:13312
	s_and_saveexec_b64 s[2:3], vcc
	s_cbranch_execz .LBB14_426
; %bb.425:
	v_add3_u32 v14, v144, s51, 60
	v_mul_hi_u32 v16, s42, v14
	v_add_u32_e32 v16, v14, v16
	v_lshrrev_b32_e32 v16, s43, v16
	v_mul_lo_u32 v16, v16, s48
	v_sub_u32_e32 v14, v14, v16
	v_mad_i64_i32 v[16:17], s[4:5], v14, s84, 0
	v_lshl_add_u64 v[12:13], v[16:17], 1, v[12:13]
	global_load_ushort v14, v[12:13], off
.LBB14_426:
	s_or_b64 exec, exec, s[2:3]
	s_waitcnt vmcnt(0)
	ds_write_b16 v15, v14 offset:13888
.LBB14_427:
	s_mul_hi_i32 s5, s44, s56
	s_mul_i32 s4, s44, s56
	s_lshl_b64 s[4:5], s[4:5], 2
	v_add_u32_e32 v45, v115, v132
	s_add_u32 s4, s57, s4
	v_mul_lo_u32 v12, s56, v45
	s_addc_u32 s5, s58, s5
	v_ashrrev_i32_e32 v13, 31, v12
	v_and_b32_e32 v14, 12, v118
	v_lshl_add_u64 v[12:13], v[12:13], 2, s[4:5]
	v_lshlrev_b32_e32 v42, 2, v14
	v_mov_b32_e32 v43, 0
	s_mov_b64 s[2:3], src_private_base
	v_lshl_add_u64 v[12:13], v[12:13], 0, v[42:43]
	s_mov_b64 s[6:7], 0x80
	v_lshl_add_u64 v[12:13], v[12:13], 0, s[6:7]
	v_mov_b32_e32 v20, s3
	v_cmp_gt_i32_e64 s[34:35], s46, v45
	v_mov_b32_e32 v21, 0
	v_mov_b32_e32 v14, v43
	;; [unrolled: 1-line block ×5, first 2 shown]
	v_cndmask_b32_e64 v13, v20, v13, s[34:35]
	v_cndmask_b32_e64 v12, v21, v12, s[34:35]
	scratch_store_dwordx4 off, v[14:17], off
	flat_load_dwordx4 v[12:15], v[12:13]
	v_mul_u32_u24_e32 v18, 0xd0, v45
	v_and_b32_e32 v17, 28, v118
	v_mul_lo_u32 v16, s56, v114
	v_lshlrev_b32_e32 v40, 2, v17
	v_ashrrev_i32_e32 v17, 31, v16
	v_mov_b32_e32 v41, v43
	v_add3_u32 v43, 0, v18, v42
	v_lshl_add_u64 v[18:19], v[16:17], 2, s[4:5]
	v_lshl_add_u64 v[18:19], v[18:19], 0, v[40:41]
	v_cmp_gt_i32_e64 s[30:31], s46, v114
	v_mul_u32_u24_e32 v17, 0xd0, v114
	v_lshl_add_u32 v16, s56, 5, v16
	v_cndmask_b32_e64 v19, v20, v19, s[30:31]
	v_cndmask_b32_e64 v18, v21, v18, s[30:31]
	v_add3_u32 v44, 0, v17, v40
	v_ashrrev_i32_e32 v17, 31, v16
	v_lshl_add_u64 v[16:17], v[16:17], 2, s[4:5]
	v_lshl_add_u64 v[16:17], v[16:17], 0, v[40:41]
	v_add3_u32 v32, 0, v117, v37
	v_add_u32_e32 v33, 0x800, v32
	v_add_u32_e32 v41, 0x1800, v32
	;; [unrolled: 1-line block ×3, first 2 shown]
	s_and_b64 vcc, exec, s[0:1]
	s_waitcnt vmcnt(0) lgkmcnt(0)
	ds_write_b128 v43, v[12:15] offset:128
	flat_load_dwordx4 v[12:15], v[18:19]
	v_add_u32_e32 v18, 32, v114
	v_cmp_gt_i32_e64 s[28:29], s46, v18
	s_waitcnt vmcnt(0) lgkmcnt(0)
	ds_write_b128 v44, v[12:15]
	v_cndmask_b32_e64 v17, v20, v17, s[28:29]
	v_cndmask_b32_e64 v16, v21, v16, s[28:29]
	flat_load_dwordx4 v[12:15], v[16:17]
	s_waitcnt vmcnt(0) lgkmcnt(0)
	ds_write_b128 v44, v[12:15] offset:6656
	s_waitcnt lgkmcnt(0)
	s_barrier
	ds_read2_b64 v[12:15], v32 offset1:4
	ds_read2_b64 v[20:23], v33 offset0:160 offset1:164
	ds_read2_b64 v[28:31], v41 offset0:64 offset1:68
	;; [unrolled: 1-line block ×3, first 2 shown]
	s_waitcnt lgkmcnt(3)
	v_mfma_f32_16x16x16_f16 v[16:19], v[12:13], v[8:9], 0
	s_waitcnt lgkmcnt(2)
	v_mfma_f32_16x16x16_f16 v[24:27], v[20:21], v[8:9], 0
	;; [unrolled: 2-line block ×4, first 2 shown]
	v_mfma_f32_16x16x16_f16 v[12:15], v[14:15], v[10:11], v[16:19]
	v_mfma_f32_16x16x16_f16 v[16:19], v[22:23], v[10:11], v[24:27]
	;; [unrolled: 1-line block ×3, first 2 shown]
	s_nop 1
	ds_read2_b64 v[24:27], v32 offset0:8 offset1:12
	ds_read2_b64 v[28:31], v33 offset0:168 offset1:172
	v_mfma_f32_16x16x16_f16 v[8:11], v[52:53], v[10:11], v[54:57]
	ds_read2_b64 v[46:49], v41 offset0:72 offset1:76
	ds_read2_b64 v[50:53], v58 offset0:232 offset1:236
	s_waitcnt lgkmcnt(3)
	v_mfma_f32_16x16x16_f16 v[12:15], v[24:25], v[4:5], v[12:15]
	ds_read2_b64 v[56:59], v58 offset0:240 offset1:244
	s_waitcnt lgkmcnt(3)
	v_mfma_f32_16x16x16_f16 v[16:19], v[28:29], v[4:5], v[16:19]
	s_waitcnt lgkmcnt(2)
	v_mfma_f32_16x16x16_f16 v[20:23], v[46:47], v[4:5], v[20:23]
	s_waitcnt lgkmcnt(1)
	v_mfma_f32_16x16x16_f16 v[8:11], v[50:51], v[4:5], v[8:11]
	v_mfma_f32_16x16x16_f16 v[12:15], v[26:27], v[6:7], v[12:15]
	ds_read2_b64 v[24:27], v33 offset0:176 offset1:180
	v_mfma_f32_16x16x16_f16 v[16:19], v[30:31], v[6:7], v[16:19]
	v_mfma_f32_16x16x16_f16 v[20:23], v[48:49], v[6:7], v[20:23]
	ds_read2_b64 v[46:49], v41 offset0:80 offset1:84
	v_mfma_f32_16x16x16_f16 v[4:7], v[52:53], v[6:7], v[8:11]
	s_nop 2
	ds_read2_b64 v[8:11], v32 offset0:16 offset1:20
	s_waitcnt lgkmcnt(0)
	v_mfma_f32_16x16x16_f16 v[12:15], v[8:9], v[0:1], v[12:15]
	s_barrier
	v_mfma_f32_16x16x16_f16 v[28:31], v[24:25], v[0:1], v[16:19]
	v_mfma_f32_16x16x16_f16 v[52:55], v[46:47], v[0:1], v[20:23]
	;; [unrolled: 1-line block ×3, first 2 shown]
	v_and_b32_e32 v0, 0xfc, v115
	v_add_u32_e32 v1, 16, v0
	v_add_u32_e32 v47, 18, v0
	v_mfma_f32_16x16x16_f16 v[18:21], v[10:11], v[2:3], v[12:15]
	v_add_u32_e32 v50, 32, v0
	v_add_u32_e32 v51, 34, v0
	v_mfma_f32_16x16x16_f16 v[22:25], v[26:27], v[2:3], v[28:31]
	v_mfma_f32_16x16x16_f16 v[26:29], v[48:49], v[2:3], v[52:55]
	;; [unrolled: 1-line block ×3, first 2 shown]
	s_nop 1
	v_add_u32_e32 v53, 48, v0
	v_add_u32_e32 v55, 50, v0
	s_cbranch_vccz .LBB14_434
; %bb.428:
	v_or_b32_e32 v2, v36, v132
	s_movk_i32 s0, 0x90
	v_mad_u32_u24 v41, v2, s0, 0
	v_add_u32_e32 v3, v41, v116
	ds_read_b32 v7, v3 offset:13312
	v_add_u32_e32 v48, 16, v0
	v_add_u32_e32 v46, 32, v0
	v_lshlrev_b32_e32 v3, 1, v48
	s_movk_i32 s0, 0x3400
	v_lshlrev_b32_e32 v4, 1, v46
	v_lshl_add_u32 v2, v0, 1, v41
	v_add3_u32 v3, v41, v3, s0
	v_add3_u32 v4, v41, v4, s0
	ds_read_b32 v9, v2 offset:13312
	ds_read2_b32 v[2:3], v3 offset1:1
	ds_read2_b32 v[4:5], v4 offset1:1
	s_waitcnt lgkmcnt(3)
	v_cvt_f32_f16_e32 v6, v7
	v_cvt_f32_f16_sdwa v7, v7 dst_sel:DWORD dst_unused:UNUSED_PAD src0_sel:WORD_1
	v_add_u32_e32 v52, 48, v0
	s_waitcnt lgkmcnt(1)
	v_cvt_f32_f16_e32 v10, v3
	v_cvt_f32_f16_sdwa v11, v3 dst_sel:DWORD dst_unused:UNUSED_PAD src0_sel:WORD_1
	v_pk_fma_f32 v[16:17], v[38:39], v[6:7], v[20:21] op_sel_hi:[0,1,1]
	v_cvt_f32_f16_e32 v6, v2
	v_cvt_f32_f16_sdwa v7, v2 dst_sel:DWORD dst_unused:UNUSED_PAD src0_sel:WORD_1
	s_waitcnt lgkmcnt(0)
	v_cvt_f32_f16_e32 v2, v5
	v_cvt_f32_f16_sdwa v3, v5 dst_sel:DWORD dst_unused:UNUSED_PAD src0_sel:WORD_1
	v_lshlrev_b32_e32 v5, 1, v52
	v_add3_u32 v5, v41, v5, s0
	v_pk_fma_f32 v[12:13], v[38:39], v[10:11], v[24:25] op_sel_hi:[0,1,1]
	v_pk_fma_f32 v[10:11], v[38:39], v[6:7], v[22:23] op_sel_hi:[0,1,1]
	ds_read2_b32 v[6:7], v5 offset1:1
	v_cvt_f32_f16_e32 v8, v9
	v_cvt_f32_f16_sdwa v9, v9 dst_sel:DWORD dst_unused:UNUSED_PAD src0_sel:WORD_1
	v_cvt_f32_f16_e32 v58, v4
	v_cvt_f32_f16_sdwa v59, v4 dst_sel:DWORD dst_unused:UNUSED_PAD src0_sel:WORD_1
	s_waitcnt lgkmcnt(0)
	v_cvt_f32_f16_e32 v4, v7
	v_pk_fma_f32 v[14:15], v[38:39], v[8:9], v[18:19] op_sel_hi:[0,1,1]
	v_pk_fma_f32 v[8:9], v[38:39], v[2:3], v[28:29] op_sel_hi:[0,1,1]
	v_cvt_f32_f16_e32 v2, v6
	v_cvt_f32_f16_sdwa v5, v7 dst_sel:DWORD dst_unused:UNUSED_PAD src0_sel:WORD_1
	v_cvt_f32_f16_sdwa v3, v6 dst_sel:DWORD dst_unused:UNUSED_PAD src0_sel:WORD_1
	v_add_u32_e32 v56, 18, v0
	v_add_u32_e32 v57, 34, v0
	v_pk_fma_f32 v[6:7], v[38:39], v[58:59], v[26:27] op_sel_hi:[0,1,1]
	v_add_u32_e32 v54, 50, v0
	v_pk_fma_f32 v[4:5], v[38:39], v[4:5], v[32:33] op_sel_hi:[0,1,1]
	v_pk_fma_f32 v[2:3], v[38:39], v[2:3], v[30:31] op_sel_hi:[0,1,1]
	v_add_u32_e32 v41, 0x80, v43
	v_add_u32_e32 v49, 0x1a00, v44
	s_cbranch_execnz .LBB14_430
.LBB14_429:
	v_mov_b64_e32 v[2:3], v[30:31]
	v_mov_b64_e32 v[6:7], v[26:27]
	;; [unrolled: 1-line block ×4, first 2 shown]
	v_mov_b32_e32 v54, v55
	v_mov_b32_e32 v52, v53
	;; [unrolled: 1-line block ×6, first 2 shown]
	v_mov_b64_e32 v[4:5], v[32:33]
	v_mov_b64_e32 v[8:9], v[28:29]
	;; [unrolled: 1-line block ×4, first 2 shown]
.LBB14_430:
	v_add_f32_e32 v1, 0x40051340, v14
	v_max_f32_e32 v18, v39, v39
	v_max_f32_e32 v1, v18, v1
	v_cmp_gt_u32_e64 s[36:37], s46, v0
	v_or_b32_e32 v18, 1, v0
	v_add_f32_e32 v19, 0x40051340, v15
	v_cndmask_b32_e64 v1, v39, v1, s[36:37]
	v_max_f32_e32 v20, v1, v1
	v_max_f32_e32 v19, v20, v19
	v_cmp_gt_u32_e64 s[24:25], s46, v18
	v_or_b32_e32 v18, 2, v0
	v_cmp_gt_u32_e64 s[26:27], s46, v18
	v_cndmask_b32_e64 v1, v1, v19, s[24:25]
	v_add_f32_e32 v19, 0x40051340, v16
	v_max_f32_e32 v20, v1, v1
	v_max_f32_e32 v19, v20, v19
	v_cndmask_b32_e64 v1, v1, v19, s[26:27]
	v_or_b32_e32 v18, 3, v115
	v_add_f32_e32 v19, 0x40051340, v17
	v_max_f32_e32 v20, v1, v1
	v_max_f32_e32 v19, v20, v19
	v_cmp_gt_u32_e64 s[22:23], s46, v18
	v_add_f32_e32 v18, 0x40051340, v10
	v_cmp_gt_u32_e64 s[18:19], s46, v48
	v_cndmask_b32_e64 v1, v1, v19, s[22:23]
	v_max_f32_e32 v19, v1, v1
	v_max_f32_e32 v18, v19, v18
	v_cndmask_b32_e64 v1, v1, v18, s[18:19]
	v_add_u32_e32 v18, 17, v0
	v_add_f32_e32 v19, 0x40051340, v11
	v_max_f32_e32 v20, v1, v1
	v_max_f32_e32 v19, v20, v19
	v_cmp_gt_u32_e64 s[20:21], s46, v18
	v_add_f32_e32 v18, 0x40051340, v12
	v_cmp_gt_u32_e64 s[14:15], s46, v56
	v_cndmask_b32_e64 v1, v1, v19, s[20:21]
	v_max_f32_e32 v19, v1, v1
	v_max_f32_e32 v18, v19, v18
	v_cndmask_b32_e64 v1, v1, v18, s[14:15]
	v_add_u32_e32 v18, 19, v0
	;; [unrolled: 11-line block ×5, first 2 shown]
	v_add_f32_e32 v19, 0x40051340, v3
	v_max_f32_e32 v20, v1, v1
	v_max_f32_e32 v19, v20, v19
	v_cmp_gt_u32_e64 s[38:39], s46, v18
	v_add_f32_e32 v18, 0x40051340, v4
	v_cmp_gt_u32_e32 vcc, s46, v54
	v_cndmask_b32_e64 v1, v1, v19, s[38:39]
	v_max_f32_e32 v19, v1, v1
	v_max_f32_e32 v18, v19, v18
	v_cndmask_b32_e32 v1, v1, v18, vcc
	v_add_u32_e32 v0, 51, v0
	v_add_f32_e32 v18, 0x40051340, v5
	v_max_f32_e32 v19, v1, v1
	v_max_f32_e32 v18, v19, v18
	v_cmp_gt_u32_e64 s[0:1], s46, v0
	s_mov_b32 s45, 0x3fb8aa3b
	s_mov_b64 s[42:43], src_private_base
	v_cndmask_b32_e64 v0, v1, v18, s[0:1]
	v_mbcnt_hi_u32_b32 v1, -1, v122
	v_and_b32_e32 v18, 64, v1
	v_add_u32_e32 v18, 64, v18
	v_xor_b32_e32 v19, 32, v1
	v_cmp_lt_i32_e64 s[2:3], v19, v18
	s_mov_b32 s40, 0xc2ce8ed0
	s_mov_b32 s42, 0x42b17218
	v_cndmask_b32_e64 v19, v1, v19, s[2:3]
	v_lshlrev_b32_e32 v27, 2, v19
	ds_bpermute_b32 v19, v27, v0
	v_max_f32_e32 v0, v0, v0
	v_mov_b32_e32 v28, 0
	v_mov_b32_e32 v43, v28
	;; [unrolled: 1-line block ×3, first 2 shown]
	s_waitcnt lgkmcnt(0)
	v_max_f32_e32 v19, v19, v19
	v_max_f32_e32 v0, v0, v19
	v_xor_b32_e32 v19, 16, v1
	v_cmp_lt_i32_e64 s[2:3], v19, v18
	v_mov_b32_e32 v30, v28
	v_mov_b32_e32 v31, v28
	v_cndmask_b32_e64 v1, v1, v19, s[2:3]
	v_lshlrev_b32_e32 v32, 2, v1
	ds_bpermute_b32 v1, v32, v0
	v_mov_b32_e32 v23, s43
	v_mov_b32_e32 v54, 0
	scratch_store_dwordx4 off, v[28:31], off
	s_mov_b32 s41, 0
	s_waitcnt lgkmcnt(0)
	v_max_f32_e32 v1, v1, v1
	v_max_f32_e32 v26, v0, v1
	v_sub_f32_e32 v0, v14, v26
	v_mul_f32_e32 v1, 0x3fb8aa3b, v0
	v_fma_f32 v14, v0, s45, -v1
	v_rndne_f32_e32 v18, v1
	v_fmac_f32_e32 v14, 0x32a5705f, v0
	v_sub_f32_e32 v1, v1, v18
	v_add_f32_e32 v1, v1, v14
	v_exp_f32_e32 v1, v1
	v_cvt_i32_f32_e32 v14, v18
	v_cmp_ngt_f32_e64 s[2:3], s40, v0
	v_mov_b32_e32 v18, 0x7f800000
	v_sub_f32_e32 v21, v17, v26
	v_ldexp_f32 v1, v1, v14
	v_sub_f32_e32 v14, v15, v26
	v_mul_f32_e32 v15, 0x3fb8aa3b, v14
	v_fma_f32 v19, v14, s45, -v15
	v_rndne_f32_e32 v20, v15
	v_fmac_f32_e32 v19, 0x32a5705f, v14
	v_sub_f32_e32 v15, v15, v20
	v_add_f32_e32 v15, v15, v19
	v_exp_f32_e32 v15, v15
	v_cvt_i32_f32_e32 v19, v20
	v_cndmask_b32_e64 v1, 0, v1, s[2:3]
	v_cmp_nlt_f32_e64 s[2:3], s42, v0
	v_sub_f32_e32 v10, v10, v26
	v_sub_f32_e32 v11, v11, v26
	v_cndmask_b32_e64 v0, v18, v1, s[2:3]
	v_ldexp_f32 v1, v15, v19
	v_sub_f32_e32 v19, v16, v26
	v_mul_f32_e32 v15, 0x3fb8aa3b, v19
	v_fma_f32 v16, v19, s45, -v15
	v_rndne_f32_e32 v20, v15
	v_fmac_f32_e32 v16, 0x32a5705f, v19
	v_sub_f32_e32 v15, v15, v20
	v_add_f32_e32 v15, v15, v16
	v_exp_f32_e32 v16, v15
	v_cvt_i32_f32_e32 v20, v20
	v_cmp_ngt_f32_e64 s[2:3], s40, v14
	v_cndmask_b32_e64 v0, 0, v0, s[36:37]
	v_sub_f32_e32 v12, v12, v26
	v_cndmask_b32_e64 v1, 0, v1, s[2:3]
	v_cmp_nlt_f32_e64 s[2:3], s42, v14
	v_ldexp_f32 v14, v16, v20
	v_mul_lo_u32 v16, s50, v45
	v_cndmask_b32_e64 v15, v18, v1, s[2:3]
	v_cmp_ngt_f32_e64 s[2:3], s40, v19
	v_ashrrev_i32_e32 v17, 31, v16
	v_mul_f32_e32 v20, 0x3fb8aa3b, v21
	v_cndmask_b32_e64 v14, 0, v14, s[2:3]
	s_mul_hi_i32 s3, s44, s50
	s_mul_i32 s2, s44, s50
	s_lshl_b64 s[2:3], s[2:3], 2
	s_add_u32 s36, s33, s2
	s_addc_u32 s37, s49, s3
	v_lshl_add_u64 v[16:17], v[16:17], 2, s[36:37]
	v_lshl_add_u64 v[16:17], v[16:17], 0, v[42:43]
	s_mov_b64 s[2:3], 0x80
	v_lshl_add_u64 v[16:17], v[16:17], 0, s[2:3]
	v_cndmask_b32_e64 v17, v23, v17, s[34:35]
	v_cndmask_b32_e64 v16, v54, v16, s[34:35]
	flat_load_dwordx4 v[50:53], v[16:17]
	v_fma_f32 v22, v21, s45, -v20
	v_rndne_f32_e32 v16, v20
	v_fmac_f32_e32 v22, 0x32a5705f, v21
	v_sub_f32_e32 v17, v20, v16
	v_add_f32_e32 v17, v17, v22
	v_exp_f32_e32 v17, v17
	v_cvt_i32_f32_e32 v16, v16
	v_cmp_nlt_f32_e64 s[2:3], s42, v19
	v_sub_f32_e32 v13, v13, v26
	v_sub_f32_e32 v6, v6, v26
	v_ldexp_f32 v16, v17, v16
	v_mul_f32_e32 v17, 0x3fb8aa3b, v10
	v_fma_f32 v19, v10, s45, -v17
	v_rndne_f32_e32 v22, v17
	v_fmac_f32_e32 v19, 0x32a5705f, v10
	v_sub_f32_e32 v17, v17, v22
	v_add_f32_e32 v17, v17, v19
	v_cndmask_b32_e64 v20, v18, v14, s[2:3]
	v_cmp_ngt_f32_e64 s[2:3], s40, v21
	v_exp_f32_e32 v19, v17
	v_cvt_i32_f32_e32 v24, v22
	v_cndmask_b32_e64 v16, 0, v16, s[2:3]
	v_cmp_nlt_f32_e64 s[2:3], s42, v21
	v_mov_b32_e32 v17, s41
	v_sub_f32_e32 v7, v7, v26
	v_cndmask_b32_e64 v21, v18, v16, s[2:3]
	v_cndmask_b32_e64 v22, v17, v21, s[22:23]
	v_mul_f32_e32 v17, 0x3fb8aa3b, v11
	v_ldexp_f32 v16, v19, v24
	v_fma_f32 v19, v11, s45, -v17
	v_rndne_f32_e32 v24, v17
	v_fmac_f32_e32 v19, 0x32a5705f, v11
	v_sub_f32_e32 v17, v17, v24
	v_add_f32_e32 v17, v17, v19
	v_exp_f32_e32 v17, v17
	v_cvt_i32_f32_e32 v19, v24
	v_cmp_ngt_f32_e64 s[2:3], s40, v10
	v_sub_f32_e32 v8, v8, v26
	v_sub_f32_e32 v9, v9, v26
	v_cndmask_b32_e64 v16, 0, v16, s[2:3]
	v_cmp_nlt_f32_e64 s[2:3], s42, v10
	v_sub_f32_e32 v2, v2, v26
	v_sub_f32_e32 v3, v3, v26
	v_cndmask_b32_e64 v33, v18, v16, s[2:3]
	v_ldexp_f32 v16, v17, v19
	v_mul_f32_e32 v17, 0x3fb8aa3b, v12
	v_fma_f32 v19, v12, s45, -v17
	v_rndne_f32_e32 v24, v17
	v_fmac_f32_e32 v19, 0x32a5705f, v12
	v_sub_f32_e32 v17, v17, v24
	v_add_f32_e32 v17, v17, v19
	v_exp_f32_e32 v17, v17
	v_cvt_i32_f32_e32 v19, v24
	v_cmp_ngt_f32_e64 s[2:3], s40, v11
	v_sub_f32_e32 v4, v4, v26
	v_sub_f32_e32 v5, v5, v26
	v_cndmask_b32_e64 v16, 0, v16, s[2:3]
	v_cmp_nlt_f32_e64 s[2:3], s42, v11
	v_mov_b32_e32 v1, s41
	v_mov_b32_e32 v14, s41
	v_cndmask_b32_e64 v38, v18, v16, s[2:3]
	v_ldexp_f32 v16, v17, v19
	v_mul_f32_e32 v17, 0x3fb8aa3b, v13
	v_fma_f32 v19, v13, s45, -v17
	v_rndne_f32_e32 v24, v17
	v_fmac_f32_e32 v19, 0x32a5705f, v13
	v_sub_f32_e32 v17, v17, v24
	v_add_f32_e32 v17, v17, v19
	v_exp_f32_e32 v17, v17
	v_cvt_i32_f32_e32 v19, v24
	v_cmp_ngt_f32_e64 s[2:3], s40, v12
	v_cndmask_b32_e64 v1, v1, v15, s[24:25]
	v_cndmask_b32_e64 v14, v14, v20, s[26:27]
	;; [unrolled: 1-line block ×3, first 2 shown]
	v_cmp_nlt_f32_e64 s[2:3], s42, v12
	v_mov_b32_e32 v10, s41
	v_mov_b32_e32 v11, s41
	v_cndmask_b32_e64 v42, v18, v16, s[2:3]
	v_ldexp_f32 v16, v17, v19
	v_cmp_ngt_f32_e64 s[2:3], s40, v13
	s_waitcnt vmcnt(0) lgkmcnt(0)
	ds_write_b128 v41, v[50:53]
	v_mov_b32_e32 v41, v28
	v_cndmask_b32_e64 v19, 0, v16, s[2:3]
	v_mul_lo_u32 v16, s50, v114
	v_ashrrev_i32_e32 v17, 31, v16
	v_lshl_add_u64 v[24:25], v[16:17], 2, s[36:37]
	v_lshl_add_u64 v[24:25], v[24:25], 0, v[40:41]
	v_cndmask_b32_e64 v25, v23, v25, s[30:31]
	v_cndmask_b32_e64 v24, v54, v24, s[30:31]
	flat_load_dwordx4 v[28:31], v[24:25]
	v_mul_f32_e32 v17, 0x3fb8aa3b, v6
	v_fma_f32 v24, v6, s45, -v17
	v_rndne_f32_e32 v25, v17
	v_fmac_f32_e32 v24, 0x32a5705f, v6
	v_sub_f32_e32 v17, v17, v25
	v_add_f32_e32 v17, v17, v24
	v_exp_f32_e32 v17, v17
	v_cvt_i32_f32_e32 v25, v25
	v_cmp_nlt_f32_e64 s[2:3], s42, v13
	v_mov_b32_e32 v13, s41
	v_lshl_add_u32 v16, s50, 5, v16
	v_cndmask_b32_e64 v43, v18, v19, s[2:3]
	v_cndmask_b32_e64 v24, v13, v43, s[16:17]
	v_ldexp_f32 v13, v17, v25
	v_mul_f32_e32 v17, 0x3fb8aa3b, v7
	v_fma_f32 v19, v7, s45, -v17
	v_rndne_f32_e32 v25, v17
	v_fmac_f32_e32 v19, 0x32a5705f, v7
	v_sub_f32_e32 v17, v17, v25
	v_add_f32_e32 v17, v17, v19
	v_exp_f32_e32 v17, v17
	v_cvt_i32_f32_e32 v19, v25
	v_cmp_ngt_f32_e64 s[2:3], s40, v6
	v_mov_b32_e32 v12, s41
	v_cndmask_b32_e64 v10, v10, v33, s[18:19]
	v_cndmask_b32_e64 v13, 0, v13, s[2:3]
	v_cmp_nlt_f32_e64 s[2:3], s42, v6
	v_cndmask_b32_e64 v11, v11, v38, s[20:21]
	v_cndmask_b32_e64 v12, v12, v42, s[14:15]
	;; [unrolled: 1-line block ×3, first 2 shown]
	v_ldexp_f32 v13, v17, v19
	v_mul_f32_e32 v17, 0x3fb8aa3b, v8
	v_fma_f32 v19, v8, s45, -v17
	v_rndne_f32_e32 v25, v17
	v_fmac_f32_e32 v19, 0x32a5705f, v8
	v_sub_f32_e32 v17, v17, v25
	v_add_f32_e32 v17, v17, v19
	v_exp_f32_e32 v17, v17
	v_cvt_i32_f32_e32 v19, v25
	v_cmp_ngt_f32_e64 s[2:3], s40, v7
	v_mov_b32_e32 v6, s41
	v_cndmask_b32_e64 v6, v6, v45, s[12:13]
	v_cndmask_b32_e64 v13, 0, v13, s[2:3]
	v_cmp_nlt_f32_e64 s[2:3], s42, v7
	v_mov_b32_e32 v7, s41
	s_waitcnt vmcnt(0) lgkmcnt(0)
	ds_write_b128 v44, v[28:31]
	v_cndmask_b32_e64 v46, v18, v13, s[2:3]
	v_ldexp_f32 v13, v17, v19
	v_mul_f32_e32 v17, 0x3fb8aa3b, v9
	v_fma_f32 v19, v9, s45, -v17
	v_rndne_f32_e32 v25, v17
	v_fmac_f32_e32 v19, 0x32a5705f, v9
	v_sub_f32_e32 v17, v17, v25
	v_add_f32_e32 v17, v17, v19
	v_exp_f32_e32 v17, v17
	v_cvt_i32_f32_e32 v19, v25
	v_cmp_ngt_f32_e64 s[2:3], s40, v8
	v_cndmask_b32_e64 v7, v7, v46, s[8:9]
	s_nop 0
	v_cndmask_b32_e64 v13, 0, v13, s[2:3]
	v_cmp_nlt_f32_e64 s[2:3], s42, v8
	v_mov_b32_e32 v8, s41
	s_nop 0
	v_cndmask_b32_e64 v47, v18, v13, s[2:3]
	v_ldexp_f32 v13, v17, v19
	v_mul_f32_e32 v17, 0x3fb8aa3b, v2
	v_fma_f32 v19, v2, s45, -v17
	v_rndne_f32_e32 v25, v17
	v_fmac_f32_e32 v19, 0x32a5705f, v2
	v_sub_f32_e32 v17, v17, v25
	v_add_f32_e32 v17, v17, v19
	v_exp_f32_e32 v17, v17
	v_cvt_i32_f32_e32 v19, v25
	v_cmp_ngt_f32_e64 s[2:3], s40, v9
	v_cndmask_b32_e64 v8, v8, v47, s[10:11]
	s_nop 0
	v_cndmask_b32_e64 v13, 0, v13, s[2:3]
	v_cmp_nlt_f32_e64 s[2:3], s42, v9
	v_mov_b32_e32 v9, s41
	s_nop 0
	v_cndmask_b32_e64 v48, v18, v13, s[2:3]
	v_ldexp_f32 v13, v17, v19
	v_ashrrev_i32_e32 v17, 31, v16
	v_lshl_add_u64 v[16:17], v[16:17], 2, s[36:37]
	v_lshl_add_u64 v[16:17], v[16:17], 0, v[40:41]
	v_cndmask_b32_e64 v17, v23, v17, s[28:29]
	v_cndmask_b32_e64 v16, v54, v16, s[28:29]
	flat_load_dwordx4 v[28:31], v[16:17]
	v_mul_f32_e32 v16, 0x3fb8aa3b, v3
	v_fma_f32 v17, v3, s45, -v16
	v_rndne_f32_e32 v19, v16
	v_fmac_f32_e32 v17, 0x32a5705f, v3
	v_sub_f32_e32 v16, v16, v19
	v_add_f32_e32 v16, v16, v17
	v_exp_f32_e32 v16, v16
	v_cvt_i32_f32_e32 v17, v19
	v_cmp_ngt_f32_e64 s[2:3], s40, v2
	v_cndmask_b32_e64 v9, v9, v48, s[4:5]
	s_waitcnt vmcnt(0) lgkmcnt(0)
	ds_write_b128 v49, v[28:31]
	v_cndmask_b32_e64 v13, 0, v13, s[2:3]
	v_cmp_nlt_f32_e64 s[2:3], s42, v2
	s_waitcnt lgkmcnt(0)
	s_barrier
	v_cndmask_b32_e64 v40, v18, v13, s[2:3]
	v_ldexp_f32 v13, v16, v17
	v_mul_f32_e32 v16, 0x3fb8aa3b, v4
	v_fma_f32 v17, v4, s45, -v16
	v_rndne_f32_e32 v19, v16
	v_fmac_f32_e32 v17, 0x32a5705f, v4
	v_sub_f32_e32 v16, v16, v19
	v_add_f32_e32 v16, v16, v17
	v_exp_f32_e32 v16, v16
	v_cvt_i32_f32_e32 v17, v19
	v_cmp_ngt_f32_e64 s[2:3], s40, v3
	v_mov_b32_e32 v2, s41
	s_nop 0
	v_cndmask_b32_e64 v13, 0, v13, s[2:3]
	v_cmp_nlt_f32_e64 s[2:3], s42, v3
	v_mov_b32_e32 v3, s41
	v_cndmask_b32_e64 v2, v2, v40, s[6:7]
	v_cndmask_b32_e64 v41, v18, v13, s[2:3]
	v_ldexp_f32 v13, v16, v17
	v_cmp_ngt_f32_e64 s[2:3], s40, v4
	v_sub_f32_e32 v17, v39, v26
	v_cndmask_b32_e64 v3, v3, v41, s[38:39]
	v_cndmask_b32_e64 v13, 0, v13, s[2:3]
	v_cmp_nlt_f32_e64 s[2:3], s42, v4
	v_mul_f32_e32 v4, 0x3fb8aa3b, v5
	v_rndne_f32_e32 v16, v4
	v_cndmask_b32_e64 v44, v18, v13, s[2:3]
	v_fma_f32 v13, v5, s45, -v4
	v_fmac_f32_e32 v13, 0x32a5705f, v5
	v_sub_f32_e32 v4, v4, v16
	v_add_f32_e32 v4, v4, v13
	v_exp_f32_e32 v13, v4
	v_mul_f32_e32 v4, 0x3fb8aa3b, v17
	v_fma_f32 v19, v17, s45, -v4
	v_rndne_f32_e32 v23, v4
	v_fmac_f32_e32 v19, 0x32a5705f, v17
	v_sub_f32_e32 v4, v4, v23
	v_add_f32_e32 v4, v4, v19
	v_cvt_i32_f32_e32 v16, v16
	v_exp_f32_e32 v19, v4
	v_cvt_i32_f32_e32 v23, v23
	v_cmp_ngt_f32_e64 s[2:3], s40, v17
	v_ldexp_f32 v13, v13, v16
	v_mov_b32_e32 v4, s41
	v_ldexp_f32 v16, v19, v23
	v_cndmask_b32_e64 v16, 0, v16, s[2:3]
	v_cmp_nlt_f32_e64 s[2:3], s42, v17
	v_cndmask_b32_e32 v4, v4, v44, vcc
	s_nop 0
	v_cndmask_b32_e64 v16, v18, v16, s[2:3]
	s_mov_b32 s2, 0xc1a00000
	v_cmp_le_f32_e64 s[2:3], s2, v17
	v_or_b32_e32 v17, 3, v112
	v_mul_u32_u24_e32 v17, 0xd0, v17
	v_cndmask_b32_e64 v39, 0, v16, s[2:3]
	v_cvt_f16_f32_e32 v16, v39
	v_cmp_ngt_f32_e64 s[2:3], s40, v5
	v_add3_u32 v52, 0, v17, v111
	v_mul_u32_u24_e32 v51, 0x10001, v16
	v_cndmask_b32_e64 v13, 0, v13, s[2:3]
	v_cmp_nlt_f32_e64 s[2:3], s42, v5
	v_or_b32_e32 v16, 2, v112
	v_mul_u32_u24_e32 v16, 0xd0, v16
	v_cndmask_b32_e64 v50, v18, v13, s[2:3]
	v_and_b32_e32 v13, 0xfc, v112
	v_pk_mul_f16 v5, v120, v51
	v_mul_u32_u24_e32 v13, 0xd0, v13
	v_add3_u32 v49, 0, v16, v111
	v_add3_u32 v13, 0, v13, v111
	v_cvt_f32_f16_e32 v16, v5
	v_cvt_f32_f16_sdwa v17, v5 dst_sel:DWORD dst_unused:UNUSED_PAD src0_sel:WORD_1
	s_mov_b32 s2, 0x5040100
	ds_read_u16 v5, v49
	ds_read_u16 v53, v49 offset:32
	ds_read_u16 v25, v49 offset:3328
	;; [unrolled: 1-line block ×7, first 2 shown]
	ds_read_u16 v23, v52
	ds_read_u16 v59, v52 offset:32
	ds_read_u16 v30, v52 offset:3328
	;; [unrolled: 1-line block ×7, first 2 shown]
	v_pk_mul_f16 v19, v119, v51
	s_waitcnt lgkmcnt(7)
	v_perm_b32 v29, v23, v5, s2
	ds_read_u16 v5, v13 offset:208
	ds_read_u16 v23, v13
	ds_read_u16 v65, v13 offset:32
	ds_read_u16 v66, v13 offset:240
	;; [unrolled: 1-line block ×6, first 2 shown]
	s_waitcnt lgkmcnt(6)
	v_perm_b32 v28, v5, v23, s2
	v_cvt_f32_f16_e32 v18, v19
	v_cvt_f32_f16_sdwa v19, v19 dst_sel:DWORD dst_unused:UNUSED_PAD src0_sel:WORD_1
	v_cvt_pk_f16_f32 v23, v14, v22
	v_cvt_pk_f16_f32 v22, v0, v1
	v_mov_b32_e32 v5, s41
	v_pk_mul_f16 v110, v110, v51
	v_mfma_f32_16x16x16_f16 v[16:19], v[28:29], v[22:23], v[16:19]
	v_perm_b32 v29, v30, v25, s2
	v_cvt_pk_f16_f32 v30, v2, v3
	s_nop 5
	v_cvt_f16_f32_e32 v1, v16
	v_cvt_f16_f32_e32 v14, v17
	;; [unrolled: 1-line block ×4, first 2 shown]
	v_cvt_f32_f16_e32 v16, v1
	v_cvt_f32_f16_e32 v17, v14
	ds_read_u16 v1, v13 offset:3328
	ds_read_u16 v14, v13 offset:3360
	;; [unrolled: 1-line block ×12, first 2 shown]
	s_waitcnt lgkmcnt(6)
	v_perm_b32 v28, v25, v1, s2
	v_cvt_f32_f16_e32 v18, v18
	v_cvt_f32_f16_e32 v19, v19
	v_cvt_pk_f16_f32 v25, v12, v24
	v_cvt_pk_f16_f32 v24, v10, v11
	v_cndmask_b32_e64 v1, v5, v50, s[0:1]
	v_cvt_pk_f16_f32 v31, v4, v1
	v_mfma_f32_16x16x16_f16 v[16:19], v[28:29], v[24:25], v[16:19]
	v_cvt_pk_f16_f32 v29, v8, v9
	v_cvt_pk_f16_f32 v28, v6, v7
	s_nop 5
	v_cvt_f16_f32_e32 v5, v16
	v_cvt_f16_f32_e32 v10, v17
	;; [unrolled: 1-line block ×4, first 2 shown]
	v_cvt_f32_f16_e32 v16, v5
	v_cvt_f32_f16_e32 v17, v10
	ds_read_u16 v5, v49 offset:6656
	ds_read_u16 v80, v49 offset:6688
	;; [unrolled: 1-line block ×10, first 2 shown]
	v_cvt_f32_f16_e32 v18, v11
	s_waitcnt lgkmcnt(4)
	v_perm_b32 v11, v10, v5, s2
	ds_read_u16 v5, v13 offset:6656
	ds_read_u16 v10, v13 offset:6864
	;; [unrolled: 1-line block ×8, first 2 shown]
	s_waitcnt lgkmcnt(6)
	v_perm_b32 v10, v10, v5, s2
	v_cvt_f32_f16_e32 v19, v12
	v_pk_mul_f16 v12, v113, v51
	s_nop 0
	v_mfma_f32_16x16x16_f16 v[6:9], v[10:11], v[28:29], v[16:19]
	s_nop 7
	v_cvt_f16_f32_e32 v5, v6
	v_cvt_f16_f32_e32 v7, v7
	;; [unrolled: 1-line block ×4, first 2 shown]
	v_cvt_f32_f16_e32 v6, v5
	ds_read_u16 v5, v49 offset:9984
	ds_read_u16 v16, v49 offset:10016
	;; [unrolled: 1-line block ×14, first 2 shown]
	s_waitcnt lgkmcnt(6)
	v_perm_b32 v11, v10, v5, s2
	ds_read_u16 v5, v13 offset:9984
	ds_read_u16 v18, v13 offset:10016
	;; [unrolled: 1-line block ×12, first 2 shown]
	s_waitcnt lgkmcnt(6)
	v_perm_b32 v10, v10, v5, s2
	v_cvt_f32_f16_e32 v7, v7
	v_cvt_f32_f16_e32 v8, v8
	;; [unrolled: 1-line block ×3, first 2 shown]
	s_nop 1
	v_mfma_f32_16x16x16_f16 v[2:5], v[10:11], v[30:31], v[6:9]
	v_perm_b32 v11, v59, v53, s2
	v_perm_b32 v10, v66, v65, s2
	s_nop 0
	v_cvt_f32_f16_e32 v6, v12
	v_cvt_f32_f16_sdwa v7, v12 dst_sel:DWORD dst_unused:UNUSED_PAD src0_sel:WORD_1
	v_cvt_f32_f16_e32 v8, v110
	v_cvt_f32_f16_sdwa v9, v110 dst_sel:DWORD dst_unused:UNUSED_PAD src0_sel:WORD_1
	s_nop 1
	v_mfma_f32_16x16x16_f16 v[6:9], v[10:11], v[22:23], v[6:9]
	v_perm_b32 v11, v60, v54, s2
	v_perm_b32 v10, v74, v14, s2
	v_pk_mul_f16 v14, v109, v51
	v_pk_mul_f16 v74, v106, v51
	s_nop 3
	v_cvt_f16_f32_e32 v1, v6
	v_cvt_f16_f32_e32 v7, v7
	;; [unrolled: 1-line block ×4, first 2 shown]
	v_cvt_f32_f16_e32 v6, v1
	v_cvt_f32_f16_e32 v7, v7
	;; [unrolled: 1-line block ×4, first 2 shown]
	s_nop 1
	v_mfma_f32_16x16x16_f16 v[6:9], v[10:11], v[24:25], v[6:9]
	v_perm_b32 v11, v84, v80, s2
	v_perm_b32 v10, v89, v88, s2
	s_nop 5
	v_cvt_f16_f32_e32 v1, v6
	v_cvt_f16_f32_e32 v7, v7
	;; [unrolled: 1-line block ×4, first 2 shown]
	v_cvt_f32_f16_e32 v6, v1
	v_cvt_f32_f16_e32 v7, v7
	;; [unrolled: 1-line block ×4, first 2 shown]
	ds_read_u16 v1, v13 offset:272
	ds_read_u16 v53, v13 offset:304
	;; [unrolled: 1-line block ×4, first 2 shown]
	v_mfma_f32_16x16x16_f16 v[6:9], v[10:11], v[28:29], v[6:9]
	v_perm_b32 v11, v17, v16, s2
	s_waitcnt lgkmcnt(9)
	v_perm_b32 v10, v19, v18, s2
	v_pk_mul_f16 v19, v108, v51
	s_nop 3
	v_cvt_f16_f32_e32 v6, v6
	v_cvt_f16_f32_e32 v7, v7
	;; [unrolled: 1-line block ×4, first 2 shown]
	v_cvt_f32_f16_e32 v6, v6
	v_cvt_f32_f16_e32 v7, v7
	;; [unrolled: 1-line block ×5, first 2 shown]
	v_cvt_f32_f16_sdwa v17, v14 dst_sel:DWORD dst_unused:UNUSED_PAD src0_sel:WORD_1
	v_mfma_f32_16x16x16_f16 v[6:9], v[10:11], v[30:31], v[6:9]
	v_perm_b32 v11, v61, v55, s2
	s_waitcnt lgkmcnt(3)
	v_perm_b32 v10, v1, v67, s2
	v_cvt_f32_f16_e32 v18, v19
	v_cvt_f32_f16_sdwa v19, v19 dst_sel:DWORD dst_unused:UNUSED_PAD src0_sel:WORD_1
	ds_read_u16 v12, v49 offset:3392
	ds_read_u16 v60, v49 offset:3424
	;; [unrolled: 1-line block ×3, first 2 shown]
	v_mfma_f32_16x16x16_f16 v[16:19], v[10:11], v[22:23], v[16:19]
	ds_read_u16 v1, v52 offset:3392
	ds_read_u16 v55, v52 offset:3424
	;; [unrolled: 1-line block ×3, first 2 shown]
	s_nop 4
	v_cvt_f16_f32_e32 v10, v16
	v_cvt_f16_f32_e32 v11, v17
	;; [unrolled: 1-line block ×4, first 2 shown]
	v_cvt_f32_f16_e32 v16, v10
	v_cvt_f32_f16_e32 v17, v11
	s_waitcnt lgkmcnt(2)
	v_perm_b32 v11, v1, v12, s2
	v_perm_b32 v10, v75, v71, s2
	v_cvt_f32_f16_e32 v18, v14
	v_cvt_f32_f16_e32 v19, v19
	ds_read_u16 v1, v13 offset:6928
	ds_read_u16 v66, v13 offset:6960
	;; [unrolled: 1-line block ×3, first 2 shown]
	v_mfma_f32_16x16x16_f16 v[16:19], v[10:11], v[24:25], v[16:19]
	ds_read_u16 v49, v49 offset:6784
	ds_read_u16 v52, v52 offset:6784
	;; [unrolled: 1-line block ×3, first 2 shown]
	s_waitcnt lgkmcnt(0)
	s_barrier
	s_nop 2
	v_cvt_f16_f32_e32 v10, v16
	v_cvt_f16_f32_e32 v11, v17
	;; [unrolled: 1-line block ×4, first 2 shown]
	v_cvt_f32_f16_e32 v16, v10
	v_cvt_f32_f16_e32 v17, v11
	v_perm_b32 v11, v85, v81, s2
	v_perm_b32 v10, v1, v90, s2
	v_cvt_f32_f16_e32 v18, v12
	v_cvt_f32_f16_e32 v19, v14
	s_nop 1
	v_mfma_f32_16x16x16_f16 v[10:13], v[10:11], v[28:29], v[16:19]
	s_barrier
	s_nop 1
	v_perm_b32 v17, v119, v113, s2
	v_perm_b32 v16, v127, v124, s2
	s_nop 2
	v_cvt_f16_f32_e32 v1, v10
	v_cvt_f16_f32_e32 v11, v11
	;; [unrolled: 1-line block ×4, first 2 shown]
	v_cvt_f32_f16_e32 v10, v1
	v_cvt_f32_f16_e32 v11, v11
	;; [unrolled: 1-line block ×4, first 2 shown]
	v_add_f32_e32 v1, v15, v0
	v_pk_mul_f16 v15, v107, v51
	v_perm_b32 v19, v62, v56, s2
	v_perm_b32 v18, v53, v68, s2
	v_mfma_f32_16x16x16_f16 v[10:13], v[16:17], v[30:31], v[10:13]
	v_cvt_f32_f16_e32 v14, v15
	v_cvt_f32_f16_sdwa v15, v15 dst_sel:DWORD dst_unused:UNUSED_PAD src0_sel:WORD_1
	v_cvt_f32_f16_e32 v16, v74
	v_cvt_f32_f16_sdwa v17, v74 dst_sel:DWORD dst_unused:UNUSED_PAD src0_sel:WORD_1
	v_cndmask_b32_e64 v0, v0, v1, s[24:25]
	v_add_f32_e32 v1, v0, v20
	v_mfma_f32_16x16x16_f16 v[14:17], v[18:19], v[22:23], v[14:17]
	v_cndmask_b32_e64 v20, v0, v1, s[26:27]
	v_add_f32_e32 v18, v20, v21
	v_cndmask_b32_e64 v18, v20, v18, s[22:23]
	v_add_f32_e32 v19, v33, v18
	s_nop 3
	v_cvt_f16_f32_e32 v0, v14
	v_cvt_f16_f32_e32 v1, v15
	;; [unrolled: 1-line block ×4, first 2 shown]
	v_cvt_f32_f16_e32 v14, v0
	v_cvt_f32_f16_e32 v15, v1
	v_perm_b32 v1, v55, v60, s2
	v_perm_b32 v0, v76, v72, s2
	v_cvt_f32_f16_e32 v16, v16
	v_cvt_f32_f16_e32 v17, v17
	v_cndmask_b32_e64 v18, v18, v19, s[18:19]
	v_add_f32_e32 v19, v38, v18
	v_mfma_f32_16x16x16_f16 v[14:17], v[0:1], v[24:25], v[14:17]
	v_cndmask_b32_e64 v33, v18, v19, s[20:21]
	v_pk_mul_f16 v19, v105, v51
	v_pk_mul_f16 v21, v104, v51
	v_cvt_f32_f16_e32 v18, v19
	s_nop 3
	v_cvt_f16_f32_e32 v0, v14
	v_cvt_f16_f32_e32 v1, v15
	;; [unrolled: 1-line block ×4, first 2 shown]
	v_cvt_f32_f16_e32 v14, v0
	v_cvt_f32_f16_e32 v15, v1
	v_perm_b32 v1, v86, v82, s2
	v_perm_b32 v0, v66, v111, s2
	v_cvt_f32_f16_e32 v16, v16
	v_cvt_f32_f16_e32 v17, v17
	v_cvt_f32_f16_sdwa v19, v19 dst_sel:DWORD dst_unused:UNUSED_PAD src0_sel:WORD_1
	v_cvt_f32_f16_e32 v20, v21
	v_mfma_f32_16x16x16_f16 v[14:17], v[0:1], v[28:29], v[14:17]
	v_cvt_f32_f16_sdwa v21, v21 dst_sel:DWORD dst_unused:UNUSED_PAD src0_sel:WORD_1
	v_add_f32_e32 v38, v42, v33
	v_cndmask_b32_e64 v33, v33, v38, s[14:15]
	v_add_f32_e32 v38, v43, v33
	s_nop 3
	v_cvt_f16_f32_e32 v0, v14
	v_cvt_f16_f32_e32 v1, v15
	;; [unrolled: 1-line block ×4, first 2 shown]
	v_cvt_f32_f16_e32 v14, v0
	v_cvt_f32_f16_e32 v15, v1
	v_perm_b32 v1, v120, v115, s2
	v_perm_b32 v0, v128, v125, s2
	v_cvt_f32_f16_e32 v16, v16
	v_cvt_f32_f16_e32 v17, v17
	v_cndmask_b32_e64 v33, v33, v38, s[16:17]
	v_add_f32_e32 v38, v45, v33
	v_mfma_f32_16x16x16_f16 v[14:17], v[0:1], v[30:31], v[14:17]
	v_perm_b32 v1, v63, v57, s2
	v_perm_b32 v0, v54, v69, s2
	v_cndmask_b32_e64 v33, v33, v38, s[12:13]
	v_add_f32_e32 v38, v46, v33
	v_mfma_f32_16x16x16_f16 v[18:21], v[0:1], v[22:23], v[18:21]
	v_cndmask_b32_e64 v33, v33, v38, s[8:9]
	v_add_f32_e32 v38, v47, v33
	v_cndmask_b32_e64 v33, v33, v38, s[10:11]
	s_nop 4
	v_cvt_f16_f32_e32 v0, v18
	v_cvt_f16_f32_e32 v1, v19
	;; [unrolled: 1-line block ×4, first 2 shown]
	v_cvt_f32_f16_e32 v18, v0
	v_cvt_f32_f16_e32 v19, v1
	v_perm_b32 v1, v61, v65, s2
	v_perm_b32 v0, v77, v59, s2
	v_cvt_f32_f16_e32 v20, v20
	v_cvt_f32_f16_e32 v21, v21
	v_pk_mul_f16 v42, v103, v51
	v_pk_mul_f16 v43, v102, v51
	v_mfma_f32_16x16x16_f16 v[18:21], v[0:1], v[24:25], v[18:21]
	v_add_f32_e32 v38, v48, v33
	v_cvt_f32_f16_e32 v46, v42
	v_cvt_f32_f16_sdwa v47, v42 dst_sel:DWORD dst_unused:UNUSED_PAD src0_sel:WORD_1
	v_cvt_f32_f16_e32 v48, v43
	s_nop 3
	v_cvt_f16_f32_e32 v0, v18
	v_cvt_f16_f32_e32 v1, v19
	;; [unrolled: 1-line block ×4, first 2 shown]
	v_cvt_f32_f16_e32 v18, v0
	v_cvt_f32_f16_e32 v19, v1
	v_perm_b32 v1, v52, v49, s2
	v_perm_b32 v0, v67, v112, s2
	v_cvt_f32_f16_e32 v20, v20
	v_cvt_f32_f16_e32 v21, v21
	v_cvt_f32_f16_sdwa v49, v43 dst_sel:DWORD dst_unused:UNUSED_PAD src0_sel:WORD_1
	v_cndmask_b32_e64 v33, v33, v38, s[4:5]
	v_mfma_f32_16x16x16_f16 v[18:21], v[0:1], v[28:29], v[18:21]
	v_add_f32_e32 v38, v40, v33
	v_cndmask_b32_e64 v33, v33, v38, s[6:7]
	s_nop 5
	v_cvt_f16_f32_e32 v0, v18
	v_cvt_f16_f32_e32 v1, v19
	;; [unrolled: 1-line block ×4, first 2 shown]
	v_cvt_f32_f16_e32 v18, v0
	v_cvt_f32_f16_e32 v19, v1
	v_perm_b32 v1, v121, v116, s2
	v_perm_b32 v0, v129, v71, s2
	v_cvt_f32_f16_e32 v20, v20
	v_cvt_f32_f16_e32 v21, v21
	s_nop 1
	v_mfma_f32_16x16x16_f16 v[18:21], v[0:1], v[30:31], v[18:21]
	v_perm_b32 v1, v64, v58, s2
	v_perm_b32 v0, v73, v70, s2
	s_nop 1
	v_mfma_f32_16x16x16_f16 v[46:49], v[0:1], v[22:23], v[46:49]
	s_nop 7
	v_cvt_f16_f32_e32 v0, v46
	v_cvt_f16_f32_e32 v1, v47
	;; [unrolled: 1-line block ×4, first 2 shown]
	v_cvt_f32_f16_e32 v46, v0
	v_cvt_f32_f16_e32 v47, v1
	v_perm_b32 v1, v87, v83, s2
	v_perm_b32 v0, v78, v79, s2
	v_cvt_f32_f16_e32 v48, v22
	v_cvt_f32_f16_e32 v49, v23
	v_add_f32_e32 v22, v41, v33
	v_cndmask_b32_e64 v33, v33, v22, s[38:39]
	v_mfma_f32_16x16x16_f16 v[22:25], v[0:1], v[24:25], v[46:49]
	v_add_f32_e32 v38, v44, v33
	v_cndmask_b32_e32 v33, v33, v38, vcc
	v_add_f32_e32 v38, v50, v33
	v_cndmask_b32_e64 v33, v33, v38, s[0:1]
	s_nop 3
	v_cvt_f16_f32_e32 v0, v22
	v_cvt_f16_f32_e32 v1, v23
	;; [unrolled: 1-line block ×4, first 2 shown]
	v_cvt_f32_f16_e32 v22, v0
	v_cvt_f32_f16_e32 v23, v1
	v_perm_b32 v1, v123, v118, s2
	v_perm_b32 v0, v126, v114, s2
	v_cvt_f32_f16_e32 v24, v24
	v_cvt_f32_f16_e32 v25, v25
	v_fmac_f32_e32 v33, v91, v39
	ds_bpermute_b32 v27, v27, v33
	v_mfma_f32_16x16x16_f16 v[22:25], v[0:1], v[28:29], v[22:25]
	v_cmp_gt_u32_e32 vcc, 16, v101
	s_nop 6
	v_cvt_f16_f32_e32 v0, v22
	v_cvt_f16_f32_e32 v1, v23
	v_cvt_f16_f32_e32 v24, v24
	v_cvt_f16_f32_e32 v25, v25
	v_cvt_f32_f16_e32 v22, v0
	v_cvt_f32_f16_e32 v23, v1
	v_perm_b32 v1, v122, v117, s2
	v_perm_b32 v0, v130, v131, s2
	v_cvt_f32_f16_e32 v24, v24
	v_cvt_f32_f16_e32 v25, v25
	s_movk_i32 s2, 0xd0
	s_nop 0
	v_mfma_f32_16x16x16_f16 v[22:25], v[0:1], v[30:31], v[22:25]
	s_waitcnt lgkmcnt(0)
	v_add_f32_e32 v0, v33, v27
	ds_bpermute_b32 v1, v32, v0
	s_and_saveexec_b64 s[0:1], vcc
	v_readlane_b32 s6, v254, 12
	s_cbranch_execz .LBB14_432
; %bb.431:
	v_readlane_b32 s3, v254, 15
	s_add_i32 s3, s3, s6
	s_lshl_b32 s40, s3, 6
	s_lshl_b64 s[4:5], s[40:41], 3
	s_add_u32 s4, s82, s4
	v_or_b32_e32 v27, v132, v101
	s_addc_u32 s5, s83, s5
	v_lshlrev_b32_e32 v28, 3, v27
	s_waitcnt lgkmcnt(0)
	v_add_f32_e32 v27, v0, v1
	global_store_dwordx2 v28, v[26:27], s[4:5]
.LBB14_432:
	s_or_b64 exec, exec, s[0:1]
	v_readlane_b32 s4, v254, 8
	v_readlane_b32 s5, v254, 9
	s_load_dword s3, s[4:5], 0x0
	s_load_dword s0, s[4:5], 0x10
	v_cvt_pk_f16_f32 v0, v4, v5
	v_cvt_pk_f16_f32 v4, v12, v13
	v_or_b32_e32 v12, v132, v36
	v_mul_u32_u24_e32 v12, 0xd0, v12
	s_waitcnt lgkmcnt(0)
	s_lshr_b32 s0, s0, 16
	s_cmp_lg_u32 s0, 0
	s_cselect_b64 s[0:1], -1, 0
	s_cmp_lg_u64 s[0:1], 0
	s_addc_u32 s0, s3, 0
	s_lshl_b32 s40, s0, 7
	v_cvt_pk_f16_f32 v1, v2, v3
	v_cvt_pk_f16_f32 v2, v8, v9
	v_add3_u32 v12, 0, v12, v37
	s_lshl_b64 s[0:1], s[40:41], 3
	v_cvt_pk_f16_f32 v3, v6, v7
	v_cvt_pk_f16_f32 v5, v10, v11
	;; [unrolled: 1-line block ×8, first 2 shown]
	s_add_u32 s3, s82, s0
	s_mul_i32 s40, s6, 0xc00
	ds_write2_b32 v12, v1, v0 offset1:1
	ds_write2_b32 v12, v3, v2 offset0:8 offset1:9
	ds_write2_b32 v12, v5, v4 offset0:16 offset1:17
	;; [unrolled: 1-line block ×5, first 2 shown]
	v_mad_u32_u24 v2, v35, s2, v92
	s_addc_u32 s4, s83, s1
	s_lshl_b64 s[0:1], s[40:41], 3
	v_add_u32_e32 v6, 0x80, v2
	s_add_u32 s0, s3, s0
	s_waitcnt lgkmcnt(0)
	s_barrier
	ds_read2st64_b32 v[0:1], v6 offset0:6 offset1:19
	v_and_b32_e32 v3, 15, v35
	s_movk_i32 s3, 0x1ff0
	v_and_or_b32 v4, v93, s3, v3
	v_and_or_b32 v5, v94, s3, v3
	;; [unrolled: 1-line block ×3, first 2 shown]
	v_and_b32_e32 v8, 15, v95
	s_movk_i32 s3, 0x3ff0
	v_and_or_b32 v9, v98, s3, v8
	v_and_or_b32 v10, v99, s3, v8
	;; [unrolled: 1-line block ×3, first 2 shown]
	v_mad_u32_u24 v3, v3, s2, v92
	v_mad_u32_u24 v7, v95, s2, v97
	;; [unrolled: 1-line block ×7, first 2 shown]
	ds_read_b32 v11, v2
	ds_read_b32 v12, v4
	;; [unrolled: 1-line block ×4, first 2 shown]
	ds_read_b32 v7, v7 offset:128
	ds_read_b32 v9, v9 offset:128
	;; [unrolled: 1-line block ×4, first 2 shown]
	s_waitcnt lgkmcnt(7)
	v_cvt_f32_f16_e32 v2, v11
	v_cvt_f32_f16_sdwa v3, v11 dst_sel:DWORD dst_unused:UNUSED_PAD src0_sel:WORD_1
	v_cvt_f32_f16_e32 v4, v0
	v_cvt_f32_f16_sdwa v5, v0 dst_sel:DWORD dst_unused:UNUSED_PAD src0_sel:WORD_1
	v_mul_u32_u24_e32 v11, 48, v35
	s_addc_u32 s1, s4, s1
	v_pk_add_f32 v[2:3], v[2:3], 0 op_sel_hi:[1,0]
	v_add_lshl_u32 v11, v11, v34, 3
	global_store_dwordx2 v11, v[2:3], s[0:1]
	v_pk_add_f32 v[2:3], v[4:5], 0 op_sel_hi:[1,0]
	global_store_dwordx2 v11, v[2:3], s[0:1] offset:3072
	s_waitcnt lgkmcnt(6)
	v_cvt_f32_f16_e32 v2, v12
	v_cvt_f32_f16_sdwa v3, v12 dst_sel:DWORD dst_unused:UNUSED_PAD src0_sel:WORD_1
	v_add_u32_e32 v4, 0x1800, v11
	v_cvt_f32_f16_e32 v0, v1
	v_cvt_f32_f16_sdwa v1, v1 dst_sel:DWORD dst_unused:UNUSED_PAD src0_sel:WORD_1
	v_pk_add_f32 v[2:3], v[2:3], 0 op_sel_hi:[1,0]
	global_store_dwordx2 v4, v[2:3], s[0:1]
	ds_read2st64_b32 v[2:3], v6 offset0:32 offset1:45
	v_add_u32_e32 v4, 0x2400, v11
	v_pk_add_f32 v[0:1], v[0:1], 0 op_sel_hi:[1,0]
	global_store_dwordx2 v4, v[0:1], s[0:1]
	s_waitcnt lgkmcnt(6)
	v_cvt_f32_f16_e32 v0, v13
	v_cvt_f32_f16_sdwa v1, v13 dst_sel:DWORD dst_unused:UNUSED_PAD src0_sel:WORD_1
	s_waitcnt lgkmcnt(0)
	v_cvt_f32_f16_e32 v4, v2
	v_cvt_f32_f16_sdwa v5, v2 dst_sel:DWORD dst_unused:UNUSED_PAD src0_sel:WORD_1
	v_add_u32_e32 v6, 0x3000, v11
	v_pk_add_f32 v[0:1], v[0:1], 0 op_sel_hi:[1,0]
	global_store_dwordx2 v6, v[0:1], s[0:1]
	v_add_u32_e32 v2, 0x3c00, v11
	v_pk_add_f32 v[0:1], v[4:5], 0 op_sel_hi:[1,0]
	global_store_dwordx2 v2, v[0:1], s[0:1]
	v_cvt_f32_f16_e32 v0, v14
	v_cvt_f32_f16_sdwa v1, v14 dst_sel:DWORD dst_unused:UNUSED_PAD src0_sel:WORD_1
	v_cvt_f32_f16_e32 v2, v3
	v_cvt_f32_f16_sdwa v3, v3 dst_sel:DWORD dst_unused:UNUSED_PAD src0_sel:WORD_1
	v_add_u32_e32 v4, 0x4800, v11
	v_pk_add_f32 v[0:1], v[0:1], 0 op_sel_hi:[1,0]
	global_store_dwordx2 v4, v[0:1], s[0:1]
	v_pk_add_f32 v[0:1], v[2:3], 0 op_sel_hi:[1,0]
	v_cvt_f32_f16_e32 v2, v7
	v_cvt_f32_f16_sdwa v3, v7 dst_sel:DWORD dst_unused:UNUSED_PAD src0_sel:WORD_1
	v_add_u32_e32 v4, 0x5400, v11
	global_store_dwordx2 v4, v[0:1], s[0:1]
	v_mul_u32_u24_e32 v0, 48, v95
	v_or_b32_e32 v4, v0, v36
	v_pk_add_f32 v[0:1], v[2:3], 0 op_sel_hi:[1,0]
	v_cvt_f32_f16_e32 v2, v9
	v_cvt_f32_f16_sdwa v3, v9 dst_sel:DWORD dst_unused:UNUSED_PAD src0_sel:WORD_1
	v_lshlrev_b32_e32 v4, 3, v4
	global_store_dwordx2 v4, v[0:1], s[0:1] offset:256
	v_add_u32_e32 v5, 0x1800, v4
	v_pk_add_f32 v[0:1], v[2:3], 0 op_sel_hi:[1,0]
	global_store_dwordx2 v5, v[0:1], s[0:1] offset:256
	v_cvt_f32_f16_e32 v0, v10
	v_cvt_f32_f16_sdwa v1, v10 dst_sel:DWORD dst_unused:UNUSED_PAD src0_sel:WORD_1
	v_cvt_f32_f16_e32 v2, v8
	v_cvt_f32_f16_sdwa v3, v8 dst_sel:DWORD dst_unused:UNUSED_PAD src0_sel:WORD_1
	v_add_u32_e32 v5, 0x3000, v4
	v_pk_add_f32 v[0:1], v[0:1], 0 op_sel_hi:[1,0]
	global_store_dwordx2 v5, v[0:1], s[0:1] offset:256
	v_add_u32_e32 v4, 0x4800, v4
	v_pk_add_f32 v[0:1], v[2:3], 0 op_sel_hi:[1,0]
	global_store_dwordx2 v4, v[0:1], s[0:1] offset:256
.LBB14_433:
	s_endpgm
.LBB14_434:
                                        ; implicit-def: $vgpr14_vgpr15_vgpr16_vgpr17
                                        ; implicit-def: $vgpr10_vgpr11_vgpr12_vgpr13
                                        ; implicit-def: $vgpr6_vgpr7_vgpr8_vgpr9
                                        ; implicit-def: $vgpr2_vgpr3_vgpr4_vgpr5
                                        ; implicit-def: $vgpr48
                                        ; implicit-def: $vgpr56
                                        ; implicit-def: $vgpr46
                                        ; implicit-def: $vgpr57
                                        ; implicit-def: $vgpr52
                                        ; implicit-def: $vgpr54
	v_add_u32_e32 v41, 0x80, v43
	v_add_u32_e32 v49, 0x1a00, v44
	s_branch .LBB14_429
	.section	.rodata,"a",@progbits
	.p2align	6, 0x0
	.amdhsa_kernel _ZL18flash_attn_ext_f16ILi96ELi96ELi64ELi1ELb0ELb0EEvPKcS1_S1_S1_S1_PKiPfP15HIP_vector_typeIfLj2EEffffjfiS5_IjLj3EEiiiiiiiiiiiliiliiiiil
		.amdhsa_group_segment_fixed_size 0
		.amdhsa_private_segment_fixed_size 176
		.amdhsa_kernarg_size 464
		.amdhsa_user_sgpr_count 2
		.amdhsa_user_sgpr_dispatch_ptr 0
		.amdhsa_user_sgpr_queue_ptr 0
		.amdhsa_user_sgpr_kernarg_segment_ptr 1
		.amdhsa_user_sgpr_dispatch_id 0
		.amdhsa_user_sgpr_kernarg_preload_length 0
		.amdhsa_user_sgpr_kernarg_preload_offset 0
		.amdhsa_user_sgpr_private_segment_size 0
		.amdhsa_uses_dynamic_stack 0
		.amdhsa_enable_private_segment 1
		.amdhsa_system_sgpr_workgroup_id_x 1
		.amdhsa_system_sgpr_workgroup_id_y 0
		.amdhsa_system_sgpr_workgroup_id_z 0
		.amdhsa_system_sgpr_workgroup_info 0
		.amdhsa_system_vgpr_workitem_id 1
		.amdhsa_next_free_vgpr 256
		.amdhsa_next_free_sgpr 100
		.amdhsa_accum_offset 256
		.amdhsa_reserve_vcc 1
		.amdhsa_float_round_mode_32 0
		.amdhsa_float_round_mode_16_64 0
		.amdhsa_float_denorm_mode_32 3
		.amdhsa_float_denorm_mode_16_64 3
		.amdhsa_dx10_clamp 1
		.amdhsa_ieee_mode 1
		.amdhsa_fp16_overflow 0
		.amdhsa_tg_split 0
		.amdhsa_exception_fp_ieee_invalid_op 0
		.amdhsa_exception_fp_denorm_src 0
		.amdhsa_exception_fp_ieee_div_zero 0
		.amdhsa_exception_fp_ieee_overflow 0
		.amdhsa_exception_fp_ieee_underflow 0
		.amdhsa_exception_fp_ieee_inexact 0
		.amdhsa_exception_int_div_zero 0
	.end_amdhsa_kernel
	.section	.text._ZL18flash_attn_ext_f16ILi96ELi96ELi64ELi1ELb0ELb0EEvPKcS1_S1_S1_S1_PKiPfP15HIP_vector_typeIfLj2EEffffjfiS5_IjLj3EEiiiiiiiiiiiliiliiiiil,"axG",@progbits,_ZL18flash_attn_ext_f16ILi96ELi96ELi64ELi1ELb0ELb0EEvPKcS1_S1_S1_S1_PKiPfP15HIP_vector_typeIfLj2EEffffjfiS5_IjLj3EEiiiiiiiiiiiliiliiiiil,comdat
.Lfunc_end14:
	.size	_ZL18flash_attn_ext_f16ILi96ELi96ELi64ELi1ELb0ELb0EEvPKcS1_S1_S1_S1_PKiPfP15HIP_vector_typeIfLj2EEffffjfiS5_IjLj3EEiiiiiiiiiiiliiliiiiil, .Lfunc_end14-_ZL18flash_attn_ext_f16ILi96ELi96ELi64ELi1ELb0ELb0EEvPKcS1_S1_S1_S1_PKiPfP15HIP_vector_typeIfLj2EEffffjfiS5_IjLj3EEiiiiiiiiiiiliiliiiiil
                                        ; -- End function
	.set _ZL18flash_attn_ext_f16ILi96ELi96ELi64ELi1ELb0ELb0EEvPKcS1_S1_S1_S1_PKiPfP15HIP_vector_typeIfLj2EEffffjfiS5_IjLj3EEiiiiiiiiiiiliiliiiiil.num_vgpr, 256
	.set _ZL18flash_attn_ext_f16ILi96ELi96ELi64ELi1ELb0ELb0EEvPKcS1_S1_S1_S1_PKiPfP15HIP_vector_typeIfLj2EEffffjfiS5_IjLj3EEiiiiiiiiiiiliiliiiiil.num_agpr, 0
	.set _ZL18flash_attn_ext_f16ILi96ELi96ELi64ELi1ELb0ELb0EEvPKcS1_S1_S1_S1_PKiPfP15HIP_vector_typeIfLj2EEffffjfiS5_IjLj3EEiiiiiiiiiiiliiliiiiil.numbered_sgpr, 100
	.set _ZL18flash_attn_ext_f16ILi96ELi96ELi64ELi1ELb0ELb0EEvPKcS1_S1_S1_S1_PKiPfP15HIP_vector_typeIfLj2EEffffjfiS5_IjLj3EEiiiiiiiiiiiliiliiiiil.num_named_barrier, 0
	.set _ZL18flash_attn_ext_f16ILi96ELi96ELi64ELi1ELb0ELb0EEvPKcS1_S1_S1_S1_PKiPfP15HIP_vector_typeIfLj2EEffffjfiS5_IjLj3EEiiiiiiiiiiiliiliiiiil.private_seg_size, 176
	.set _ZL18flash_attn_ext_f16ILi96ELi96ELi64ELi1ELb0ELb0EEvPKcS1_S1_S1_S1_PKiPfP15HIP_vector_typeIfLj2EEffffjfiS5_IjLj3EEiiiiiiiiiiiliiliiiiil.uses_vcc, 1
	.set _ZL18flash_attn_ext_f16ILi96ELi96ELi64ELi1ELb0ELb0EEvPKcS1_S1_S1_S1_PKiPfP15HIP_vector_typeIfLj2EEffffjfiS5_IjLj3EEiiiiiiiiiiiliiliiiiil.uses_flat_scratch, 0
	.set _ZL18flash_attn_ext_f16ILi96ELi96ELi64ELi1ELb0ELb0EEvPKcS1_S1_S1_S1_PKiPfP15HIP_vector_typeIfLj2EEffffjfiS5_IjLj3EEiiiiiiiiiiiliiliiiiil.has_dyn_sized_stack, 0
	.set _ZL18flash_attn_ext_f16ILi96ELi96ELi64ELi1ELb0ELb0EEvPKcS1_S1_S1_S1_PKiPfP15HIP_vector_typeIfLj2EEffffjfiS5_IjLj3EEiiiiiiiiiiiliiliiiiil.has_recursion, 0
	.set _ZL18flash_attn_ext_f16ILi96ELi96ELi64ELi1ELb0ELb0EEvPKcS1_S1_S1_S1_PKiPfP15HIP_vector_typeIfLj2EEffffjfiS5_IjLj3EEiiiiiiiiiiiliiliiiiil.has_indirect_call, 0
	.section	.AMDGPU.csdata,"",@progbits
; Kernel info:
; codeLenInByte = 67940
; TotalNumSgprs: 106
; NumVgprs: 256
; NumAgprs: 0
; TotalNumVgprs: 256
; ScratchSize: 176
; MemoryBound: 0
; FloatMode: 240
; IeeeMode: 1
; LDSByteSize: 0 bytes/workgroup (compile time only)
; SGPRBlocks: 13
; VGPRBlocks: 31
; NumSGPRsForWavesPerEU: 106
; NumVGPRsForWavesPerEU: 256
; AccumOffset: 256
; Occupancy: 2
; WaveLimiterHint : 0
; COMPUTE_PGM_RSRC2:SCRATCH_EN: 1
; COMPUTE_PGM_RSRC2:USER_SGPR: 2
; COMPUTE_PGM_RSRC2:TRAP_HANDLER: 0
; COMPUTE_PGM_RSRC2:TGID_X_EN: 1
; COMPUTE_PGM_RSRC2:TGID_Y_EN: 0
; COMPUTE_PGM_RSRC2:TGID_Z_EN: 0
; COMPUTE_PGM_RSRC2:TIDIG_COMP_CNT: 1
; COMPUTE_PGM_RSRC3_GFX90A:ACCUM_OFFSET: 63
; COMPUTE_PGM_RSRC3_GFX90A:TG_SPLIT: 0
	.section	.text._ZL18flash_attn_ext_f16ILi96ELi96ELi64ELi1ELb1ELb0EEvPKcS1_S1_S1_S1_PKiPfP15HIP_vector_typeIfLj2EEffffjfiS5_IjLj3EEiiiiiiiiiiiliiliiiiil,"axG",@progbits,_ZL18flash_attn_ext_f16ILi96ELi96ELi64ELi1ELb1ELb0EEvPKcS1_S1_S1_S1_PKiPfP15HIP_vector_typeIfLj2EEffffjfiS5_IjLj3EEiiiiiiiiiiiliiliiiiil,comdat
	.globl	_ZL18flash_attn_ext_f16ILi96ELi96ELi64ELi1ELb1ELb0EEvPKcS1_S1_S1_S1_PKiPfP15HIP_vector_typeIfLj2EEffffjfiS5_IjLj3EEiiiiiiiiiiiliiliiiiil ; -- Begin function _ZL18flash_attn_ext_f16ILi96ELi96ELi64ELi1ELb1ELb0EEvPKcS1_S1_S1_S1_PKiPfP15HIP_vector_typeIfLj2EEffffjfiS5_IjLj3EEiiiiiiiiiiiliiliiiiil
	.p2align	8
	.type	_ZL18flash_attn_ext_f16ILi96ELi96ELi64ELi1ELb1ELb0EEvPKcS1_S1_S1_S1_PKiPfP15HIP_vector_typeIfLj2EEffffjfiS5_IjLj3EEiiiiiiiiiiiliiliiiiil,@function
_ZL18flash_attn_ext_f16ILi96ELi96ELi64ELi1ELb1ELb0EEvPKcS1_S1_S1_S1_PKiPfP15HIP_vector_typeIfLj2EEffffjfiS5_IjLj3EEiiiiiiiiiiiliiliiiiil: ; @_ZL18flash_attn_ext_f16ILi96ELi96ELi64ELi1ELb1ELb0EEvPKcS1_S1_S1_S1_PKiPfP15HIP_vector_typeIfLj2EEffffjfiS5_IjLj3EEiiiiiiiiiiiliiliiiiil
; %bb.0:
	s_add_u32 s8, s0, 0xd0
	s_addc_u32 s9, s1, 0
	s_getpc_b64 s[0:1]
	s_add_u32 s0, s0, _ZL14no_device_codePKciS0_iS0_@rel32@lo+4
	s_addc_u32 s1, s1, _ZL14no_device_codePKciS0_iS0_@rel32@hi+12
	s_mov_b32 s32, 0
	s_swappc_b64 s[30:31], s[0:1]
	.section	.rodata,"a",@progbits
	.p2align	6, 0x0
	.amdhsa_kernel _ZL18flash_attn_ext_f16ILi96ELi96ELi64ELi1ELb1ELb0EEvPKcS1_S1_S1_S1_PKiPfP15HIP_vector_typeIfLj2EEffffjfiS5_IjLj3EEiiiiiiiiiiiliiliiiiil
		.amdhsa_group_segment_fixed_size 0
		.amdhsa_private_segment_fixed_size 16
		.amdhsa_kernarg_size 464
		.amdhsa_user_sgpr_count 2
		.amdhsa_user_sgpr_dispatch_ptr 0
		.amdhsa_user_sgpr_queue_ptr 0
		.amdhsa_user_sgpr_kernarg_segment_ptr 1
		.amdhsa_user_sgpr_dispatch_id 0
		.amdhsa_user_sgpr_kernarg_preload_length 0
		.amdhsa_user_sgpr_kernarg_preload_offset 0
		.amdhsa_user_sgpr_private_segment_size 0
		.amdhsa_uses_dynamic_stack 0
		.amdhsa_enable_private_segment 1
		.amdhsa_system_sgpr_workgroup_id_x 1
		.amdhsa_system_sgpr_workgroup_id_y 0
		.amdhsa_system_sgpr_workgroup_id_z 0
		.amdhsa_system_sgpr_workgroup_info 0
		.amdhsa_system_vgpr_workitem_id 0
		.amdhsa_next_free_vgpr 50
		.amdhsa_next_free_sgpr 34
		.amdhsa_accum_offset 52
		.amdhsa_reserve_vcc 1
		.amdhsa_float_round_mode_32 0
		.amdhsa_float_round_mode_16_64 0
		.amdhsa_float_denorm_mode_32 3
		.amdhsa_float_denorm_mode_16_64 3
		.amdhsa_dx10_clamp 1
		.amdhsa_ieee_mode 1
		.amdhsa_fp16_overflow 0
		.amdhsa_tg_split 0
		.amdhsa_exception_fp_ieee_invalid_op 0
		.amdhsa_exception_fp_denorm_src 0
		.amdhsa_exception_fp_ieee_div_zero 0
		.amdhsa_exception_fp_ieee_overflow 0
		.amdhsa_exception_fp_ieee_underflow 0
		.amdhsa_exception_fp_ieee_inexact 0
		.amdhsa_exception_int_div_zero 0
	.end_amdhsa_kernel
	.section	.text._ZL18flash_attn_ext_f16ILi96ELi96ELi64ELi1ELb1ELb0EEvPKcS1_S1_S1_S1_PKiPfP15HIP_vector_typeIfLj2EEffffjfiS5_IjLj3EEiiiiiiiiiiiliiliiiiil,"axG",@progbits,_ZL18flash_attn_ext_f16ILi96ELi96ELi64ELi1ELb1ELb0EEvPKcS1_S1_S1_S1_PKiPfP15HIP_vector_typeIfLj2EEffffjfiS5_IjLj3EEiiiiiiiiiiiliiliiiiil,comdat
.Lfunc_end15:
	.size	_ZL18flash_attn_ext_f16ILi96ELi96ELi64ELi1ELb1ELb0EEvPKcS1_S1_S1_S1_PKiPfP15HIP_vector_typeIfLj2EEffffjfiS5_IjLj3EEiiiiiiiiiiiliiliiiiil, .Lfunc_end15-_ZL18flash_attn_ext_f16ILi96ELi96ELi64ELi1ELb1ELb0EEvPKcS1_S1_S1_S1_PKiPfP15HIP_vector_typeIfLj2EEffffjfiS5_IjLj3EEiiiiiiiiiiiliiliiiiil
                                        ; -- End function
	.set _ZL18flash_attn_ext_f16ILi96ELi96ELi64ELi1ELb1ELb0EEvPKcS1_S1_S1_S1_PKiPfP15HIP_vector_typeIfLj2EEffffjfiS5_IjLj3EEiiiiiiiiiiiliiliiiiil.num_vgpr, max(0, .L_ZL14no_device_codePKciS0_iS0_.num_vgpr)
	.set _ZL18flash_attn_ext_f16ILi96ELi96ELi64ELi1ELb1ELb0EEvPKcS1_S1_S1_S1_PKiPfP15HIP_vector_typeIfLj2EEffffjfiS5_IjLj3EEiiiiiiiiiiiliiliiiiil.num_agpr, max(0, .L_ZL14no_device_codePKciS0_iS0_.num_agpr)
	.set _ZL18flash_attn_ext_f16ILi96ELi96ELi64ELi1ELb1ELb0EEvPKcS1_S1_S1_S1_PKiPfP15HIP_vector_typeIfLj2EEffffjfiS5_IjLj3EEiiiiiiiiiiiliiliiiiil.numbered_sgpr, max(33, .L_ZL14no_device_codePKciS0_iS0_.numbered_sgpr)
	.set _ZL18flash_attn_ext_f16ILi96ELi96ELi64ELi1ELb1ELb0EEvPKcS1_S1_S1_S1_PKiPfP15HIP_vector_typeIfLj2EEffffjfiS5_IjLj3EEiiiiiiiiiiiliiliiiiil.num_named_barrier, max(0, .L_ZL14no_device_codePKciS0_iS0_.num_named_barrier)
	.set _ZL18flash_attn_ext_f16ILi96ELi96ELi64ELi1ELb1ELb0EEvPKcS1_S1_S1_S1_PKiPfP15HIP_vector_typeIfLj2EEffffjfiS5_IjLj3EEiiiiiiiiiiiliiliiiiil.private_seg_size, 0+max(.L_ZL14no_device_codePKciS0_iS0_.private_seg_size)
	.set _ZL18flash_attn_ext_f16ILi96ELi96ELi64ELi1ELb1ELb0EEvPKcS1_S1_S1_S1_PKiPfP15HIP_vector_typeIfLj2EEffffjfiS5_IjLj3EEiiiiiiiiiiiliiliiiiil.uses_vcc, or(1, .L_ZL14no_device_codePKciS0_iS0_.uses_vcc)
	.set _ZL18flash_attn_ext_f16ILi96ELi96ELi64ELi1ELb1ELb0EEvPKcS1_S1_S1_S1_PKiPfP15HIP_vector_typeIfLj2EEffffjfiS5_IjLj3EEiiiiiiiiiiiliiliiiiil.uses_flat_scratch, or(0, .L_ZL14no_device_codePKciS0_iS0_.uses_flat_scratch)
	.set _ZL18flash_attn_ext_f16ILi96ELi96ELi64ELi1ELb1ELb0EEvPKcS1_S1_S1_S1_PKiPfP15HIP_vector_typeIfLj2EEffffjfiS5_IjLj3EEiiiiiiiiiiiliiliiiiil.has_dyn_sized_stack, or(0, .L_ZL14no_device_codePKciS0_iS0_.has_dyn_sized_stack)
	.set _ZL18flash_attn_ext_f16ILi96ELi96ELi64ELi1ELb1ELb0EEvPKcS1_S1_S1_S1_PKiPfP15HIP_vector_typeIfLj2EEffffjfiS5_IjLj3EEiiiiiiiiiiiliiliiiiil.has_recursion, or(0, .L_ZL14no_device_codePKciS0_iS0_.has_recursion)
	.set _ZL18flash_attn_ext_f16ILi96ELi96ELi64ELi1ELb1ELb0EEvPKcS1_S1_S1_S1_PKiPfP15HIP_vector_typeIfLj2EEffffjfiS5_IjLj3EEiiiiiiiiiiiliiliiiiil.has_indirect_call, or(0, .L_ZL14no_device_codePKciS0_iS0_.has_indirect_call)
	.section	.AMDGPU.csdata,"",@progbits
; Kernel info:
; codeLenInByte = 40
; TotalNumSgprs: 40
; NumVgprs: 50
; NumAgprs: 0
; TotalNumVgprs: 50
; ScratchSize: 16
; MemoryBound: 0
; FloatMode: 240
; IeeeMode: 1
; LDSByteSize: 0 bytes/workgroup (compile time only)
; SGPRBlocks: 4
; VGPRBlocks: 6
; NumSGPRsForWavesPerEU: 40
; NumVGPRsForWavesPerEU: 50
; AccumOffset: 52
; Occupancy: 8
; WaveLimiterHint : 1
; COMPUTE_PGM_RSRC2:SCRATCH_EN: 1
; COMPUTE_PGM_RSRC2:USER_SGPR: 2
; COMPUTE_PGM_RSRC2:TRAP_HANDLER: 0
; COMPUTE_PGM_RSRC2:TGID_X_EN: 1
; COMPUTE_PGM_RSRC2:TGID_Y_EN: 0
; COMPUTE_PGM_RSRC2:TGID_Z_EN: 0
; COMPUTE_PGM_RSRC2:TIDIG_COMP_CNT: 0
; COMPUTE_PGM_RSRC3_GFX90A:ACCUM_OFFSET: 12
; COMPUTE_PGM_RSRC3_GFX90A:TG_SPLIT: 0
	.section	.text._ZL33flash_attn_stream_k_fixup_uniformILi96ELi64ELi1EEvPfPK15HIP_vector_typeIfLj2EEiiiiiiS1_IjLj3EES5_S5_,"axG",@progbits,_ZL33flash_attn_stream_k_fixup_uniformILi96ELi64ELi1EEvPfPK15HIP_vector_typeIfLj2EEiiiiiiS1_IjLj3EES5_S5_,comdat
	.globl	_ZL33flash_attn_stream_k_fixup_uniformILi96ELi64ELi1EEvPfPK15HIP_vector_typeIfLj2EEiiiiiiS1_IjLj3EES5_S5_ ; -- Begin function _ZL33flash_attn_stream_k_fixup_uniformILi96ELi64ELi1EEvPfPK15HIP_vector_typeIfLj2EEiiiiiiS1_IjLj3EES5_S5_
	.p2align	8
	.type	_ZL33flash_attn_stream_k_fixup_uniformILi96ELi64ELi1EEvPfPK15HIP_vector_typeIfLj2EEiiiiiiS1_IjLj3EES5_S5_,@function
_ZL33flash_attn_stream_k_fixup_uniformILi96ELi64ELi1EEvPfPK15HIP_vector_typeIfLj2EEiiiiiiS1_IjLj3EES5_S5_: ; @_ZL33flash_attn_stream_k_fixup_uniformILi96ELi64ELi1EEvPfPK15HIP_vector_typeIfLj2EEiiiiiiS1_IjLj3EES5_S5_
; %bb.0:
	s_load_dwordx8 s[8:15], s[0:1], 0x1c
	s_load_dwordx2 s[6:7], s[0:1], 0x10
	s_load_dwordx4 s[16:19], s[0:1], 0x3c
	s_waitcnt lgkmcnt(0)
	s_mul_hi_u32 s5, s11, s2
	s_add_i32 s5, s2, s5
	s_lshr_b32 s5, s5, s12
	s_mul_i32 s11, s5, s13
	s_sub_i32 s12, s2, s11
	s_mul_hi_u32 s11, s12, s14
	s_add_i32 s11, s12, s11
	s_lshr_b32 s11, s11, s15
	s_mul_i32 s13, s11, s16
	s_sub_i32 s12, s12, s13
	;; [unrolled: 5-line block ×3, first 2 shown]
	s_lshl_b32 s12, s17, 6
	s_add_i32 s12, s12, s3
	s_cmp_lt_i32 s12, s6
	s_cselect_b64 s[12:13], -1, 0
	s_add_i32 s16, s16, s4
	s_cmp_lt_i32 s16, s9
	s_cselect_b64 s[14:15], -1, 0
	s_and_b64 s[12:13], s[12:13], s[14:15]
	s_andn2_b64 vcc, exec, s[12:13]
	s_cbranch_vccnz .LBB16_6
; %bb.1:
	s_load_dwordx4 s[12:15], s[0:1], 0x0
	s_mul_i32 s0, s5, s6
	s_mul_i32 s11, s11, s9
	s_add_i32 s0, s0, s3
	s_mul_i32 s1, s7, s17
	s_mul_i32 s0, s0, s7
	s_add_i32 s5, s16, s11
	s_mulk_i32 s1, 0x1800
	s_add_i32 s0, s5, s0
	s_mulk_i32 s0, 0x60
	v_or_b32_e32 v1, s1, v0
	v_add_u32_e32 v4, s0, v1
	s_waitcnt lgkmcnt(0)
	v_mov_b32_e32 v2, s12
	v_mov_b32_e32 v3, s13
	v_ashrrev_i32_e32 v5, 31, v4
	v_lshl_add_u64 v[2:3], v[4:5], 2, v[2:3]
	global_load_dword v5, v[2:3], off
	s_mul_i32 s6, s10, s2
	s_add_i32 s7, s6, s10
	s_add_i32 s3, s3, s4
	s_lshl_b32 s0, s7, 6
	s_add_i32 s0, s3, s0
	s_sub_i32 s0, s0, 64
	s_ashr_i32 s1, s0, 31
	s_lshl_b64 s[0:1], s[0:1], 3
	s_add_u32 s0, s14, s0
	s_addc_u32 s1, s15, s1
	s_load_dword s9, s[0:1], 0x4
	s_add_i32 s4, s7, -2
	s_cmp_lt_i32 s4, s6
	s_cbranch_scc1 .LBB16_4
; %bb.2:
	s_lshl_b32 s4, s8, 8
	s_ashr_i32 s5, s4, 31
	s_lshl_b64 s[4:5], s[4:5], 2
	s_add_u32 s4, s14, s4
	s_addc_u32 s5, s15, s5
	s_load_dword s0, s[0:1], 0x0
	s_add_i32 s2, s2, 1
	s_mul_i32 s10, s10, s2
	s_mul_i32 s1, s3, 0x60
	s_lshl_b32 s2, s10, 6
	s_mulk_i32 s10, 0x1800
	s_add_i32 s2, s3, s2
	s_lshl_b32 s3, s8, 6
	s_add_i32 s1, s1, s10
	s_add_i32 s2, s2, s3
	v_add_u32_e32 v0, s1, v0
	s_add_i32 s7, s7, -1
	s_addk_i32 s2, 0xff80
	v_add_u32_e32 v0, 0xffffd000, v0
	s_waitcnt lgkmcnt(0)
	v_mov_b32_e32 v7, s0
	v_mov_b32_e32 v4, s9
	s_mov_b32 s8, 0x3fb8aa3b
	s_mov_b32 s9, 0xc2ce8ed0
	;; [unrolled: 1-line block ×3, first 2 shown]
	v_mov_b32_e32 v6, 0x7f800000
	s_mov_b32 s11, 0xc1a00000
.LBB16_3:                               ; =>This Inner Loop Header: Depth=1
	v_ashrrev_i32_e32 v1, 31, v0
	v_lshl_add_u64 v[8:9], v[0:1], 2, s[4:5]
	global_load_dword v9, v[8:9], off
	s_ashr_i32 s3, s2, 31
	s_lshl_b64 s[0:1], s[2:3], 3
	s_add_u32 s0, s14, s0
	s_addc_u32 s1, s15, s1
	s_load_dwordx2 s[0:1], s[0:1], 0x0
	v_max_f32_e32 v1, v7, v7
	s_add_i32 s7, s7, -1
	s_sub_i32 s2, s2, 64
	v_add_u32_e32 v0, 0xffffe800, v0
	s_waitcnt lgkmcnt(0)
	v_max_f32_e64 v10, s0, s0
	v_max_f32_e32 v1, v1, v10
	v_sub_f32_e32 v11, s0, v1
	v_sub_f32_e32 v10, v7, v1
	v_mul_f32_e32 v12, 0x3fb8aa3b, v11
	v_mov_b32_e32 v7, v1
	v_mul_f32_e32 v1, 0x3fb8aa3b, v10
	v_fma_f32 v15, v11, s8, -v12
	v_rndne_f32_e32 v16, v12
	v_fma_f32 v13, v10, s8, -v1
	v_rndne_f32_e32 v14, v1
	v_fmac_f32_e32 v15, 0x32a5705f, v11
	v_sub_f32_e32 v12, v12, v16
	v_fmac_f32_e32 v13, 0x32a5705f, v10
	v_sub_f32_e32 v1, v1, v14
	v_add_f32_e32 v12, v12, v15
	v_cvt_i32_f32_e32 v16, v16
	v_add_f32_e32 v1, v1, v13
	v_exp_f32_e32 v12, v12
	v_cvt_i32_f32_e32 v14, v14
	v_exp_f32_e32 v1, v1
	v_cmp_ngt_f32_e32 vcc, s9, v11
	v_ldexp_f32 v12, v12, v16
	v_mov_b32_e32 v8, s1
	v_ldexp_f32 v1, v1, v14
	v_cmp_ngt_f32_e64 s[0:1], s9, v10
	v_cndmask_b32_e32 v12, 0, v12, vcc
	v_cmp_nlt_f32_e32 vcc, s10, v11
	v_cndmask_b32_e64 v1, 0, v1, s[0:1]
	v_cmp_nlt_f32_e64 s[0:1], s10, v10
	v_cndmask_b32_e32 v12, v6, v12, vcc
	v_cmp_le_f32_e32 vcc, s11, v11
	v_cndmask_b32_e64 v1, v6, v1, s[0:1]
	v_cmp_le_f32_e64 s[0:1], s11, v10
	v_cndmask_b32_e32 v12, 0, v12, vcc
	s_cmp_le_i32 s7, s6
	v_cndmask_b32_e64 v10, 0, v1, s[0:1]
	s_waitcnt vmcnt(0)
	v_pk_mul_f32 v[8:9], v[8:9], v[12:13] op_sel_hi:[1,0]
	s_nop 0
	v_pk_fma_f32 v[4:5], v[4:5], v[10:11], v[8:9] op_sel_hi:[1,0,1]
	s_cbranch_scc0 .LBB16_3
	s_branch .LBB16_5
.LBB16_4:
	s_waitcnt lgkmcnt(0)
	v_mov_b32_e32 v4, s9
.LBB16_5:
	s_waitcnt vmcnt(0)
	v_div_scale_f32 v0, s[0:1], v4, v4, v5
	v_rcp_f32_e32 v1, v0
	v_div_scale_f32 v6, vcc, v5, v4, v5
	v_fma_f32 v7, -v0, v1, 1.0
	v_fmac_f32_e32 v1, v7, v1
	v_mul_f32_e32 v7, v6, v1
	v_fma_f32 v8, -v0, v7, v6
	v_fmac_f32_e32 v7, v8, v1
	v_fma_f32 v0, -v0, v7, v6
	v_div_fmas_f32 v0, v0, v1, v7
	v_div_fixup_f32 v0, v0, v4, v5
	global_store_dword v[2:3], v0, off
.LBB16_6:
	s_endpgm
	.section	.rodata,"a",@progbits
	.p2align	6, 0x0
	.amdhsa_kernel _ZL33flash_attn_stream_k_fixup_uniformILi96ELi64ELi1EEvPfPK15HIP_vector_typeIfLj2EEiiiiiiS1_IjLj3EES5_S5_
		.amdhsa_group_segment_fixed_size 0
		.amdhsa_private_segment_fixed_size 0
		.amdhsa_kernarg_size 76
		.amdhsa_user_sgpr_count 2
		.amdhsa_user_sgpr_dispatch_ptr 0
		.amdhsa_user_sgpr_queue_ptr 0
		.amdhsa_user_sgpr_kernarg_segment_ptr 1
		.amdhsa_user_sgpr_dispatch_id 0
		.amdhsa_user_sgpr_kernarg_preload_length 0
		.amdhsa_user_sgpr_kernarg_preload_offset 0
		.amdhsa_user_sgpr_private_segment_size 0
		.amdhsa_uses_dynamic_stack 0
		.amdhsa_enable_private_segment 0
		.amdhsa_system_sgpr_workgroup_id_x 1
		.amdhsa_system_sgpr_workgroup_id_y 1
		.amdhsa_system_sgpr_workgroup_id_z 1
		.amdhsa_system_sgpr_workgroup_info 0
		.amdhsa_system_vgpr_workitem_id 0
		.amdhsa_next_free_vgpr 17
		.amdhsa_next_free_sgpr 20
		.amdhsa_accum_offset 20
		.amdhsa_reserve_vcc 1
		.amdhsa_float_round_mode_32 0
		.amdhsa_float_round_mode_16_64 0
		.amdhsa_float_denorm_mode_32 3
		.amdhsa_float_denorm_mode_16_64 3
		.amdhsa_dx10_clamp 1
		.amdhsa_ieee_mode 1
		.amdhsa_fp16_overflow 0
		.amdhsa_tg_split 0
		.amdhsa_exception_fp_ieee_invalid_op 0
		.amdhsa_exception_fp_denorm_src 0
		.amdhsa_exception_fp_ieee_div_zero 0
		.amdhsa_exception_fp_ieee_overflow 0
		.amdhsa_exception_fp_ieee_underflow 0
		.amdhsa_exception_fp_ieee_inexact 0
		.amdhsa_exception_int_div_zero 0
	.end_amdhsa_kernel
	.section	.text._ZL33flash_attn_stream_k_fixup_uniformILi96ELi64ELi1EEvPfPK15HIP_vector_typeIfLj2EEiiiiiiS1_IjLj3EES5_S5_,"axG",@progbits,_ZL33flash_attn_stream_k_fixup_uniformILi96ELi64ELi1EEvPfPK15HIP_vector_typeIfLj2EEiiiiiiS1_IjLj3EES5_S5_,comdat
.Lfunc_end16:
	.size	_ZL33flash_attn_stream_k_fixup_uniformILi96ELi64ELi1EEvPfPK15HIP_vector_typeIfLj2EEiiiiiiS1_IjLj3EES5_S5_, .Lfunc_end16-_ZL33flash_attn_stream_k_fixup_uniformILi96ELi64ELi1EEvPfPK15HIP_vector_typeIfLj2EEiiiiiiS1_IjLj3EES5_S5_
                                        ; -- End function
	.set _ZL33flash_attn_stream_k_fixup_uniformILi96ELi64ELi1EEvPfPK15HIP_vector_typeIfLj2EEiiiiiiS1_IjLj3EES5_S5_.num_vgpr, 17
	.set _ZL33flash_attn_stream_k_fixup_uniformILi96ELi64ELi1EEvPfPK15HIP_vector_typeIfLj2EEiiiiiiS1_IjLj3EES5_S5_.num_agpr, 0
	.set _ZL33flash_attn_stream_k_fixup_uniformILi96ELi64ELi1EEvPfPK15HIP_vector_typeIfLj2EEiiiiiiS1_IjLj3EES5_S5_.numbered_sgpr, 20
	.set _ZL33flash_attn_stream_k_fixup_uniformILi96ELi64ELi1EEvPfPK15HIP_vector_typeIfLj2EEiiiiiiS1_IjLj3EES5_S5_.num_named_barrier, 0
	.set _ZL33flash_attn_stream_k_fixup_uniformILi96ELi64ELi1EEvPfPK15HIP_vector_typeIfLj2EEiiiiiiS1_IjLj3EES5_S5_.private_seg_size, 0
	.set _ZL33flash_attn_stream_k_fixup_uniformILi96ELi64ELi1EEvPfPK15HIP_vector_typeIfLj2EEiiiiiiS1_IjLj3EES5_S5_.uses_vcc, 1
	.set _ZL33flash_attn_stream_k_fixup_uniformILi96ELi64ELi1EEvPfPK15HIP_vector_typeIfLj2EEiiiiiiS1_IjLj3EES5_S5_.uses_flat_scratch, 0
	.set _ZL33flash_attn_stream_k_fixup_uniformILi96ELi64ELi1EEvPfPK15HIP_vector_typeIfLj2EEiiiiiiS1_IjLj3EES5_S5_.has_dyn_sized_stack, 0
	.set _ZL33flash_attn_stream_k_fixup_uniformILi96ELi64ELi1EEvPfPK15HIP_vector_typeIfLj2EEiiiiiiS1_IjLj3EES5_S5_.has_recursion, 0
	.set _ZL33flash_attn_stream_k_fixup_uniformILi96ELi64ELi1EEvPfPK15HIP_vector_typeIfLj2EEiiiiiiS1_IjLj3EES5_S5_.has_indirect_call, 0
	.section	.AMDGPU.csdata,"",@progbits
; Kernel info:
; codeLenInByte = 816
; TotalNumSgprs: 26
; NumVgprs: 17
; NumAgprs: 0
; TotalNumVgprs: 17
; ScratchSize: 0
; MemoryBound: 0
; FloatMode: 240
; IeeeMode: 1
; LDSByteSize: 0 bytes/workgroup (compile time only)
; SGPRBlocks: 3
; VGPRBlocks: 2
; NumSGPRsForWavesPerEU: 26
; NumVGPRsForWavesPerEU: 17
; AccumOffset: 20
; Occupancy: 8
; WaveLimiterHint : 0
; COMPUTE_PGM_RSRC2:SCRATCH_EN: 0
; COMPUTE_PGM_RSRC2:USER_SGPR: 2
; COMPUTE_PGM_RSRC2:TRAP_HANDLER: 0
; COMPUTE_PGM_RSRC2:TGID_X_EN: 1
; COMPUTE_PGM_RSRC2:TGID_Y_EN: 1
; COMPUTE_PGM_RSRC2:TGID_Z_EN: 1
; COMPUTE_PGM_RSRC2:TIDIG_COMP_CNT: 0
; COMPUTE_PGM_RSRC3_GFX90A:ACCUM_OFFSET: 4
; COMPUTE_PGM_RSRC3_GFX90A:TG_SPLIT: 0
	.section	.text._ZL33flash_attn_stream_k_fixup_generalILi96ELi64ELi1EEvPfPK15HIP_vector_typeIfLj2EEiiiiS1_IjLj3EES5_S5_S5_,"axG",@progbits,_ZL33flash_attn_stream_k_fixup_generalILi96ELi64ELi1EEvPfPK15HIP_vector_typeIfLj2EEiiiiS1_IjLj3EES5_S5_S5_,comdat
	.globl	_ZL33flash_attn_stream_k_fixup_generalILi96ELi64ELi1EEvPfPK15HIP_vector_typeIfLj2EEiiiiS1_IjLj3EES5_S5_S5_ ; -- Begin function _ZL33flash_attn_stream_k_fixup_generalILi96ELi64ELi1EEvPfPK15HIP_vector_typeIfLj2EEiiiiS1_IjLj3EES5_S5_S5_
	.p2align	8
	.type	_ZL33flash_attn_stream_k_fixup_generalILi96ELi64ELi1EEvPfPK15HIP_vector_typeIfLj2EEiiiiS1_IjLj3EES5_S5_S5_,@function
_ZL33flash_attn_stream_k_fixup_generalILi96ELi64ELi1EEvPfPK15HIP_vector_typeIfLj2EEiiiiS1_IjLj3EES5_S5_S5_: ; @_ZL33flash_attn_stream_k_fixup_generalILi96ELi64ELi1EEvPfPK15HIP_vector_typeIfLj2EEiiiiS1_IjLj3EES5_S5_S5_
; %bb.0:
	s_load_dwordx4 s[8:11], s[0:1], 0x10
	s_load_dword s22, s[0:1], 0x50
	s_mov_b32 s12, 0
	s_waitcnt lgkmcnt(0)
	s_mul_hi_i32 s13, s11, s2
	s_cmp_lg_u64 s[12:13], 0
	s_mul_i32 s5, s11, s2
	s_cbranch_scc0 .LBB17_20
; %bb.1:
	s_add_u32 s6, s22, 0
	s_addc_u32 s7, 0, 0
	s_xor_b64 s[6:7], s[6:7], 0
	v_cvt_f32_u32_e32 v1, s6
	v_cvt_f32_u32_e32 v2, s7
	s_sub_u32 s12, 0, s6
	s_subb_u32 s18, 0, s7
	v_fmamk_f32 v1, v2, 0x4f800000, v1
	v_rcp_f32_e32 v1, v1
	s_nop 0
	v_mul_f32_e32 v1, 0x5f7ffffc, v1
	v_mul_f32_e32 v2, 0x2f800000, v1
	v_trunc_f32_e32 v2, v2
	v_fmamk_f32 v1, v2, 0xcf800000, v1
	v_cvt_u32_f32_e32 v2, v2
	v_cvt_u32_f32_e32 v1, v1
	v_readfirstlane_b32 s19, v2
	v_readfirstlane_b32 s14, v1
	s_mul_i32 s15, s12, s19
	s_mul_hi_u32 s21, s12, s14
	s_mul_i32 s20, s18, s14
	s_add_i32 s15, s21, s15
	s_add_i32 s15, s15, s20
	s_mul_i32 s23, s12, s14
	s_mul_i32 s21, s14, s15
	s_mul_hi_u32 s24, s14, s23
	s_mul_hi_u32 s20, s14, s15
	s_add_u32 s21, s24, s21
	s_addc_u32 s20, 0, s20
	s_mul_hi_u32 s25, s19, s23
	s_mul_i32 s23, s19, s23
	s_add_u32 s21, s21, s23
	s_mul_hi_u32 s24, s19, s15
	s_addc_u32 s20, s20, s25
	s_addc_u32 s21, s24, 0
	s_mul_i32 s15, s19, s15
	s_add_u32 s15, s20, s15
	s_addc_u32 s20, 0, s21
	s_add_u32 s21, s14, s15
	s_cselect_b64 s[14:15], -1, 0
	s_cmp_lg_u64 s[14:15], 0
	s_addc_u32 s19, s19, s20
	s_mul_i32 s14, s12, s19
	s_mul_hi_u32 s15, s12, s21
	s_add_i32 s14, s15, s14
	s_mul_i32 s18, s18, s21
	s_add_i32 s14, s14, s18
	s_mul_i32 s12, s12, s21
	s_mul_hi_u32 s18, s19, s12
	s_mul_i32 s20, s19, s12
	s_mul_i32 s24, s21, s14
	s_mul_hi_u32 s12, s21, s12
	s_mul_hi_u32 s23, s21, s14
	s_add_u32 s12, s12, s24
	s_addc_u32 s23, 0, s23
	s_add_u32 s12, s12, s20
	s_mul_hi_u32 s15, s19, s14
	s_addc_u32 s12, s23, s18
	s_addc_u32 s15, s15, 0
	s_mul_i32 s14, s19, s14
	s_add_u32 s12, s12, s14
	s_addc_u32 s18, 0, s15
	s_add_u32 s20, s21, s12
	s_cselect_b64 s[14:15], -1, 0
	s_cmp_lg_u64 s[14:15], 0
	s_addc_u32 s18, s19, s18
	s_ashr_i32 s14, s13, 31
	s_add_u32 s12, s5, s14
	s_mov_b32 s15, s14
	s_addc_u32 s13, s13, s14
	s_xor_b64 s[12:13], s[12:13], s[14:15]
	s_mul_i32 s21, s12, s18
	s_mul_hi_u32 s23, s12, s20
	s_mul_hi_u32 s19, s12, s18
	s_add_u32 s21, s23, s21
	s_addc_u32 s19, 0, s19
	s_mul_hi_u32 s24, s13, s20
	s_mul_i32 s20, s13, s20
	s_add_u32 s20, s21, s20
	s_mul_hi_u32 s23, s13, s18
	s_addc_u32 s19, s19, s24
	s_addc_u32 s20, s23, 0
	s_mul_i32 s18, s13, s18
	s_add_u32 s23, s19, s18
	s_addc_u32 s24, 0, s20
	s_mul_i32 s18, s6, s24
	s_mul_hi_u32 s19, s6, s23
	s_add_i32 s18, s19, s18
	s_mul_i32 s19, s7, s23
	s_add_i32 s25, s18, s19
	s_sub_i32 s20, s13, s25
	s_mul_i32 s18, s6, s23
	s_sub_u32 s12, s12, s18
	s_cselect_b64 s[18:19], -1, 0
	s_cmp_lg_u64 s[18:19], 0
	s_subb_u32 s26, s20, s7
	s_sub_u32 s27, s12, s6
	s_cselect_b64 s[20:21], -1, 0
	s_cmp_lg_u64 s[20:21], 0
	s_subb_u32 s20, s26, 0
	s_cmp_ge_u32 s20, s7
	s_cselect_b32 s21, -1, 0
	s_cmp_ge_u32 s27, s6
	s_cselect_b32 s26, -1, 0
	s_cmp_eq_u32 s20, s7
	s_cselect_b32 s20, s26, s21
	s_add_u32 s21, s23, 1
	s_addc_u32 s26, s24, 0
	s_add_u32 s27, s23, 2
	s_addc_u32 s28, s24, 0
	s_cmp_lg_u32 s20, 0
	s_cselect_b32 s20, s27, s21
	s_cselect_b32 s21, s28, s26
	s_cmp_lg_u64 s[18:19], 0
	s_subb_u32 s13, s13, s25
	s_cmp_ge_u32 s13, s7
	s_cselect_b32 s18, -1, 0
	s_cmp_ge_u32 s12, s6
	s_cselect_b32 s6, -1, 0
	s_cmp_eq_u32 s13, s7
	s_cselect_b32 s6, s6, s18
	s_cmp_lg_u32 s6, 0
	s_cselect_b32 s7, s21, s24
	s_cselect_b32 s6, s20, s23
	s_xor_b64 s[12:13], s[14:15], 0
	s_xor_b64 s[6:7], s[6:7], s[12:13]
	s_sub_u32 s6, s6, s12
	s_load_dwordx4 s[12:15], s[0:1], 0x44
	s_cbranch_execnz .LBB17_3
.LBB17_2:
	v_cvt_f32_u32_e32 v1, s22
	s_sub_i32 s6, 0, s22
	v_rcp_iflag_f32_e32 v1, v1
	s_nop 0
	v_mul_f32_e32 v1, 0x4f7ffffe, v1
	v_cvt_u32_f32_e32 v1, v1
	s_nop 0
	v_readfirstlane_b32 s7, v1
	s_mul_i32 s6, s6, s7
	s_mul_hi_u32 s6, s7, s6
	s_add_i32 s7, s7, s6
	s_mul_hi_u32 s6, s5, s7
	s_waitcnt lgkmcnt(0)
	s_mul_i32 s15, s6, s22
	s_sub_i32 s5, s5, s15
	s_add_i32 s7, s6, 1
	s_sub_i32 s15, s5, s22
	s_cmp_ge_u32 s5, s22
	s_cselect_b32 s6, s7, s6
	s_cselect_b32 s5, s15, s5
	s_add_i32 s7, s6, 1
	s_cmp_ge_u32 s5, s22
	s_cselect_b32 s6, s7, s6
.LBB17_3:
	s_add_i32 s5, s2, 1
	s_mul_hi_i32 s21, s11, s5
	s_mov_b32 s20, 0
	s_cmp_lg_u64 s[20:21], 0
	s_mul_i32 s5, s11, s5
	s_cbranch_scc0 .LBB17_21
; %bb.4:
	s_add_u32 s16, s22, 0
	s_addc_u32 s17, 0, 0
	s_xor_b64 s[18:19], s[16:17], 0
	v_cvt_f32_u32_e32 v1, s18
	v_cvt_f32_u32_e32 v2, s19
	s_sub_u32 s7, 0, s18
	s_waitcnt lgkmcnt(0)
	s_subb_u32 s15, 0, s19
	v_fmamk_f32 v1, v2, 0x4f800000, v1
	v_rcp_f32_e32 v1, v1
	s_nop 0
	v_mul_f32_e32 v1, 0x5f7ffffc, v1
	v_mul_f32_e32 v2, 0x2f800000, v1
	v_trunc_f32_e32 v2, v2
	v_fmamk_f32 v1, v2, 0xcf800000, v1
	v_cvt_u32_f32_e32 v2, v2
	v_cvt_u32_f32_e32 v1, v1
	v_readfirstlane_b32 s20, v2
	v_readfirstlane_b32 s23, v1
	s_mul_i32 s24, s7, s20
	s_mul_hi_u32 s26, s7, s23
	s_mul_i32 s25, s15, s23
	s_add_i32 s24, s26, s24
	s_add_i32 s24, s24, s25
	s_mul_i32 s27, s7, s23
	s_mul_i32 s26, s23, s24
	s_mul_hi_u32 s28, s23, s27
	s_mul_hi_u32 s25, s23, s24
	s_add_u32 s26, s28, s26
	s_addc_u32 s25, 0, s25
	s_mul_hi_u32 s29, s20, s27
	s_mul_i32 s27, s20, s27
	s_add_u32 s26, s26, s27
	s_mul_hi_u32 s28, s20, s24
	s_addc_u32 s25, s25, s29
	s_addc_u32 s26, s28, 0
	s_mul_i32 s24, s20, s24
	s_add_u32 s24, s25, s24
	s_addc_u32 s26, 0, s26
	s_add_u32 s23, s23, s24
	s_cselect_b64 s[24:25], -1, 0
	s_cmp_lg_u64 s[24:25], 0
	s_addc_u32 s20, s20, s26
	s_mul_i32 s24, s7, s20
	s_mul_hi_u32 s25, s7, s23
	s_add_i32 s24, s25, s24
	s_mul_i32 s15, s15, s23
	s_add_i32 s24, s24, s15
	s_mul_i32 s7, s7, s23
	s_mul_hi_u32 s25, s20, s7
	s_mul_i32 s26, s20, s7
	s_mul_i32 s28, s23, s24
	s_mul_hi_u32 s7, s23, s7
	s_mul_hi_u32 s27, s23, s24
	s_add_u32 s7, s7, s28
	s_addc_u32 s27, 0, s27
	s_add_u32 s7, s7, s26
	s_mul_hi_u32 s15, s20, s24
	s_addc_u32 s7, s27, s25
	s_addc_u32 s15, s15, 0
	s_mul_i32 s24, s20, s24
	s_add_u32 s7, s7, s24
	s_addc_u32 s15, 0, s15
	s_add_u32 s7, s23, s7
	s_cselect_b64 s[24:25], -1, 0
	s_cmp_lg_u64 s[24:25], 0
	s_addc_u32 s15, s20, s15
	s_ashr_i32 s24, s21, 31
	s_add_u32 s20, s5, s24
	s_mov_b32 s25, s24
	s_addc_u32 s21, s21, s24
	s_xor_b64 s[20:21], s[20:21], s[24:25]
	s_mul_i32 s26, s20, s15
	s_mul_hi_u32 s27, s20, s7
	s_mul_hi_u32 s23, s20, s15
	s_add_u32 s26, s27, s26
	s_addc_u32 s23, 0, s23
	s_mul_hi_u32 s28, s21, s7
	s_mul_i32 s7, s21, s7
	s_add_u32 s7, s26, s7
	s_mul_hi_u32 s27, s21, s15
	s_addc_u32 s7, s23, s28
	s_addc_u32 s23, s27, 0
	s_mul_i32 s15, s21, s15
	s_add_u32 s7, s7, s15
	s_addc_u32 s15, 0, s23
	s_mul_i32 s23, s18, s15
	s_mul_hi_u32 s26, s18, s7
	s_add_i32 s23, s26, s23
	s_mul_i32 s26, s19, s7
	s_add_i32 s23, s23, s26
	s_sub_i32 s28, s21, s23
	s_mul_i32 s26, s18, s7
	s_sub_u32 s20, s20, s26
	s_cselect_b64 s[26:27], -1, 0
	s_cmp_lg_u64 s[26:27], 0
	s_subb_u32 s30, s28, s19
	s_sub_u32 s31, s20, s18
	s_cselect_b64 s[28:29], -1, 0
	s_cmp_lg_u64 s[28:29], 0
	s_subb_u32 s28, s30, 0
	s_cmp_ge_u32 s28, s19
	s_cselect_b32 s29, -1, 0
	s_cmp_ge_u32 s31, s18
	s_cselect_b32 s30, -1, 0
	s_cmp_eq_u32 s28, s19
	s_cselect_b32 s28, s30, s29
	s_add_u32 s29, s7, 1
	s_addc_u32 s30, s15, 0
	s_add_u32 s31, s7, 2
	s_addc_u32 s33, s15, 0
	s_cmp_lg_u32 s28, 0
	s_cselect_b32 s28, s31, s29
	s_cselect_b32 s29, s33, s30
	s_cmp_lg_u64 s[26:27], 0
	s_subb_u32 s21, s21, s23
	s_cmp_ge_u32 s21, s19
	s_cselect_b32 s23, -1, 0
	s_cmp_ge_u32 s20, s18
	s_cselect_b32 s18, -1, 0
	s_cmp_eq_u32 s21, s19
	s_cselect_b32 s18, s18, s23
	s_cmp_lg_u32 s18, 0
	s_cselect_b32 s19, s29, s15
	s_cselect_b32 s18, s28, s7
	s_xor_b64 s[20:21], s[24:25], 0
	s_xor_b64 s[18:19], s[18:19], s[20:21]
	s_sub_u32 s18, s18, s20
	s_cbranch_execnz .LBB17_6
.LBB17_5:
	v_cvt_f32_u32_e32 v1, s22
	s_sub_i32 s7, 0, s22
	v_rcp_iflag_f32_e32 v1, v1
	s_nop 0
	v_mul_f32_e32 v1, 0x4f7ffffe, v1
	v_cvt_u32_f32_e32 v1, v1
	s_waitcnt lgkmcnt(0)
	v_readfirstlane_b32 s15, v1
	s_mul_i32 s7, s7, s15
	s_mul_hi_u32 s7, s15, s7
	s_add_i32 s15, s15, s7
	s_mul_hi_u32 s7, s5, s15
	s_mul_i32 s16, s7, s22
	s_sub_i32 s5, s5, s16
	s_add_i32 s15, s7, 1
	s_sub_i32 s16, s5, s22
	s_cmp_ge_u32 s5, s22
	s_cselect_b32 s7, s15, s7
	s_cselect_b32 s5, s16, s5
	s_add_i32 s15, s7, 1
	s_cmp_ge_u32 s5, s22
	s_cselect_b32 s18, s15, s7
.LBB17_6:
	s_cmp_eq_u32 s6, s18
	s_waitcnt lgkmcnt(0)
	s_mul_hi_u32 s5, s6, s12
	s_cselect_b64 s[16:17], -1, 0
	s_add_i32 s5, s5, s6
	s_lshr_b32 s7, s5, s13
	s_mul_i32 s5, s7, s14
	s_cmp_eq_u32 s5, s6
	s_mul_hi_u32 s5, s18, s12
	s_cselect_b64 s[20:21], -1, 0
	s_add_i32 s5, s5, s18
	s_lshr_b32 s5, s5, s13
	s_cmp_eq_u32 s7, s5
	s_mul_i32 s5, s5, s14
	s_cselect_b64 s[24:25], -1, 0
	s_cmp_lg_u32 s5, s18
	s_cselect_b64 s[18:19], -1, 0
	s_and_b64 s[18:19], s[24:25], s[18:19]
	s_or_b64 s[16:17], s[16:17], s[20:21]
	s_or_b64 s[16:17], s[16:17], s[18:19]
	s_and_b64 vcc, exec, s[16:17]
	s_cbranch_vccnz .LBB17_23
; %bb.7:
	s_load_dwordx8 s[24:31], s[0:1], 0x20
	s_load_dword s5, s[0:1], 0x40
	s_waitcnt lgkmcnt(0)
	s_mul_hi_u32 s15, s6, s24
	s_add_i32 s15, s15, s6
	s_lshr_b32 s20, s15, s25
	s_mul_i32 s15, s20, s26
	s_sub_i32 s15, s6, s15
	s_mul_hi_u32 s16, s15, s27
	s_add_i32 s16, s15, s16
	s_lshr_b32 s21, s16, s28
	s_mul_i32 s16, s21, s29
	s_sub_i32 s15, s15, s16
	;; [unrolled: 5-line block ×3, first 2 shown]
	s_mul_hi_u32 s15, s5, s12
	s_add_i32 s5, s5, s15
	s_lshr_b32 s23, s5, s13
	s_lshl_b32 s5, s23, 6
	s_add_i32 s5, s5, s3
	s_cmp_lt_i32 s5, s8
	s_cselect_b64 s[16:17], -1, 0
	s_add_i32 s24, s24, s4
	s_cmp_lt_i32 s24, s10
	s_cselect_b64 s[18:19], -1, 0
	s_and_b64 s[16:17], s[16:17], s[18:19]
	s_andn2_b64 vcc, exec, s[16:17]
	s_cbranch_vccnz .LBB17_23
; %bb.8:
	s_load_dwordx4 s[16:19], s[0:1], 0x0
	s_mov_b32 s0, 0
	s_add_i32 s15, s3, s4
	s_lshl_b32 s4, s22, 8
	s_mov_b32 s5, s0
	s_lshl_b64 s[4:5], s[4:5], 2
	s_waitcnt lgkmcnt(0)
	s_add_u32 s4, s18, s4
	s_mul_i32 s1, s20, s8
	s_addc_u32 s5, s19, s5
	s_mul_i32 s21, s21, s10
	s_add_i32 s1, s1, s3
	s_mul_i32 s1, s1, s9
	s_add_i32 s3, s24, s21
	;; [unrolled: 2-line block ×3, first 2 shown]
	s_mulk_i32 s8, 0x1800
	s_mulk_i32 s1, 0x60
	s_add_i32 s8, s8, s1
	v_add_u32_e32 v4, s8, v0
	v_mov_b32_e32 v2, s16
	v_mov_b32_e32 v3, s17
	v_ashrrev_i32_e32 v5, 31, v4
	v_lshl_add_u64 v[2:3], v[4:5], 2, v[2:3]
	global_load_dword v1, v[2:3], off
	v_cvt_f32_u32_e32 v4, s22
	s_lshl_b32 s1, s2, 6
	s_add_i32 s8, s1, s15
	s_ashr_i32 s9, s8, 31
	s_lshl_b64 s[8:9], s[8:9], 3
	v_rcp_iflag_f32_e32 v4, v4
	s_add_u32 s8, s18, s8
	s_addc_u32 s9, s19, s9
	s_load_dwordx2 s[8:9], s[8:9], 0x0
	v_mul_f32_e32 v4, 0x4f7ffffe, v4
	v_cvt_u32_f32_e32 v7, v4
	s_mul_i32 s1, s15, 0x60
	s_add_i32 s21, s2, -1
	v_add_u32_e32 v6, s1, v0
	s_waitcnt lgkmcnt(0)
	v_mov_b32_e32 v0, s9
	v_mov_b32_e32 v9, s8
	s_mov_b32 s10, 0x3fb8aa3b
	s_mov_b32 s20, 0xc2ce8ed0
	;; [unrolled: 1-line block ×4, first 2 shown]
	v_mov_b32_e32 v8, 0x7f800000
	s_mul_hi_i32 s1, s21, s11
	s_cmp_lg_u64 s[0:1], 0
	s_mul_i32 s16, s21, s11
	s_cbranch_scc0 .LBB17_19
.LBB17_9:
	s_add_u32 s2, s22, 0
	s_addc_u32 s3, 0, 0
	s_xor_b64 s[2:3], s[2:3], 0
	v_cvt_f32_u32_e32 v4, s2
	v_cvt_f32_u32_e32 v5, s3
	s_sub_u32 s17, 0, s2
	s_subb_u32 s25, 0, s3
	v_fmac_f32_e32 v4, 0x4f800000, v5
	v_rcp_f32_e32 v4, v4
	s_nop 0
	v_mul_f32_e32 v4, 0x5f7ffffc, v4
	v_mul_f32_e32 v5, 0x2f800000, v4
	v_trunc_f32_e32 v5, v5
	v_fmac_f32_e32 v4, 0xcf800000, v5
	v_cvt_u32_f32_e32 v5, v5
	v_cvt_u32_f32_e32 v4, v4
	v_readfirstlane_b32 s26, v5
	v_readfirstlane_b32 s8, v4
	s_mul_i32 s9, s17, s26
	s_mul_hi_u32 s28, s17, s8
	s_mul_i32 s27, s25, s8
	s_add_i32 s9, s28, s9
	s_mul_i32 s29, s17, s8
	s_add_i32 s9, s9, s27
	s_mul_i32 s28, s8, s9
	s_mul_hi_u32 s30, s8, s29
	s_mul_hi_u32 s27, s8, s9
	s_add_u32 s28, s30, s28
	s_addc_u32 s27, 0, s27
	s_mul_hi_u32 s31, s26, s29
	s_mul_i32 s29, s26, s29
	s_add_u32 s28, s28, s29
	s_mul_hi_u32 s30, s26, s9
	s_addc_u32 s27, s27, s31
	s_addc_u32 s28, s30, 0
	s_mul_i32 s9, s26, s9
	s_add_u32 s9, s27, s9
	s_addc_u32 s27, 0, s28
	s_add_u32 s28, s8, s9
	s_cselect_b64 s[8:9], -1, 0
	s_cmp_lg_u64 s[8:9], 0
	s_addc_u32 s26, s26, s27
	s_mul_i32 s8, s17, s26
	s_mul_hi_u32 s9, s17, s28
	s_add_i32 s8, s9, s8
	s_mul_i32 s25, s25, s28
	s_add_i32 s8, s8, s25
	s_mul_i32 s17, s17, s28
	s_mul_hi_u32 s25, s26, s17
	s_mul_i32 s27, s26, s17
	s_mul_i32 s30, s28, s8
	s_mul_hi_u32 s17, s28, s17
	s_mul_hi_u32 s29, s28, s8
	s_add_u32 s17, s17, s30
	s_addc_u32 s29, 0, s29
	s_add_u32 s17, s17, s27
	s_mul_hi_u32 s9, s26, s8
	s_addc_u32 s17, s29, s25
	s_addc_u32 s9, s9, 0
	s_mul_i32 s8, s26, s8
	s_add_u32 s8, s17, s8
	s_addc_u32 s17, 0, s9
	s_add_u32 s25, s28, s8
	s_cselect_b64 s[8:9], -1, 0
	s_cmp_lg_u64 s[8:9], 0
	s_addc_u32 s17, s26, s17
	s_ashr_i32 s8, s1, 31
	s_add_u32 s26, s16, s8
	s_mov_b32 s9, s8
	s_addc_u32 s27, s1, s8
	s_xor_b64 s[26:27], s[26:27], s[8:9]
	s_mul_i32 s28, s26, s17
	s_mul_hi_u32 s29, s26, s25
	s_mul_hi_u32 s1, s26, s17
	s_add_u32 s28, s29, s28
	s_addc_u32 s1, 0, s1
	s_mul_hi_u32 s30, s27, s25
	s_mul_i32 s25, s27, s25
	s_add_u32 s25, s28, s25
	s_mul_hi_u32 s29, s27, s17
	s_addc_u32 s1, s1, s30
	s_addc_u32 s25, s29, 0
	s_mul_i32 s17, s27, s17
	s_add_u32 s1, s1, s17
	s_addc_u32 s17, 0, s25
	s_mul_i32 s25, s2, s17
	s_mul_hi_u32 s28, s2, s1
	s_add_i32 s25, s28, s25
	s_mul_i32 s28, s3, s1
	s_add_i32 s25, s25, s28
	s_sub_i32 s30, s27, s25
	s_mul_i32 s28, s2, s1
	s_sub_u32 s26, s26, s28
	s_cselect_b64 s[28:29], -1, 0
	s_cmp_lg_u64 s[28:29], 0
	s_subb_u32 s33, s30, s3
	s_sub_u32 s34, s26, s2
	s_cselect_b64 s[30:31], -1, 0
	s_cmp_lg_u64 s[30:31], 0
	s_subb_u32 s30, s33, 0
	s_cmp_ge_u32 s30, s3
	s_cselect_b32 s31, -1, 0
	s_cmp_ge_u32 s34, s2
	s_cselect_b32 s33, -1, 0
	s_cmp_eq_u32 s30, s3
	s_cselect_b32 s30, s33, s31
	s_add_u32 s31, s1, 1
	s_addc_u32 s33, s17, 0
	s_add_u32 s34, s1, 2
	s_addc_u32 s35, s17, 0
	s_cmp_lg_u32 s30, 0
	s_cselect_b32 s30, s34, s31
	s_cselect_b32 s31, s35, s33
	s_cmp_lg_u64 s[28:29], 0
	s_subb_u32 s25, s27, s25
	s_cmp_ge_u32 s25, s3
	s_cselect_b32 s27, -1, 0
	s_cmp_ge_u32 s26, s2
	s_cselect_b32 s2, -1, 0
	s_cmp_eq_u32 s25, s3
	s_cselect_b32 s2, s2, s27
	s_cmp_lg_u32 s2, 0
	s_cselect_b32 s3, s31, s17
	s_cselect_b32 s2, s30, s1
	s_xor_b64 s[8:9], s[8:9], 0
	s_xor_b64 s[2:3], s[2:3], s[8:9]
	s_sub_u32 s8, s2, s8
	s_cbranch_execnz .LBB17_11
.LBB17_10:
	s_sub_i32 s1, 0, s22
	v_readfirstlane_b32 s2, v7
	s_mul_i32 s1, s1, s2
	s_mul_hi_u32 s1, s2, s1
	s_add_i32 s2, s2, s1
	s_mul_hi_u32 s1, s16, s2
	s_mul_i32 s3, s1, s22
	s_sub_i32 s3, s16, s3
	s_add_i32 s2, s1, 1
	s_sub_i32 s8, s3, s22
	s_cmp_ge_u32 s3, s22
	s_cselect_b32 s1, s2, s1
	s_cselect_b32 s3, s8, s3
	s_add_i32 s2, s1, 1
	s_cmp_ge_u32 s3, s22
	s_cselect_b32 s8, s2, s1
.LBB17_11:
	s_cmp_lg_u32 s6, s8
	s_cbranch_scc0 .LBB17_15
; %bb.12:
	s_add_i32 s1, s21, s22
	s_lshl_b32 s1, s1, 6
	s_add_i32 s2, s1, s15
	s_mov_b32 s3, s0
	s_lshl_b64 s[2:3], s[2:3], 3
	s_add_u32 s16, s18, s2
	s_mul_hi_u32 s1, s8, s12
	s_addc_u32 s17, s19, s3
	s_add_i32 s1, s1, s8
	s_lshr_b32 s1, s1, s13
	s_mul_i32 s2, s1, s14
	s_cmp_eq_u32 s2, s8
	s_cselect_b64 s[2:3], -1, 0
	s_cmp_lt_u32 s1, s7
	s_cselect_b64 s[26:27], -1, 0
	s_or_b64 s[26:27], s[26:27], s[2:3]
	s_mov_b64 s[2:3], -1
	s_and_b64 vcc, exec, s[26:27]
	s_mov_b32 s1, s21
	s_mov_b32 s25, s6
	s_cbranch_vccnz .LBB17_14
; %bb.13:
	s_add_i32 s1, s21, -1
	s_mov_b64 s[2:3], 0
	s_mov_b32 s25, s8
.LBB17_14:
	s_mul_i32 s8, s21, 0x1800
	v_add_u32_e32 v4, s8, v6
	v_ashrrev_i32_e32 v5, 31, v4
	v_lshl_add_u64 v[4:5], v[4:5], 2, s[4:5]
	global_load_dword v5, v[4:5], off
	s_load_dwordx2 s[8:9], s[16:17], 0x0
	v_max_f32_e32 v4, v9, v9
	s_waitcnt lgkmcnt(0)
	v_max_f32_e64 v10, s8, s8
	v_max_f32_e32 v10, v4, v10
	v_sub_f32_e32 v11, v9, v10
	v_sub_f32_e32 v13, s8, v10
	v_mul_f32_e32 v4, 0x3fb8aa3b, v11
	v_mul_f32_e32 v12, 0x3fb8aa3b, v13
	v_fma_f32 v14, v11, s10, -v4
	v_rndne_f32_e32 v15, v4
	v_fma_f32 v16, v13, s10, -v12
	v_rndne_f32_e32 v17, v12
	v_fmac_f32_e32 v14, 0x32a5705f, v11
	v_sub_f32_e32 v4, v4, v15
	v_fmac_f32_e32 v16, 0x32a5705f, v13
	v_sub_f32_e32 v12, v12, v17
	v_add_f32_e32 v4, v4, v14
	v_cvt_i32_f32_e32 v15, v15
	v_add_f32_e32 v12, v12, v16
	v_exp_f32_e32 v14, v4
	v_cvt_i32_f32_e32 v17, v17
	v_exp_f32_e32 v12, v12
	v_cmp_ngt_f32_e32 vcc, s20, v11
	v_ldexp_f32 v14, v14, v15
	v_mov_b32_e32 v4, s9
	v_ldexp_f32 v12, v12, v17
	v_cndmask_b32_e32 v14, 0, v14, vcc
	v_cmp_ngt_f32_e32 vcc, s20, v13
	s_nop 1
	v_cndmask_b32_e32 v12, 0, v12, vcc
	v_cmp_nlt_f32_e32 vcc, s23, v11
	s_nop 1
	v_cndmask_b32_e32 v14, v8, v14, vcc
	v_cmp_nlt_f32_e32 vcc, s23, v13
	s_nop 1
	v_cndmask_b32_e32 v15, v8, v12, vcc
	v_cmp_le_f32_e32 vcc, s24, v11
	s_nop 1
	v_cndmask_b32_e32 v12, 0, v14, vcc
	v_cmp_le_f32_e32 vcc, s24, v13
	s_nop 1
	v_cndmask_b32_e32 v14, 0, v15, vcc
	s_waitcnt vmcnt(0)
	v_pk_mul_f32 v[4:5], v[4:5], v[14:15] op_sel_hi:[1,0]
	s_nop 0
	v_pk_fma_f32 v[4:5], v[0:1], v[12:13], v[4:5] op_sel_hi:[1,0,1]
	s_cbranch_execz .LBB17_16
	s_branch .LBB17_17
.LBB17_15:
                                        ; implicit-def: $vgpr4_vgpr5
                                        ; implicit-def: $sgpr2_sgpr3
                                        ; implicit-def: $vgpr10
                                        ; implicit-def: $sgpr1
                                        ; implicit-def: $sgpr25
.LBB17_16:
	s_add_i32 s1, s21, -1
	s_mov_b64 s[2:3], 0
	s_mov_b32 s25, s6
	v_mov_b32_e32 v10, v9
	s_waitcnt vmcnt(0)
	v_mov_b64_e32 v[4:5], v[0:1]
.LBB17_17:
	s_andn2_b64 vcc, exec, s[2:3]
	s_cbranch_vccz .LBB17_22
; %bb.18:
	s_mov_b32 s6, s25
	s_mov_b32 s21, s1
	v_mov_b32_e32 v9, v10
	s_waitcnt vmcnt(0)
	v_mov_b64_e32 v[0:1], v[4:5]
	s_mul_hi_i32 s1, s21, s11
	s_cmp_lg_u64 s[0:1], 0
	s_mul_i32 s16, s21, s11
	s_cbranch_scc1 .LBB17_9
.LBB17_19:
                                        ; implicit-def: $sgpr8_sgpr9
	s_branch .LBB17_10
.LBB17_20:
                                        ; implicit-def: $sgpr6_sgpr7
	s_load_dwordx4 s[12:15], s[0:1], 0x44
	s_branch .LBB17_2
.LBB17_21:
                                        ; implicit-def: $sgpr18_sgpr19
	s_branch .LBB17_5
.LBB17_22:
	v_div_scale_f32 v0, s[0:1], v4, v4, v5
	s_waitcnt vmcnt(0)
	v_rcp_f32_e32 v1, v0
	v_div_scale_f32 v6, vcc, v5, v4, v5
	v_fma_f32 v7, -v0, v1, 1.0
	v_fmac_f32_e32 v1, v7, v1
	v_mul_f32_e32 v7, v6, v1
	v_fma_f32 v8, -v0, v7, v6
	v_fmac_f32_e32 v7, v8, v1
	v_fma_f32 v0, -v0, v7, v6
	v_div_fmas_f32 v0, v0, v1, v7
	v_div_fixup_f32 v0, v0, v4, v5
	global_store_dword v[2:3], v0, off
.LBB17_23:
	s_endpgm
	.section	.rodata,"a",@progbits
	.p2align	6, 0x0
	.amdhsa_kernel _ZL33flash_attn_stream_k_fixup_generalILi96ELi64ELi1EEvPfPK15HIP_vector_typeIfLj2EEiiiiS1_IjLj3EES5_S5_S5_
		.amdhsa_group_segment_fixed_size 0
		.amdhsa_private_segment_fixed_size 0
		.amdhsa_kernarg_size 336
		.amdhsa_user_sgpr_count 2
		.amdhsa_user_sgpr_dispatch_ptr 0
		.amdhsa_user_sgpr_queue_ptr 0
		.amdhsa_user_sgpr_kernarg_segment_ptr 1
		.amdhsa_user_sgpr_dispatch_id 0
		.amdhsa_user_sgpr_kernarg_preload_length 0
		.amdhsa_user_sgpr_kernarg_preload_offset 0
		.amdhsa_user_sgpr_private_segment_size 0
		.amdhsa_uses_dynamic_stack 0
		.amdhsa_enable_private_segment 0
		.amdhsa_system_sgpr_workgroup_id_x 1
		.amdhsa_system_sgpr_workgroup_id_y 1
		.amdhsa_system_sgpr_workgroup_id_z 1
		.amdhsa_system_sgpr_workgroup_info 0
		.amdhsa_system_vgpr_workitem_id 0
		.amdhsa_next_free_vgpr 18
		.amdhsa_next_free_sgpr 36
		.amdhsa_accum_offset 20
		.amdhsa_reserve_vcc 1
		.amdhsa_float_round_mode_32 0
		.amdhsa_float_round_mode_16_64 0
		.amdhsa_float_denorm_mode_32 3
		.amdhsa_float_denorm_mode_16_64 3
		.amdhsa_dx10_clamp 1
		.amdhsa_ieee_mode 1
		.amdhsa_fp16_overflow 0
		.amdhsa_tg_split 0
		.amdhsa_exception_fp_ieee_invalid_op 0
		.amdhsa_exception_fp_denorm_src 0
		.amdhsa_exception_fp_ieee_div_zero 0
		.amdhsa_exception_fp_ieee_overflow 0
		.amdhsa_exception_fp_ieee_underflow 0
		.amdhsa_exception_fp_ieee_inexact 0
		.amdhsa_exception_int_div_zero 0
	.end_amdhsa_kernel
	.section	.text._ZL33flash_attn_stream_k_fixup_generalILi96ELi64ELi1EEvPfPK15HIP_vector_typeIfLj2EEiiiiS1_IjLj3EES5_S5_S5_,"axG",@progbits,_ZL33flash_attn_stream_k_fixup_generalILi96ELi64ELi1EEvPfPK15HIP_vector_typeIfLj2EEiiiiS1_IjLj3EES5_S5_S5_,comdat
.Lfunc_end17:
	.size	_ZL33flash_attn_stream_k_fixup_generalILi96ELi64ELi1EEvPfPK15HIP_vector_typeIfLj2EEiiiiS1_IjLj3EES5_S5_S5_, .Lfunc_end17-_ZL33flash_attn_stream_k_fixup_generalILi96ELi64ELi1EEvPfPK15HIP_vector_typeIfLj2EEiiiiS1_IjLj3EES5_S5_S5_
                                        ; -- End function
	.set _ZL33flash_attn_stream_k_fixup_generalILi96ELi64ELi1EEvPfPK15HIP_vector_typeIfLj2EEiiiiS1_IjLj3EES5_S5_S5_.num_vgpr, 18
	.set _ZL33flash_attn_stream_k_fixup_generalILi96ELi64ELi1EEvPfPK15HIP_vector_typeIfLj2EEiiiiS1_IjLj3EES5_S5_S5_.num_agpr, 0
	.set _ZL33flash_attn_stream_k_fixup_generalILi96ELi64ELi1EEvPfPK15HIP_vector_typeIfLj2EEiiiiS1_IjLj3EES5_S5_S5_.numbered_sgpr, 36
	.set _ZL33flash_attn_stream_k_fixup_generalILi96ELi64ELi1EEvPfPK15HIP_vector_typeIfLj2EEiiiiS1_IjLj3EES5_S5_S5_.num_named_barrier, 0
	.set _ZL33flash_attn_stream_k_fixup_generalILi96ELi64ELi1EEvPfPK15HIP_vector_typeIfLj2EEiiiiS1_IjLj3EES5_S5_S5_.private_seg_size, 0
	.set _ZL33flash_attn_stream_k_fixup_generalILi96ELi64ELi1EEvPfPK15HIP_vector_typeIfLj2EEiiiiS1_IjLj3EES5_S5_S5_.uses_vcc, 1
	.set _ZL33flash_attn_stream_k_fixup_generalILi96ELi64ELi1EEvPfPK15HIP_vector_typeIfLj2EEiiiiS1_IjLj3EES5_S5_S5_.uses_flat_scratch, 0
	.set _ZL33flash_attn_stream_k_fixup_generalILi96ELi64ELi1EEvPfPK15HIP_vector_typeIfLj2EEiiiiS1_IjLj3EES5_S5_S5_.has_dyn_sized_stack, 0
	.set _ZL33flash_attn_stream_k_fixup_generalILi96ELi64ELi1EEvPfPK15HIP_vector_typeIfLj2EEiiiiS1_IjLj3EES5_S5_S5_.has_recursion, 0
	.set _ZL33flash_attn_stream_k_fixup_generalILi96ELi64ELi1EEvPfPK15HIP_vector_typeIfLj2EEiiiiS1_IjLj3EES5_S5_S5_.has_indirect_call, 0
	.section	.AMDGPU.csdata,"",@progbits
; Kernel info:
; codeLenInByte = 2936
; TotalNumSgprs: 42
; NumVgprs: 18
; NumAgprs: 0
; TotalNumVgprs: 18
; ScratchSize: 0
; MemoryBound: 0
; FloatMode: 240
; IeeeMode: 1
; LDSByteSize: 0 bytes/workgroup (compile time only)
; SGPRBlocks: 5
; VGPRBlocks: 2
; NumSGPRsForWavesPerEU: 42
; NumVGPRsForWavesPerEU: 18
; AccumOffset: 20
; Occupancy: 8
; WaveLimiterHint : 0
; COMPUTE_PGM_RSRC2:SCRATCH_EN: 0
; COMPUTE_PGM_RSRC2:USER_SGPR: 2
; COMPUTE_PGM_RSRC2:TRAP_HANDLER: 0
; COMPUTE_PGM_RSRC2:TGID_X_EN: 1
; COMPUTE_PGM_RSRC2:TGID_Y_EN: 1
; COMPUTE_PGM_RSRC2:TGID_Z_EN: 1
; COMPUTE_PGM_RSRC2:TIDIG_COMP_CNT: 0
; COMPUTE_PGM_RSRC3_GFX90A:ACCUM_OFFSET: 4
; COMPUTE_PGM_RSRC3_GFX90A:TG_SPLIT: 0
	.section	.text._ZL26flash_attn_combine_resultsILi96EEvPKfPK15HIP_vector_typeIfLj2EEPfi,"axG",@progbits,_ZL26flash_attn_combine_resultsILi96EEvPKfPK15HIP_vector_typeIfLj2EEPfi,comdat
	.globl	_ZL26flash_attn_combine_resultsILi96EEvPKfPK15HIP_vector_typeIfLj2EEPfi ; -- Begin function _ZL26flash_attn_combine_resultsILi96EEvPKfPK15HIP_vector_typeIfLj2EEPfi
	.p2align	8
	.type	_ZL26flash_attn_combine_resultsILi96EEvPKfPK15HIP_vector_typeIfLj2EEPfi,@function
_ZL26flash_attn_combine_resultsILi96EEvPKfPK15HIP_vector_typeIfLj2EEPfi: ; @_ZL26flash_attn_combine_resultsILi96EEvPKfPK15HIP_vector_typeIfLj2EEPfi
; %bb.0:
	s_load_dwordx2 s[6:7], s[0:1], 0x20
	s_load_dword s25, s[0:1], 0x18
	s_load_dwordx4 s[16:19], s[0:1], 0x0
	s_load_dwordx2 s[14:15], s[0:1], 0x10
	s_waitcnt lgkmcnt(0)
	s_mul_i32 s0, s6, s4
	s_add_i32 s0, s0, s2
	s_mul_i32 s24, s0, s7
	s_add_i32 s24, s24, s3
	s_lshl_b32 s12, s25, 1
	s_mul_i32 s2, s24, s25
	v_cmp_gt_i32_e32 vcc, s12, v0
	s_and_saveexec_b64 s[0:1], vcc
	s_cbranch_execz .LBB18_13
; %bb.1:
	v_xad_u32 v1, v0, -1, s12
	s_movk_i32 s4, 0x5f
	s_ashr_i32 s3, s2, 31
	v_cmp_lt_u32_e32 vcc, s4, v1
	s_mov_b64 s[6:7], -1
	v_mov_b32_e32 v2, v0
	s_and_saveexec_b64 s[4:5], vcc
	s_cbranch_execz .LBB18_10
; %bb.2:
	s_mov_b32 s6, 0xaaaaaaab
	v_mul_hi_u32 v1, v1, s6
	v_lshrrev_b32_e32 v6, 6, v1
	s_lshl_b64 s[6:7], s[2:3], 3
	v_add_u32_e32 v2, -1, v6
	s_add_u32 s6, s18, s6
	v_add_u32_e32 v1, 0x60, v0
	v_lshrrev_b32_e32 v3, 1, v2
	s_addc_u32 s7, s19, s7
	v_add_u32_e32 v7, 1, v3
	v_cmp_lt_u32_e32 vcc, 13, v2
	v_mov_b32_e32 v4, 0
	v_mov_b64_e32 v[2:3], v[0:1]
	s_and_saveexec_b64 s[8:9], vcc
	s_cbranch_execz .LBB18_6
; %bb.3:
	v_and_b32_e32 v8, -8, v7
	s_mov_b32 s13, 0
	v_lshl_add_u32 v9, v0, 2, 0
	s_mov_b64 s[10:11], 0
	v_mov_b32_e32 v5, 0
	v_mov_b64_e32 v[2:3], v[0:1]
.LBB18_4:                               ; =>This Inner Loop Header: Depth=1
	v_mov_b32_e32 v4, v2
	v_lshl_add_u64 v[24:25], v[4:5], 2, s[6:7]
	v_mov_b32_e32 v4, v3
	v_add_u32_e32 v10, 0xc0, v3
	v_mov_b32_e32 v11, v5
	v_lshl_add_u64 v[26:27], v[4:5], 2, s[6:7]
	v_add_u32_e32 v4, 0xc0, v2
	v_lshl_add_u64 v[10:11], v[10:11], 2, s[6:7]
	global_load_dword v1, v[24:25], off
	v_lshl_add_u64 v[24:25], v[4:5], 2, s[6:7]
	v_add_u32_e32 v4, 0x180, v2
	global_load_dword v28, v[26:27], off
	global_load_dword v29, v[24:25], off
	;; [unrolled: 1-line block ×3, first 2 shown]
	v_lshl_add_u64 v[10:11], v[4:5], 2, s[6:7]
	v_add_u32_e32 v4, 0x240, v2
	v_add_u32_e32 v12, 0x180, v3
	v_mov_b32_e32 v13, v5
	v_add_u32_e32 v14, 0x240, v3
	v_mov_b32_e32 v15, v5
	v_lshl_add_u64 v[24:25], v[4:5], 2, s[6:7]
	v_add_u32_e32 v4, 0x300, v2
	v_lshl_add_u64 v[12:13], v[12:13], 2, s[6:7]
	v_lshl_add_u64 v[14:15], v[14:15], 2, s[6:7]
	global_load_dword v26, v[10:11], off
	global_load_dword v27, v[12:13], off
	global_load_dword v31, v[24:25], off
	global_load_dword v32, v[14:15], off
	v_lshl_add_u64 v[10:11], v[4:5], 2, s[6:7]
	v_add_u32_e32 v4, 0x3c0, v2
	v_add_u32_e32 v16, 0x300, v3
	v_mov_b32_e32 v17, v5
	v_add_u32_e32 v18, 0x3c0, v3
	v_mov_b32_e32 v19, v5
	v_lshl_add_u64 v[12:13], v[4:5], 2, s[6:7]
	v_add_u32_e32 v4, 0x480, v2
	v_add_u32_e32 v20, 0x480, v3
	v_mov_b32_e32 v21, v5
	v_add_u32_e32 v22, 0x540, v3
	v_mov_b32_e32 v23, v5
	v_lshl_add_u64 v[16:17], v[16:17], 2, s[6:7]
	v_lshl_add_u64 v[18:19], v[18:19], 2, s[6:7]
	global_load_dword v14, v[10:11], off
	global_load_dword v15, v[16:17], off
	;; [unrolled: 1-line block ×4, first 2 shown]
	v_lshl_add_u64 v[10:11], v[4:5], 2, s[6:7]
	v_add_u32_e32 v4, 0x540, v2
	v_lshl_add_u64 v[20:21], v[20:21], 2, s[6:7]
	v_lshl_add_u64 v[22:23], v[22:23], 2, s[6:7]
	;; [unrolled: 1-line block ×3, first 2 shown]
	global_load_dword v16, v[10:11], off
	global_load_dword v17, v[20:21], off
	;; [unrolled: 1-line block ×4, first 2 shown]
	v_add_u32_e32 v8, -8, v8
	s_add_i32 s13, s13, 16
	v_cmp_eq_u32_e32 vcc, 0, v8
	v_add_u32_e32 v10, 0x200, v9
	v_add_u32_e32 v11, 0x400, v9
	;; [unrolled: 1-line block ×8, first 2 shown]
	v_mov_b32_e32 v4, s13
	s_or_b64 s[10:11], vcc, s[10:11]
	v_add_u32_e32 v2, 0x600, v2
	s_waitcnt vmcnt(14)
	ds_write2_b32 v9, v1, v28 offset1:96
	v_add_u32_e32 v9, 0x1800, v9
	s_waitcnt vmcnt(12)
	ds_write2_b32 v10, v29, v30 offset0:64 offset1:160
	s_waitcnt vmcnt(10)
	ds_write2_b32 v11, v26, v27 offset0:128 offset1:224
	;; [unrolled: 2-line block ×3, first 2 shown]
	s_waitcnt vmcnt(6)
	ds_write2_b32 v13, v14, v15 offset1:96
	s_waitcnt vmcnt(4)
	ds_write2_b32 v20, v24, v25 offset0:64 offset1:160
	s_waitcnt vmcnt(2)
	ds_write2_b32 v21, v16, v17 offset0:128 offset1:224
	;; [unrolled: 2-line block ×3, first 2 shown]
	s_andn2_b64 exec, exec, s[10:11]
	s_cbranch_execnz .LBB18_4
; %bb.5:
	s_or_b64 exec, exec, s[10:11]
.LBB18_6:
	s_or_b64 exec, exec, s[8:9]
	v_and_b32_e32 v1, 7, v7
	v_cmp_ne_u32_e32 vcc, 0, v1
	s_and_saveexec_b64 s[8:9], vcc
	s_cbranch_execz .LBB18_9
; %bb.7:
	s_movk_i32 s10, 0x180
	v_mul_lo_u32 v4, v4, s10
	v_lshlrev_b32_e32 v5, 2, v0
	v_add3_u32 v7, v4, v5, 0
	s_mov_b64 s[10:11], 0
	v_mov_b32_e32 v5, 0
.LBB18_8:                               ; =>This Inner Loop Header: Depth=1
	v_mov_b32_e32 v4, v2
	v_lshl_add_u64 v[8:9], v[4:5], 2, s[6:7]
	v_mov_b32_e32 v4, v3
	v_lshl_add_u64 v[10:11], v[4:5], 2, s[6:7]
	global_load_dword v4, v[8:9], off
	global_load_dword v12, v[10:11], off
	v_add_u32_e32 v1, -1, v1
	v_cmp_eq_u32_e32 vcc, 0, v1
	v_add_u32_e32 v2, 0xc0, v2
	v_add_u32_e32 v3, 0xc0, v3
	s_or_b64 s[10:11], vcc, s[10:11]
	s_waitcnt vmcnt(0)
	ds_write2_b32 v7, v4, v12 offset1:96
	v_add_u32_e32 v7, 0x300, v7
	s_andn2_b64 exec, exec, s[10:11]
	s_cbranch_execnz .LBB18_8
.LBB18_9:
	s_or_b64 exec, exec, s[8:9]
	v_add_u32_e32 v1, 1, v6
	v_and_b32_e32 v4, 0x7fffffe, v1
	s_movk_i32 s6, 0x60
	v_mad_u64_u32 v[2:3], s[6:7], v4, s6, v[0:1]
	v_cmp_ne_u32_e32 vcc, v1, v4
	s_orn2_b64 s[6:7], vcc, exec
.LBB18_10:
	s_or_b64 exec, exec, s[4:5]
	s_and_b64 exec, exec, s[6:7]
	s_cbranch_execz .LBB18_13
; %bb.11:
	s_lshl_b64 s[4:5], s[2:3], 3
	s_add_u32 s4, s18, s4
	v_mov_b32_e32 v3, 0
	s_addc_u32 s5, s19, s5
	v_lshl_add_u64 v[4:5], v[2:3], 2, s[4:5]
	v_lshl_add_u32 v1, v2, 2, 0
	s_mov_b64 s[4:5], 0
	s_mov_b64 s[6:7], 0x180
.LBB18_12:                              ; =>This Inner Loop Header: Depth=1
	global_load_dword v3, v[4:5], off
	v_add_u32_e32 v2, 0x60, v2
	v_cmp_le_i32_e32 vcc, s12, v2
	v_lshl_add_u64 v[4:5], v[4:5], 0, s[6:7]
	s_or_b64 s[4:5], vcc, s[4:5]
	s_waitcnt vmcnt(0)
	ds_write_b32 v1, v3
	v_add_u32_e32 v1, 0x180, v1
	s_andn2_b64 exec, exec, s[4:5]
	s_cbranch_execnz .LBB18_12
.LBB18_13:
	s_or_b64 exec, exec, s[0:1]
	v_mov_b32_e32 v1, 0
	s_waitcnt lgkmcnt(0)
	s_barrier
	ds_read_b32 v1, v1
	s_cmp_lt_i32 s25, 2
	s_cbranch_scc1 .LBB18_21
; %bb.14:
	s_cmp_eq_u32 s25, 2
	s_cbranch_scc1 .LBB18_18
; %bb.15:
	s_add_i32 s3, s25, -1
	s_and_b32 s4, s3, -2
	s_add_i32 s6, 0, 8
	s_mov_b32 s5, 2
	s_waitcnt lgkmcnt(0)
	v_mov_b32_e32 v4, v1
.LBB18_16:                              ; =>This Inner Loop Header: Depth=1
	v_mov_b32_e32 v2, v1
	v_mov_b32_e32 v1, s6
	;; [unrolled: 1-line block ×3, first 2 shown]
	ds_read2_b32 v[4:5], v1 offset1:2
	s_cmp_lg_u32 s4, s5
	s_cselect_b64 s[8:9], -1, 0
	v_max_f32_e32 v1, v3, v3
	v_max_f32_e32 v6, v2, v2
	s_waitcnt lgkmcnt(0)
	v_cmp_u_f32_e32 vcc, v5, v5
	v_max_f32_e32 v7, v5, v5
	v_max_f32_e32 v8, v4, v4
	v_cndmask_b32_e64 v5, 0, 1, vcc
	v_cmp_u_f32_e32 vcc, v4, v4
	v_readfirstlane_b32 s0, v5
	s_lshl_b32 s0, s0, 1
	v_cndmask_b32_e64 v9, 0, 1, vcc
	v_max_f32_e32 v4, v1, v7
	v_readfirstlane_b32 s1, v9
	s_or_b32 s0, s1, s0
	s_and_b32 s7, s0, 3
	s_cmp_lg_u32 s7, 0
	s_cselect_b64 s[0:1], -1, 0
	s_cmp_eq_u32 s7, 0
	s_cselect_b64 s[10:11], -1, 0
	s_and_b64 s[8:9], s[10:11], s[8:9]
	v_max_f32_e32 v1, v6, v8
	s_add_i32 s5, s5, 2
	s_add_i32 s6, s6, 16
	s_and_b64 vcc, exec, s[8:9]
	s_cbranch_vccnz .LBB18_16
; %bb.17:
	s_add_i32 s5, s5, -4
	s_and_b64 s[6:7], s[0:1], exec
	s_cselect_b32 s5, s5, s3
	s_or_b32 s5, s5, 1
	v_cndmask_b32_e64 v1, v1, v2, s[0:1]
	v_cndmask_b32_e64 v2, v4, v3, s[0:1]
	s_cmp_lg_u32 s3, s4
	v_max_f32_e32 v2, v2, v2
	v_max_f32_e32 v1, v1, v1
	s_cselect_b64 s[6:7], -1, 0
	v_max_f32_e32 v1, v1, v2
	s_or_b64 s[0:1], s[6:7], s[0:1]
	s_and_b64 vcc, exec, s[0:1]
	s_cbranch_vccnz .LBB18_19
	s_branch .LBB18_21
.LBB18_18:
	s_mov_b32 s5, 1
	s_cbranch_execz .LBB18_21
.LBB18_19:
	s_lshl_b32 s1, s5, 3
	s_sub_i32 s0, s25, s5
	s_add_i32 s1, s1, 0
.LBB18_20:                              ; =>This Inner Loop Header: Depth=1
	v_mov_b32_e32 v2, s1
	ds_read_b32 v2, v2
	s_waitcnt lgkmcnt(1)
	v_max_f32_e32 v1, v1, v1
	s_add_i32 s0, s0, -1
	s_add_i32 s1, s1, 8
	s_cmp_eq_u32 s0, 0
	s_waitcnt lgkmcnt(0)
	v_max_f32_e32 v2, v2, v2
	v_max_f32_e32 v1, v1, v2
	s_cbranch_scc0 .LBB18_20
.LBB18_21:
	s_cmp_lt_i32 s25, 1
	s_cbranch_scc1 .LBB18_26
; %bb.22:
	s_mul_i32 s18, s2, 0x60
	s_ashr_i32 s19, s18, 31
	s_cmp_lt_u32 s25, 8
	s_cbranch_scc1 .LBB18_27
; %bb.23:
	s_lshl_b64 s[0:1], s[18:19], 2
	s_add_u32 s20, s16, s0
	s_addc_u32 s21, s17, s1
	v_lshlrev_b32_e32 v4, 2, v0
	v_mov_b32_e32 v5, 0
	v_lshl_add_u64 v[2:3], s[20:21], 0, v[4:5]
	s_mov_b64 s[0:1], 0x180
	s_and_b32 s26, s25, 0x7ffffff8
	v_lshl_add_u64 v[6:7], v[2:3], 0, s[0:1]
	v_add_u32_e32 v8, 0x2a0, v0
	s_mov_b32 s27, 0
	s_mov_b32 s28, 0x3fb8aa3b
	;; [unrolled: 1-line block ×4, first 2 shown]
	v_mov_b32_e32 v12, 0x7f800000
	s_mov_b64 s[22:23], 0xc00
	s_mov_b32 s31, 0
	v_mov_b32_e32 v2, v5
	v_mov_b32_e32 v3, v5
.LBB18_24:                              ; =>This Inner Loop Header: Depth=1
	v_add_u32_e32 v4, 0xfffffd60, v8
	v_mov_b32_e32 v10, s27
	v_lshl_add_u64 v[30:31], v[4:5], 2, s[20:21]
	v_add_u32_e32 v4, 0xfffffe20, v8
	global_load_dword v11, v[6:7], off
	ds_read2_b64 v[14:17], v10 offset1:1
	ds_read2_b64 v[18:21], v10 offset0:2 offset1:3
	ds_read2_b64 v[22:25], v10 offset0:4 offset1:5
	;; [unrolled: 1-line block ×3, first 2 shown]
	v_lshl_add_u64 v[34:35], v[4:5], 2, s[20:21]
	v_add_u32_e32 v4, 0xfffffe80, v8
	global_load_dword v37, v[30:31], off
	global_load_dword v39, v[34:35], off
	v_lshl_add_u64 v[30:31], v[4:5], 2, s[20:21]
	v_add_u32_e32 v4, 0xfffffee0, v8
	v_lshl_add_u64 v[34:35], v[4:5], 2, s[20:21]
	v_add_u32_e32 v4, 0xffffff40, v8
	global_load_dword v41, v[30:31], off
	global_load_dword v43, v[34:35], off
	v_lshl_add_u64 v[30:31], v[4:5], 2, s[20:21]
	v_add_u32_e32 v4, 0xffffffa0, v8
	s_waitcnt lgkmcnt(3)
	v_mov_b32_e32 v36, v15
	global_load_dword v15, v[30:31], off
	v_mov_b32_e32 v9, v5
	v_sub_f32_e32 v13, v16, v1
	v_mov_b32_e32 v10, v17
	v_lshl_add_u64 v[16:17], v[4:5], 2, s[20:21]
	v_lshl_add_u64 v[32:33], v[8:9], 2, s[20:21]
	s_waitcnt lgkmcnt(2)
	v_mov_b32_e32 v38, v19
	v_mov_b32_e32 v40, v21
	global_load_dword v19, v[16:17], off
	global_load_dword v21, v[32:33], off
	v_sub_f32_e32 v9, v14, v1
	v_sub_f32_e32 v34, v18, v1
	;; [unrolled: 1-line block ×3, first 2 shown]
	s_waitcnt lgkmcnt(1)
	v_sub_f32_e32 v22, v22, v1
	v_mov_b32_e32 v42, v23
	v_sub_f32_e32 v23, v24, v1
	v_mov_b32_e32 v14, v25
	s_waitcnt lgkmcnt(0)
	v_sub_f32_e32 v24, v26, v1
	v_sub_f32_e32 v4, v28, v1
	v_mul_f32_e32 v25, 0x3fb8aa3b, v9
	v_mov_b32_e32 v18, v27
	v_mov_b32_e32 v20, v29
	v_mul_f32_e32 v26, 0x3fb8aa3b, v13
	v_mul_f32_e32 v27, 0x3fb8aa3b, v34
	;; [unrolled: 1-line block ×7, first 2 shown]
	v_fma_f32 v16, v9, s28, -v25
	v_rndne_f32_e32 v17, v25
	v_fma_f32 v32, v13, s28, -v26
	v_rndne_f32_e32 v33, v26
	;; [unrolled: 2-line block ×8, first 2 shown]
	v_fmac_f32_e32 v16, 0x32a5705f, v9
	v_sub_f32_e32 v25, v25, v17
	v_fmac_f32_e32 v32, 0x32a5705f, v13
	v_sub_f32_e32 v26, v26, v33
	;; [unrolled: 2-line block ×8, first 2 shown]
	v_add_f32_e32 v16, v25, v16
	v_cvt_i32_f32_e32 v17, v17
	v_add_f32_e32 v25, v26, v32
	v_add_f32_e32 v26, v27, v45
	;; [unrolled: 1-line block ×7, first 2 shown]
	v_exp_f32_e32 v16, v16
	v_cvt_i32_f32_e32 v33, v33
	v_cvt_i32_f32_e32 v46, v46
	;; [unrolled: 1-line block ×7, first 2 shown]
	v_exp_f32_e32 v25, v25
	v_exp_f32_e32 v26, v26
	;; [unrolled: 1-line block ×7, first 2 shown]
	v_ldexp_f32 v16, v16, v17
	v_cmp_ngt_f32_e64 s[12:13], s29, v9
	v_ldexp_f32 v17, v25, v33
	v_cmp_ngt_f32_e32 vcc, s29, v13
	v_ldexp_f32 v25, v26, v46
	v_cmp_ngt_f32_e64 s[0:1], s29, v34
	v_ldexp_f32 v26, v27, v48
	v_cmp_ngt_f32_e64 s[2:3], s29, v35
	;; [unrolled: 2-line block ×6, first 2 shown]
	v_cndmask_b32_e64 v16, 0, v16, s[12:13]
	v_cmp_nlt_f32_e64 s[12:13], s30, v9
	v_cndmask_b32_e32 v17, 0, v17, vcc
	v_cmp_nlt_f32_e32 vcc, s30, v13
	v_cndmask_b32_e64 v13, 0, v25, s[0:1]
	v_cndmask_b32_e64 v25, 0, v26, s[2:3]
	;; [unrolled: 1-line block ×4, first 2 shown]
	v_cmp_nlt_f32_e64 s[6:7], s30, v23
	v_cndmask_b32_e64 v23, 0, v29, s[8:9]
	v_cndmask_b32_e64 v29, 0, v30, s[10:11]
	v_cmp_nlt_f32_e64 s[10:11], s30, v4
	v_cndmask_b32_e64 v4, v12, v16, s[12:13]
	v_cmp_nlt_f32_e64 s[0:1], s30, v34
	v_cndmask_b32_e32 v16, v12, v17, vcc
	s_waitcnt vmcnt(6)
	v_pk_fma_f32 v[2:3], v[4:5], v[36:37], v[2:3] op_sel_hi:[0,1,1]
	v_cmp_nlt_f32_e64 s[2:3], s30, v35
	v_cmp_nlt_f32_e64 s[4:5], s30, v22
	v_cndmask_b32_e64 v22, v12, v13, s[0:1]
	v_pk_fma_f32 v[2:3], v[16:17], v[10:11], v[2:3] op_sel_hi:[0,1,1]
	v_cmp_nlt_f32_e64 s[8:9], s30, v24
	v_cndmask_b32_e64 v24, v12, v25, s[2:3]
	s_waitcnt vmcnt(5)
	v_pk_fma_f32 v[2:3], v[22:23], v[38:39], v[2:3] op_sel_hi:[0,1,1]
	v_cndmask_b32_e64 v26, v12, v26, s[4:5]
	s_waitcnt vmcnt(4)
	v_pk_fma_f32 v[2:3], v[24:25], v[40:41], v[2:3] op_sel_hi:[0,1,1]
	;; [unrolled: 3-line block ×4, first 2 shown]
	s_add_i32 s31, s31, 8
	s_add_i32 s27, s27, 64
	v_cndmask_b32_e64 v32, v12, v29, s[10:11]
	s_waitcnt vmcnt(1)
	v_pk_fma_f32 v[2:3], v[30:31], v[18:19], v[2:3] op_sel_hi:[0,1,1]
	v_lshl_add_u64 v[6:7], v[6:7], 0, s[22:23]
	s_cmp_eq_u32 s26, s31
	v_add_u32_e32 v8, 0x300, v8
	s_waitcnt vmcnt(0)
	v_pk_fma_f32 v[2:3], v[32:33], v[20:21], v[2:3] op_sel_hi:[0,1,1]
	s_cbranch_scc0 .LBB18_24
; %bb.25:
	s_and_b32 s2, s25, 7
	s_cmp_eq_u32 s2, 0
	s_cbranch_scc0 .LBB18_28
	s_branch .LBB18_30
.LBB18_26:
	s_waitcnt lgkmcnt(0)
	v_mov_b32_e32 v1, 0x7fc00000
	s_branch .LBB18_31
.LBB18_27:
	v_mov_b32_e32 v2, 0
	s_mov_b32 s26, 0
	v_mov_b32_e32 v3, v2
	s_and_b32 s2, s25, 7
	s_cmp_eq_u32 s2, 0
	s_cbranch_scc1 .LBB18_30
.LBB18_28:
	s_lshl_b64 s[0:1], s[18:19], 2
	s_mul_i32 s3, s26, 0x60
	s_add_u32 s0, s16, s0
	v_add_u32_e32 v4, s3, v0
	v_mov_b32_e32 v5, 0
	s_addc_u32 s1, s17, s1
	v_lshl_add_u64 v[4:5], v[4:5], 2, s[0:1]
	s_lshl_b32 s0, s26, 3
	s_add_i32 s3, s0, 0
	s_mov_b32 s4, 0x3fb8aa3b
	s_mov_b32 s5, 0xc2ce8ed0
	;; [unrolled: 1-line block ×3, first 2 shown]
	v_mov_b32_e32 v6, 0x7f800000
	s_mov_b64 s[0:1], 0x180
.LBB18_29:                              ; =>This Inner Loop Header: Depth=1
	global_load_dword v9, v[4:5], off
	v_mov_b32_e32 v7, s3
	ds_read_b64 v[10:11], v7
	s_add_i32 s3, s3, 8
	s_add_i32 s2, s2, -1
	v_lshl_add_u64 v[4:5], v[4:5], 0, s[0:1]
	s_cmp_lg_u32 s2, 0
	s_waitcnt lgkmcnt(0)
	v_sub_f32_e32 v7, v10, v1
	v_mul_f32_e32 v8, 0x3fb8aa3b, v7
	v_fma_f32 v10, v7, s4, -v8
	v_rndne_f32_e32 v12, v8
	v_fmac_f32_e32 v10, 0x32a5705f, v7
	v_sub_f32_e32 v8, v8, v12
	v_add_f32_e32 v8, v8, v10
	v_cvt_i32_f32_e32 v12, v12
	v_exp_f32_e32 v10, v8
	v_cmp_ngt_f32_e32 vcc, s5, v7
	v_mov_b32_e32 v8, v11
	v_ldexp_f32 v10, v10, v12
	v_cndmask_b32_e32 v10, 0, v10, vcc
	v_cmp_nlt_f32_e32 vcc, s6, v7
	s_nop 1
	v_cndmask_b32_e32 v10, v6, v10, vcc
	s_waitcnt vmcnt(0)
	v_pk_fma_f32 v[2:3], v[10:11], v[8:9], v[2:3] op_sel_hi:[0,1,1]
	s_cbranch_scc1 .LBB18_29
.LBB18_30:
	s_waitcnt lgkmcnt(0)
	v_div_scale_f32 v1, s[0:1], v2, v2, v3
	v_rcp_f32_e32 v4, v1
	v_div_scale_f32 v5, vcc, v3, v2, v3
	v_fma_f32 v6, -v1, v4, 1.0
	v_fmac_f32_e32 v4, v6, v4
	v_mul_f32_e32 v6, v5, v4
	v_fma_f32 v7, -v1, v6, v5
	v_fmac_f32_e32 v6, v7, v4
	v_fma_f32 v1, -v1, v6, v5
	v_div_fmas_f32 v1, v1, v4, v6
	v_div_fixup_f32 v1, v1, v2, v3
.LBB18_31:
	s_mul_i32 s0, s24, 0x60
	s_ashr_i32 s1, s0, 31
	s_lshl_b64 s[0:1], s[0:1], 2
	s_add_u32 s0, s14, s0
	s_addc_u32 s1, s15, s1
	v_lshlrev_b32_e32 v0, 2, v0
	global_store_dword v0, v1, s[0:1]
	s_endpgm
	.section	.rodata,"a",@progbits
	.p2align	6, 0x0
	.amdhsa_kernel _ZL26flash_attn_combine_resultsILi96EEvPKfPK15HIP_vector_typeIfLj2EEPfi
		.amdhsa_group_segment_fixed_size 0
		.amdhsa_private_segment_fixed_size 0
		.amdhsa_kernarg_size 288
		.amdhsa_user_sgpr_count 2
		.amdhsa_user_sgpr_dispatch_ptr 0
		.amdhsa_user_sgpr_queue_ptr 0
		.amdhsa_user_sgpr_kernarg_segment_ptr 1
		.amdhsa_user_sgpr_dispatch_id 0
		.amdhsa_user_sgpr_kernarg_preload_length 0
		.amdhsa_user_sgpr_kernarg_preload_offset 0
		.amdhsa_user_sgpr_private_segment_size 0
		.amdhsa_uses_dynamic_stack 0
		.amdhsa_enable_private_segment 0
		.amdhsa_system_sgpr_workgroup_id_x 1
		.amdhsa_system_sgpr_workgroup_id_y 1
		.amdhsa_system_sgpr_workgroup_id_z 1
		.amdhsa_system_sgpr_workgroup_info 0
		.amdhsa_system_vgpr_workitem_id 0
		.amdhsa_next_free_vgpr 57
		.amdhsa_next_free_sgpr 32
		.amdhsa_accum_offset 60
		.amdhsa_reserve_vcc 1
		.amdhsa_float_round_mode_32 0
		.amdhsa_float_round_mode_16_64 0
		.amdhsa_float_denorm_mode_32 3
		.amdhsa_float_denorm_mode_16_64 3
		.amdhsa_dx10_clamp 1
		.amdhsa_ieee_mode 1
		.amdhsa_fp16_overflow 0
		.amdhsa_tg_split 0
		.amdhsa_exception_fp_ieee_invalid_op 0
		.amdhsa_exception_fp_denorm_src 0
		.amdhsa_exception_fp_ieee_div_zero 0
		.amdhsa_exception_fp_ieee_overflow 0
		.amdhsa_exception_fp_ieee_underflow 0
		.amdhsa_exception_fp_ieee_inexact 0
		.amdhsa_exception_int_div_zero 0
	.end_amdhsa_kernel
	.section	.text._ZL26flash_attn_combine_resultsILi96EEvPKfPK15HIP_vector_typeIfLj2EEPfi,"axG",@progbits,_ZL26flash_attn_combine_resultsILi96EEvPKfPK15HIP_vector_typeIfLj2EEPfi,comdat
.Lfunc_end18:
	.size	_ZL26flash_attn_combine_resultsILi96EEvPKfPK15HIP_vector_typeIfLj2EEPfi, .Lfunc_end18-_ZL26flash_attn_combine_resultsILi96EEvPKfPK15HIP_vector_typeIfLj2EEPfi
                                        ; -- End function
	.set _ZL26flash_attn_combine_resultsILi96EEvPKfPK15HIP_vector_typeIfLj2EEPfi.num_vgpr, 57
	.set _ZL26flash_attn_combine_resultsILi96EEvPKfPK15HIP_vector_typeIfLj2EEPfi.num_agpr, 0
	.set _ZL26flash_attn_combine_resultsILi96EEvPKfPK15HIP_vector_typeIfLj2EEPfi.numbered_sgpr, 32
	.set _ZL26flash_attn_combine_resultsILi96EEvPKfPK15HIP_vector_typeIfLj2EEPfi.num_named_barrier, 0
	.set _ZL26flash_attn_combine_resultsILi96EEvPKfPK15HIP_vector_typeIfLj2EEPfi.private_seg_size, 0
	.set _ZL26flash_attn_combine_resultsILi96EEvPKfPK15HIP_vector_typeIfLj2EEPfi.uses_vcc, 1
	.set _ZL26flash_attn_combine_resultsILi96EEvPKfPK15HIP_vector_typeIfLj2EEPfi.uses_flat_scratch, 0
	.set _ZL26flash_attn_combine_resultsILi96EEvPKfPK15HIP_vector_typeIfLj2EEPfi.has_dyn_sized_stack, 0
	.set _ZL26flash_attn_combine_resultsILi96EEvPKfPK15HIP_vector_typeIfLj2EEPfi.has_recursion, 0
	.set _ZL26flash_attn_combine_resultsILi96EEvPKfPK15HIP_vector_typeIfLj2EEPfi.has_indirect_call, 0
	.section	.AMDGPU.csdata,"",@progbits
; Kernel info:
; codeLenInByte = 3064
; TotalNumSgprs: 38
; NumVgprs: 57
; NumAgprs: 0
; TotalNumVgprs: 57
; ScratchSize: 0
; MemoryBound: 0
; FloatMode: 240
; IeeeMode: 1
; LDSByteSize: 0 bytes/workgroup (compile time only)
; SGPRBlocks: 4
; VGPRBlocks: 7
; NumSGPRsForWavesPerEU: 38
; NumVGPRsForWavesPerEU: 57
; AccumOffset: 60
; Occupancy: 8
; WaveLimiterHint : 0
; COMPUTE_PGM_RSRC2:SCRATCH_EN: 0
; COMPUTE_PGM_RSRC2:USER_SGPR: 2
; COMPUTE_PGM_RSRC2:TRAP_HANDLER: 0
; COMPUTE_PGM_RSRC2:TGID_X_EN: 1
; COMPUTE_PGM_RSRC2:TGID_Y_EN: 1
; COMPUTE_PGM_RSRC2:TGID_Z_EN: 1
; COMPUTE_PGM_RSRC2:TIDIG_COMP_CNT: 0
; COMPUTE_PGM_RSRC3_GFX90A:ACCUM_OFFSET: 14
; COMPUTE_PGM_RSRC3_GFX90A:TG_SPLIT: 0
	.section	.text._ZL18flash_attn_ext_f16ILi112ELi112ELi64ELi1ELb0ELb0EEvPKcS1_S1_S1_S1_PKiPfP15HIP_vector_typeIfLj2EEffffjfiS5_IjLj3EEiiiiiiiiiiiliiliiiiil,"axG",@progbits,_ZL18flash_attn_ext_f16ILi112ELi112ELi64ELi1ELb0ELb0EEvPKcS1_S1_S1_S1_PKiPfP15HIP_vector_typeIfLj2EEffffjfiS5_IjLj3EEiiiiiiiiiiiliiliiiiil,comdat
	.globl	_ZL18flash_attn_ext_f16ILi112ELi112ELi64ELi1ELb0ELb0EEvPKcS1_S1_S1_S1_PKiPfP15HIP_vector_typeIfLj2EEffffjfiS5_IjLj3EEiiiiiiiiiiiliiliiiiil ; -- Begin function _ZL18flash_attn_ext_f16ILi112ELi112ELi64ELi1ELb0ELb0EEvPKcS1_S1_S1_S1_PKiPfP15HIP_vector_typeIfLj2EEffffjfiS5_IjLj3EEiiiiiiiiiiiliiliiiiil
	.p2align	8
	.type	_ZL18flash_attn_ext_f16ILi112ELi112ELi64ELi1ELb0ELb0EEvPKcS1_S1_S1_S1_PKiPfP15HIP_vector_typeIfLj2EEffffjfiS5_IjLj3EEiiiiiiiiiiiliiliiiiil,@function
_ZL18flash_attn_ext_f16ILi112ELi112ELi64ELi1ELb0ELb0EEvPKcS1_S1_S1_S1_PKiPfP15HIP_vector_typeIfLj2EEffffjfiS5_IjLj3EEiiiiiiiiiiiliiliiiiil: ; @_ZL18flash_attn_ext_f16ILi112ELi112ELi64ELi1ELb0ELb0EEvPKcS1_S1_S1_S1_PKiPfP15HIP_vector_typeIfLj2EEffffjfiS5_IjLj3EEiiiiiiiiiiiliiliiiiil
; %bb.0:
	s_load_dwordx2 s[10:11], s[0:1], 0x80
	s_load_dwordx4 s[60:63], s[0:1], 0x64
	s_mov_b32 s23, s2
	v_mov_b32_e32 v3, v0
                                        ; implicit-def: $vgpr254 : SGPR spill to VGPR lane
	s_load_dword s24, s[0:1], 0xd0
	s_waitcnt lgkmcnt(0)
	s_abs_i32 s2, s11
	v_cvt_f32_u32_e32 v0, s2
	s_sub_i32 s6, 0, s2
	s_abs_i32 s5, s61
	s_xor_b32 s3, s61, s11
	v_rcp_iflag_f32_e32 v0, v0
	s_ashr_i32 s3, s3, 31
	s_mov_b32 s4, 0
	v_mul_f32_e32 v0, 0x4f7ffffe, v0
	v_cvt_u32_f32_e32 v0, v0
	s_nop 0
	v_readfirstlane_b32 s7, v0
	s_mul_i32 s6, s6, s7
	s_mul_hi_u32 s6, s7, s6
	s_add_i32 s7, s7, s6
	s_mul_hi_u32 s6, s5, s7
	s_mul_i32 s7, s6, s2
	s_sub_i32 s5, s5, s7
	s_add_i32 s8, s6, 1
	s_sub_i32 s7, s5, s2
	s_cmp_ge_u32 s5, s2
	s_cselect_b32 s6, s8, s6
	s_cselect_b32 s5, s7, s5
	s_add_i32 s7, s6, 1
	s_cmp_ge_u32 s5, s2
	s_cselect_b32 s2, s7, s6
	s_add_i32 s5, s10, 63
	s_xor_b32 s2, s2, s3
	s_ashr_i32 s6, s5, 31
	s_sub_i32 s3, s2, s3
	s_lshr_b32 s2, s6, 26
	s_add_i32 s5, s5, s2
	s_add_i32 s2, s60, 63
	s_lshr_b32 s2, s2, 6
	s_ashr_i32 s5, s5, 6
	v_writelane_b32 v254, s2, 0
	v_writelane_b32 v254, s5, 1
	s_mul_i32 s2, s2, s5
	v_writelane_b32 v254, s3, 2
	v_writelane_b32 v254, s2, 3
	s_mul_i32 s3, s2, s3
	s_mov_b32 s2, s10
	v_writelane_b32 v254, s2, 4
	s_nop 1
	v_writelane_b32 v254, s3, 5
	s_mul_i32 s2, s3, s11
	s_mul_i32 s8, s2, s62
	v_writelane_b32 v254, s3, 6
	s_ashr_i32 s9, s8, 31
	v_writelane_b32 v254, s2, 7
	s_mul_i32 s2, s9, s23
	s_mul_hi_u32 s3, s8, s23
	s_add_i32 s5, s3, s2
	s_add_u32 s2, s0, 0xd0
	s_addc_u32 s3, s1, 0
	v_writelane_b32 v254, s2, 8
	s_cmp_lg_u64 s[4:5], 0
	s_mul_i32 s4, s8, s23
	v_writelane_b32 v254, s3, 9
	s_cbranch_scc0 .LBB19_2
; %bb.1:
	s_add_u32 s2, s24, 0
	s_addc_u32 s3, 0, 0
	s_xor_b64 s[6:7], s[2:3], 0
	v_cvt_f32_u32_e32 v0, s6
	v_cvt_f32_u32_e32 v1, s7
	s_sub_u32 s12, 0, s6
	s_subb_u32 s13, 0, s7
	s_mov_b64 s[2:3], 0
	v_fmamk_f32 v0, v1, 0x4f800000, v0
	v_rcp_f32_e32 v0, v0
	s_nop 0
	v_mul_f32_e32 v0, 0x5f7ffffc, v0
	v_mul_f32_e32 v1, 0x2f800000, v0
	v_trunc_f32_e32 v1, v1
	v_fmamk_f32 v0, v1, 0xcf800000, v0
	v_cvt_u32_f32_e32 v1, v1
	v_cvt_u32_f32_e32 v0, v0
	v_readfirstlane_b32 s14, v1
	v_readfirstlane_b32 s10, v0
	s_mul_i32 s11, s12, s14
	s_mul_hi_u32 s16, s12, s10
	s_mul_i32 s15, s13, s10
	s_add_i32 s11, s16, s11
	s_add_i32 s11, s11, s15
	s_mul_i32 s17, s12, s10
	s_mul_i32 s16, s10, s11
	s_mul_hi_u32 s18, s10, s17
	s_mul_hi_u32 s15, s10, s11
	s_add_u32 s16, s18, s16
	s_addc_u32 s15, 0, s15
	s_mul_hi_u32 s19, s14, s17
	s_mul_i32 s17, s14, s17
	s_add_u32 s16, s16, s17
	s_mul_hi_u32 s18, s14, s11
	s_addc_u32 s15, s15, s19
	s_addc_u32 s16, s18, 0
	s_mul_i32 s11, s14, s11
	s_add_u32 s11, s15, s11
	s_addc_u32 s15, 0, s16
	s_add_u32 s16, s10, s11
	s_cselect_b64 s[10:11], -1, 0
	s_cmp_lg_u64 s[10:11], 0
	s_addc_u32 s14, s14, s15
	s_mul_i32 s10, s12, s14
	s_mul_hi_u32 s11, s12, s16
	s_add_i32 s10, s11, s10
	s_mul_i32 s13, s13, s16
	s_add_i32 s10, s10, s13
	s_mul_i32 s12, s12, s16
	s_mul_hi_u32 s13, s14, s12
	s_mul_i32 s15, s14, s12
	s_mul_i32 s18, s16, s10
	s_mul_hi_u32 s12, s16, s12
	s_mul_hi_u32 s17, s16, s10
	s_add_u32 s12, s12, s18
	s_addc_u32 s17, 0, s17
	s_add_u32 s12, s12, s15
	s_mul_hi_u32 s11, s14, s10
	s_addc_u32 s12, s17, s13
	s_addc_u32 s11, s11, 0
	s_mul_i32 s10, s14, s10
	s_add_u32 s10, s12, s10
	s_addc_u32 s12, 0, s11
	s_add_u32 s15, s16, s10
	s_cselect_b64 s[10:11], -1, 0
	s_cmp_lg_u64 s[10:11], 0
	s_addc_u32 s14, s14, s12
	s_ashr_i32 s10, s5, 31
	s_add_u32 s12, s4, s10
	s_mov_b32 s11, s10
	s_addc_u32 s13, s5, s10
	s_xor_b64 s[12:13], s[12:13], s[10:11]
	s_mul_i32 s16, s12, s14
	s_mul_hi_u32 s17, s12, s15
	s_mul_hi_u32 s5, s12, s14
	s_add_u32 s16, s17, s16
	s_addc_u32 s5, 0, s5
	s_mul_hi_u32 s18, s13, s15
	s_mul_i32 s15, s13, s15
	s_add_u32 s15, s16, s15
	s_mul_hi_u32 s17, s13, s14
	s_addc_u32 s5, s5, s18
	s_addc_u32 s15, s17, 0
	s_mul_i32 s14, s13, s14
	s_add_u32 s5, s5, s14
	s_addc_u32 s18, 0, s15
	s_mul_i32 s14, s6, s18
	s_mul_hi_u32 s15, s6, s5
	s_add_i32 s14, s15, s14
	s_mul_i32 s15, s7, s5
	s_add_i32 s19, s14, s15
	s_sub_i32 s16, s13, s19
	s_mul_i32 s14, s6, s5
	s_sub_u32 s12, s12, s14
	s_cselect_b64 s[14:15], -1, 0
	s_cmp_lg_u64 s[14:15], 0
	s_subb_u32 s20, s16, s7
	s_sub_u32 s21, s12, s6
	s_cselect_b64 s[16:17], -1, 0
	s_cmp_lg_u64 s[16:17], 0
	s_subb_u32 s16, s20, 0
	s_cmp_ge_u32 s16, s7
	s_cselect_b32 s17, -1, 0
	s_cmp_ge_u32 s21, s6
	s_cselect_b32 s20, -1, 0
	s_cmp_eq_u32 s16, s7
	s_cselect_b32 s16, s20, s17
	s_add_u32 s17, s5, 1
	s_addc_u32 s20, s18, 0
	s_add_u32 s21, s5, 2
	s_addc_u32 s22, s18, 0
	s_cmp_lg_u32 s16, 0
	s_cselect_b32 s16, s21, s17
	s_cselect_b32 s17, s22, s20
	s_cmp_lg_u64 s[14:15], 0
	s_subb_u32 s13, s13, s19
	s_cmp_ge_u32 s13, s7
	s_cselect_b32 s14, -1, 0
	s_cmp_ge_u32 s12, s6
	s_cselect_b32 s6, -1, 0
	s_cmp_eq_u32 s13, s7
	s_cselect_b32 s6, s6, s14
	s_cmp_lg_u32 s6, 0
	s_cselect_b32 s7, s17, s18
	s_cselect_b32 s6, s16, s5
	s_xor_b64 s[10:11], s[10:11], 0
	s_xor_b64 s[6:7], s[6:7], s[10:11]
	s_sub_u32 s6, s6, s10
	v_writelane_b32 v254, s6, 12
	s_nop 1
	v_writelane_b32 v254, s7, 13
	s_branch .LBB19_3
.LBB19_2:
	s_mov_b64 s[2:3], -1
                                        ; implicit-def: $sgpr6_sgpr7
                                        ; kill: killed $sgpr6_sgpr7
.LBB19_3:
	s_load_dwordx2 s[6:7], s[0:1], 0x74
	v_cvt_f32_u32_e32 v1, s24
	s_andn2_b64 vcc, exec, s[2:3]
	s_waitcnt lgkmcnt(0)
	v_writelane_b32 v254, s6, 10
	s_nop 1
	v_writelane_b32 v254, s7, 11
	s_cbranch_vccnz .LBB19_5
; %bb.4:
	v_rcp_iflag_f32_e32 v0, v1
	s_sub_i32 s2, 0, s24
	v_mul_f32_e32 v0, 0x4f7ffffe, v0
	v_cvt_u32_f32_e32 v0, v0
	s_nop 0
	v_readfirstlane_b32 s3, v0
	s_mul_i32 s2, s2, s3
	s_mul_hi_u32 s2, s3, s2
	s_add_i32 s3, s3, s2
	s_mul_hi_u32 s2, s4, s3
	s_mul_i32 s5, s2, s24
	s_sub_i32 s4, s4, s5
	s_add_i32 s3, s2, 1
	s_sub_i32 s5, s4, s24
	s_cmp_ge_u32 s4, s24
	s_cselect_b32 s2, s3, s2
	s_cselect_b32 s4, s5, s4
	s_add_i32 s3, s2, 1
	s_cmp_ge_u32 s4, s24
	s_cselect_b32 s2, s3, s2
	v_writelane_b32 v254, s2, 12
	s_nop 1
	v_writelane_b32 v254, s3, 13
.LBB19_5:
	s_add_i32 s2, s23, 1
	s_mul_i32 s3, s9, s2
	s_mul_hi_u32 s4, s8, s2
	s_add_i32 s7, s4, s3
	s_mov_b32 s6, 0
	s_cmp_lg_u64 s[6:7], 0
	s_mul_i32 s6, s8, s2
	s_cbranch_scc0 .LBB19_7
; %bb.6:
	s_add_u32 s2, s24, 0
	s_addc_u32 s3, 0, 0
	s_xor_b64 s[4:5], s[2:3], 0
	v_cvt_f32_u32_e32 v0, s4
	v_cvt_f32_u32_e32 v2, s5
	s_sub_u32 s10, 0, s4
	s_subb_u32 s11, 0, s5
	s_mov_b64 s[2:3], 0
	v_fmamk_f32 v0, v2, 0x4f800000, v0
	v_rcp_f32_e32 v0, v0
	s_nop 0
	v_mul_f32_e32 v0, 0x5f7ffffc, v0
	v_mul_f32_e32 v2, 0x2f800000, v0
	v_trunc_f32_e32 v2, v2
	v_fmamk_f32 v0, v2, 0xcf800000, v0
	v_cvt_u32_f32_e32 v2, v2
	v_cvt_u32_f32_e32 v0, v0
	v_readfirstlane_b32 s12, v2
	v_readfirstlane_b32 s8, v0
	s_mul_i32 s9, s10, s12
	s_mul_hi_u32 s14, s10, s8
	s_mul_i32 s13, s11, s8
	s_add_i32 s9, s14, s9
	s_add_i32 s9, s9, s13
	s_mul_i32 s15, s10, s8
	s_mul_i32 s14, s8, s9
	s_mul_hi_u32 s16, s8, s15
	s_mul_hi_u32 s13, s8, s9
	s_add_u32 s14, s16, s14
	s_addc_u32 s13, 0, s13
	s_mul_hi_u32 s17, s12, s15
	s_mul_i32 s15, s12, s15
	s_add_u32 s14, s14, s15
	s_mul_hi_u32 s16, s12, s9
	s_addc_u32 s13, s13, s17
	s_addc_u32 s14, s16, 0
	s_mul_i32 s9, s12, s9
	s_add_u32 s9, s13, s9
	s_addc_u32 s13, 0, s14
	s_add_u32 s14, s8, s9
	s_cselect_b64 s[8:9], -1, 0
	s_cmp_lg_u64 s[8:9], 0
	s_addc_u32 s12, s12, s13
	s_mul_i32 s8, s10, s12
	s_mul_hi_u32 s9, s10, s14
	s_add_i32 s8, s9, s8
	s_mul_i32 s11, s11, s14
	s_add_i32 s8, s8, s11
	s_mul_i32 s10, s10, s14
	s_mul_hi_u32 s11, s12, s10
	s_mul_i32 s13, s12, s10
	s_mul_i32 s16, s14, s8
	s_mul_hi_u32 s10, s14, s10
	s_mul_hi_u32 s15, s14, s8
	s_add_u32 s10, s10, s16
	s_addc_u32 s15, 0, s15
	s_add_u32 s10, s10, s13
	s_mul_hi_u32 s9, s12, s8
	s_addc_u32 s10, s15, s11
	s_addc_u32 s9, s9, 0
	s_mul_i32 s8, s12, s8
	s_add_u32 s8, s10, s8
	s_addc_u32 s10, 0, s9
	s_add_u32 s13, s14, s8
	s_cselect_b64 s[8:9], -1, 0
	s_cmp_lg_u64 s[8:9], 0
	s_addc_u32 s12, s12, s10
	s_ashr_i32 s8, s7, 31
	s_add_u32 s10, s6, s8
	s_mov_b32 s9, s8
	s_addc_u32 s11, s7, s8
	s_xor_b64 s[10:11], s[10:11], s[8:9]
	s_mul_i32 s14, s10, s12
	s_mul_hi_u32 s15, s10, s13
	s_mul_hi_u32 s7, s10, s12
	s_add_u32 s14, s15, s14
	s_addc_u32 s7, 0, s7
	s_mul_hi_u32 s16, s11, s13
	s_mul_i32 s13, s11, s13
	s_add_u32 s13, s14, s13
	s_mul_hi_u32 s15, s11, s12
	s_addc_u32 s7, s7, s16
	s_addc_u32 s13, s15, 0
	s_mul_i32 s12, s11, s12
	s_add_u32 s7, s7, s12
	s_addc_u32 s16, 0, s13
	s_mul_i32 s12, s4, s16
	s_mul_hi_u32 s13, s4, s7
	s_add_i32 s12, s13, s12
	s_mul_i32 s13, s5, s7
	s_add_i32 s17, s12, s13
	s_sub_i32 s14, s11, s17
	s_mul_i32 s12, s4, s7
	s_sub_u32 s10, s10, s12
	s_cselect_b64 s[12:13], -1, 0
	s_cmp_lg_u64 s[12:13], 0
	s_subb_u32 s18, s14, s5
	s_sub_u32 s19, s10, s4
	s_cselect_b64 s[14:15], -1, 0
	s_cmp_lg_u64 s[14:15], 0
	s_subb_u32 s14, s18, 0
	s_cmp_ge_u32 s14, s5
	s_cselect_b32 s15, -1, 0
	s_cmp_ge_u32 s19, s4
	s_cselect_b32 s18, -1, 0
	s_cmp_eq_u32 s14, s5
	s_cselect_b32 s14, s18, s15
	s_add_u32 s15, s7, 1
	s_addc_u32 s18, s16, 0
	s_add_u32 s19, s7, 2
	s_addc_u32 s20, s16, 0
	s_cmp_lg_u32 s14, 0
	s_cselect_b32 s14, s19, s15
	s_cselect_b32 s15, s20, s18
	s_cmp_lg_u64 s[12:13], 0
	s_subb_u32 s11, s11, s17
	s_cmp_ge_u32 s11, s5
	s_cselect_b32 s12, -1, 0
	s_cmp_ge_u32 s10, s4
	s_cselect_b32 s4, -1, 0
	s_cmp_eq_u32 s11, s5
	s_cselect_b32 s4, s4, s12
	s_cmp_lg_u32 s4, 0
	s_cselect_b32 s5, s15, s16
	s_cselect_b32 s4, s14, s7
	s_xor_b64 s[8:9], s[8:9], 0
	s_xor_b64 s[4:5], s[4:5], s[8:9]
	s_sub_u32 s4, s4, s8
	v_writelane_b32 v254, s4, 15
	s_nop 1
	v_writelane_b32 v254, s5, 16
	s_branch .LBB19_8
.LBB19_7:
	s_mov_b64 s[2:3], -1
                                        ; implicit-def: $sgpr4_sgpr5
                                        ; kill: killed $sgpr4_sgpr5
.LBB19_8:
	s_load_dwordx2 s[48:49], s[0:1], 0x5c
	v_writelane_b32 v254, s23, 14
	s_andn2_b64 vcc, exec, s[2:3]
	s_cbranch_vccnz .LBB19_10
; %bb.9:
	v_rcp_iflag_f32_e32 v0, v1
	s_sub_i32 s2, 0, s24
	v_mul_f32_e32 v0, 0x4f7ffffe, v0
	v_cvt_u32_f32_e32 v0, v0
	s_nop 0
	v_readfirstlane_b32 s3, v0
	s_mul_i32 s2, s2, s3
	s_mul_hi_u32 s2, s3, s2
	s_add_i32 s3, s3, s2
	s_mul_hi_u32 s2, s6, s3
	s_mul_i32 s4, s2, s24
	s_sub_i32 s4, s6, s4
	s_add_i32 s3, s2, 1
	s_sub_i32 s5, s4, s24
	s_cmp_ge_u32 s4, s24
	s_cselect_b32 s2, s3, s2
	s_cselect_b32 s4, s5, s4
	s_add_i32 s3, s2, 1
	s_cmp_ge_u32 s4, s24
	s_cselect_b32 s2, s3, s2
	v_writelane_b32 v254, s2, 15
	s_nop 1
	v_writelane_b32 v254, s3, 16
.LBB19_10:
	s_load_dwordx16 s[76:91], s[0:1], 0x0
	s_load_dwordx4 s[12:15], s[0:1], 0x40
	s_load_dword s2, s[0:1], 0x50
	v_writelane_b32 v254, s24, 17
	s_ashr_i32 s56, s63, 3
	v_bfe_u32 v168, v3, 10, 10
	s_waitcnt lgkmcnt(0)
	v_cvt_f16_f32_e32 v15, s12
	v_writelane_b32 v254, s2, 18
	s_load_dwordx2 s[2:3], s[0:1], 0x8c
	s_load_dwordx4 s[4:7], s[0:1], 0x98
	s_load_dwordx2 s[8:9], s[0:1], 0xa8
	s_load_dwordx2 s[16:17], s[0:1], 0xb8
	s_nop 0
	s_load_dwordx2 s[0:1], s[0:1], 0xc8
	v_mov_b32_e32 v14, v3
	s_waitcnt lgkmcnt(0)
	s_ashr_i32 s42, s2, 2
	s_ashr_i32 s38, s6, 2
	v_writelane_b32 v254, s8, 19
	s_ashr_i32 s40, s17, 1
	s_mov_b32 s59, 0
	v_writelane_b32 v254, s9, 20
	v_writelane_b32 v254, s0, 21
	v_and_b32_e32 v38, 31, v14
	v_lshlrev_b32_e32 v8, 4, v168
	v_writelane_b32 v254, s1, 22
	s_mov_b32 s1, s3
	v_readlane_b32 s9, v254, 1
	s_abs_i32 s8, s9
	v_cvt_f32_u32_e32 v0, s8
	v_writelane_b32 v254, s0, 23
	s_mov_b32 s3, s7
	v_mbcnt_lo_u32_b32 v13, -1, 0
	v_rcp_iflag_f32_e32 v0, v0
	v_writelane_b32 v254, s1, 24
	s_mov_b64 s[0:1], s[4:5]
	v_writelane_b32 v254, s0, 25
	v_mul_f32_e32 v0, 0x4f7ffffe, v0
	v_cvt_u32_f32_e32 v0, v0
	v_writelane_b32 v254, s1, 26
	v_writelane_b32 v254, s2, 27
	;; [unrolled: 1-line block ×3, first 2 shown]
	s_sub_i32 s2, 0, s8
	v_readlane_b32 s0, v254, 12
	v_readfirstlane_b32 s3, v0
	v_readlane_b32 s1, v254, 13
	s_mul_i32 s2, s2, s3
	s_mov_b32 s6, s0
	s_ashr_i32 s1, s9, 31
	s_mul_hi_u32 s2, s3, s2
	v_writelane_b32 v254, s1, 29
	s_abs_i32 s1, s6
	s_add_i32 s2, s3, s2
	v_writelane_b32 v254, s2, 30
	s_mul_hi_u32 s2, s1, s2
	s_mul_i32 s2, s2, s8
	s_sub_i32 s1, s1, s2
	s_ashr_i32 s0, s0, 31
	s_sub_i32 s2, s1, s8
	s_cmp_ge_u32 s1, s8
	s_cselect_b32 s1, s2, s1
	s_sub_i32 s2, s1, s8
	s_cmp_ge_u32 s1, s8
	s_cselect_b32 s1, s2, s1
	v_writelane_b32 v254, s8, 31
	s_xor_b32 s1, s1, s0
	s_sub_i32 s72, s1, s0
	v_readlane_b32 s0, v254, 15
	v_readlane_b32 s1, v254, 16
	v_writelane_b32 v254, s76, 32
	s_mov_b32 s8, s0
	s_sub_i32 s0, s0, s6
	v_writelane_b32 v254, s77, 33
	v_writelane_b32 v254, s78, 34
	v_writelane_b32 v254, s79, 35
	v_writelane_b32 v254, s80, 36
	v_writelane_b32 v254, s81, 37
	v_writelane_b32 v254, s82, 38
	v_writelane_b32 v254, s83, 39
	v_writelane_b32 v254, s84, 40
	s_add_i32 s4, s0, s72
	v_writelane_b32 v254, s85, 41
	s_min_i32 s63, s9, s4
	v_writelane_b32 v254, s86, 42
	s_cmp_gt_i32 s8, s6
	v_writelane_b32 v254, s87, 43
	s_cselect_b64 s[2:3], -1, 0
	s_cmp_le_i32 s8, s6
	v_writelane_b32 v254, s88, 44
	s_cselect_b64 s[0:1], -1, 0
	s_cmp_gt_i32 s9, s4
	v_writelane_b32 v254, s89, 45
	s_cselect_b64 s[4:5], -1, 0
	v_writelane_b32 v254, s90, 46
	s_or_b64 s[0:1], s[4:5], s[0:1]
	v_writelane_b32 v254, s91, 47
	s_mov_b64 s[6:7], s[14:15]
	s_mov_b32 s5, s13
	v_writelane_b32 v254, s4, 48
	v_bfe_u32 v0, v3, 5, 5
	s_and_b64 vcc, exec, s[0:1]
	v_writelane_b32 v254, s5, 49
	v_writelane_b32 v254, s6, 50
	;; [unrolled: 1-line block ×4, first 2 shown]
	v_lshl_add_u32 v39, v168, 1, v0
	scratch_store_dword off, v8, off offset:140 ; 4-byte Folded Spill
	scratch_store_dword off, v14, off offset:144 ; 4-byte Folded Spill
	;; [unrolled: 1-line block ×3, first 2 shown]
	v_writelane_b32 v254, s17, 53
	s_cbranch_vccnz .LBB19_363
; %bb.11:
	s_cmp_lg_u64 s[82:83], 0
	s_cselect_b64 s[0:1], -1, 0
	v_writelane_b32 v254, s0, 58
	s_cmp_eq_u64 s[84:85], 0
                                        ; implicit-def: $vgpr255 : SGPR spill to VGPR lane
	v_bfe_u32 v0, v14, 4, 6
	v_writelane_b32 v254, s1, 59
	s_mul_i32 s0, s60, s61
	v_writelane_b32 v254, s0, 60
	s_cselect_b64 s[0:1], -1, 0
	v_writelane_b32 v254, s0, 61
	s_cmp_lg_u64 s[86:87], 0
	v_lshl_add_u32 v51, v168, 2, v0
	v_writelane_b32 v254, s1, 62
	v_cmp_nle_f32_e64 s[0:1], s13, 0
	v_bfe_u32 v0, v14, 3, 7
	v_and_b32_e32 v40, 15, v14
	v_writelane_b32 v254, s0, 63
	v_lshlrev_b32_e32 v3, 2, v0
	v_and_b32_e32 v42, 0x3ff, v14
	v_writelane_b32 v255, s1, 0
	s_cselect_b64 s[0:1], -1, 0
	v_writelane_b32 v255, s0, 1
	v_mul_u32_u24_e32 v2, 0xf0, v40
	v_and_b32_e32 v4, 0x78, v3
	v_writelane_b32 v255, s1, 2
	s_movk_i32 s0, 0xf00
	v_mad_u32_u24 v1, v168, s0, 0
	v_mul_i32_i24_e32 v5, 0xfffff190, v168
	v_lshlrev_b32_e32 v46, 1, v42
	v_add3_u32 v61, v1, v2, v4
	v_add3_u32 v169, v1, v5, v46
	v_bfe_u32 v1, v14, 1, 9
	v_lshl_add_u32 v170, v168, 5, v1
	v_bfe_u32 v1, v14, 2, 8
	v_lshlrev_b32_e32 v6, 2, v42
	v_lshl_add_u32 v53, v168, 3, v0
	s_movk_i32 s3, 0xf0
	v_add_u32_e32 v171, v1, v8
	v_and_b32_e32 v50, 12, v6
	v_mad_u32_u24 v5, v171, s3, 0
	v_lshlrev_b32_e32 v7, 2, v50
	s_movk_i32 s22, 0x80
	v_mad_u32_u24 v9, v53, s3, 0
	v_and_b32_e32 v52, 28, v6
	v_add3_u32 v172, v5, v7, s22
	v_lshlrev_b32_e32 v5, 2, v52
	v_add_u32_e32 v10, 0x1e00, v9
	v_and_b32_e32 v60, 4, v6
	v_add_u32_e32 v174, v9, v5
	v_add_u32_e32 v176, v10, v5
	v_add3_u32 v177, 0, v2, v4
	v_mad_u32_u24 v2, v170, s3, 0
	v_lshlrev_b32_e32 v5, 2, v60
	s_movk_i32 s14, 0xc0
	v_add3_u32 v178, v2, v5, s14
	v_or_b32_e32 v2, v40, v8
	s_movk_i32 s12, 0x90
	v_mad_u32_u24 v5, v2, s12, 0
	v_readlane_b32 s12, v254, 14
	s_lshl_b32 s58, s12, 6
	s_ashr_i32 s41, s40, 31
	s_ashr_i32 s43, s42, 31
	;; [unrolled: 1-line block ×3, first 2 shown]
	v_or_b32_e32 v3, 4, v3
	v_lshlrev_b32_e32 v0, 1, v0
	s_lshl_b64 s[12:13], s[58:59], 3
	v_add_u32_e32 v181, v5, v3
	v_or_b32_e32 v3, 3, v0
	v_or_b32_e32 v6, 2, v0
	v_and_b32_e32 v0, 60, v0
	s_add_u32 s12, s90, s12
	v_readlane_b32 s27, v254, 7
	v_mul_u32_u24_e32 v0, 0xf0, v0
	v_lshlrev_b32_e32 v7, 1, v40
	s_addc_u32 s13, s91, s13
	s_abs_i32 s15, s27
	v_add3_u32 v183, 0, v0, v7
	v_cvt_f32_u32_e32 v0, s15
	v_mul_u32_u24_e32 v3, 0xf0, v3
	v_add3_u32 v185, 0, v3, v7
	v_or_b32_e32 v3, v8, v42
	v_rcp_iflag_f32_e32 v0, v0
	v_mov_b32_e32 v45, 0
	v_mul_u32_u24_e32 v6, 0xf0, v6
	v_lshlrev_b32_e32 v44, 3, v3
	v_readlane_b32 s26, v254, 6
	v_add3_u32 v184, 0, v6, v7
	v_lshl_add_u64 v[6:7], s[12:13], 0, v[44:45]
	s_abs_i32 s13, s26
	v_cvt_f32_u32_e32 v3, s13
	v_mul_f32_e32 v0, 0x4f7ffffe, v0
	v_writelane_b32 v255, s56, 3
	v_cvt_u32_f32_e32 v0, v0
	v_readlane_b32 s25, v254, 3
	v_readlane_b32 s56, v255, 3
	v_mul_u32_u24_e32 v2, 0xf0, v2
	v_writelane_b32 v255, s15, 4
	s_sub_i32 s12, 0, s15
	s_abs_i32 s15, s25
	v_add3_u32 v186, 0, v2, v4
	v_cvt_f32_u32_e32 v4, s15
	v_rcp_iflag_f32_e32 v2, v3
	v_mul_lo_u32 v3, s12, v0
	v_mul_hi_u32 v3, v0, v3
	v_writelane_b32 v255, s13, 5
	s_sub_i32 s12, 0, s13
	s_abs_i32 s13, s16
	v_add_u32_e32 v187, v0, v3
	v_rcp_iflag_f32_e32 v3, v4
	v_cvt_f32_u32_e32 v4, s13
	v_mul_f32_e32 v2, 0x4f7ffffe, v2
	v_cvt_u32_f32_e32 v2, v2
	v_mul_f32_e32 v3, 0x4f7ffffe, v3
	v_rcp_iflag_f32_e32 v4, v4
	v_cvt_u32_f32_e32 v3, v3
	v_mul_lo_u32 v0, s12, v2
	v_mul_hi_u32 v0, v2, v0
	v_add_u32_e32 v188, v2, v0
	v_mul_f32_e32 v2, 0x4f7ffffe, v4
	v_cvt_u32_f32_e32 v2, v2
	s_sub_i32 s12, 0, s15
	v_mul_lo_u32 v0, s12, v3
	v_mul_hi_u32 v0, v3, v0
	s_sub_i32 s12, 0, s13
	v_add_u32_e32 v189, v3, v0
	v_mul_lo_u32 v0, s12, v2
	v_mul_hi_u32 v0, v2, v0
	v_add_u32_e32 v190, v2, v0
	v_and_b32_e32 v0, 1, v14
	v_lshlrev_b32_e32 v44, 4, v0
	v_add_u32_e32 v0, v8, v42
	v_and_b32_e32 v72, 7, v14
	scratch_store_dwordx2 off, v[6:7], off offset:16 ; 8-byte Folded Spill
	v_mul_u32_u24_e32 v6, 0xf0, v0
	v_lshlrev_b32_e32 v0, 2, v72
	v_add_u32_e32 v198, 0, v0
	v_add_u32_e32 v199, v9, v0
	;; [unrolled: 1-line block ×3, first 2 shown]
	s_movk_i32 s24, 0x7f0
	v_add_u32_e32 v201, 16, v39
	v_add_u32_e32 v220, 32, v39
	;; [unrolled: 1-line block ×3, first 2 shown]
	v_and_b32_e32 v0, 15, v39
	v_and_b32_e32 v179, 60, v1
	v_or_b32_e32 v197, 3, v1
	v_and_or_b32 v1, v201, s24, v0
	v_and_or_b32 v2, v220, s24, v0
	;; [unrolled: 1-line block ×3, first 2 shown]
	scratch_store_dword off, v9, off offset:24 ; 4-byte Folded Spill
	scratch_store_dword off, v10, off offset:112 ; 4-byte Folded Spill
	v_mul_u32_u24_e32 v9, 0xf0, v0
	v_mad_u32_u24 v10, v0, s3, 0
	v_lshlrev_b32_e32 v0, 2, v38
	v_mad_u32_u24 v11, v39, s3, 0
	v_add_u32_e32 v12, v11, v0
	scratch_store_dword off, v12, off offset:32 ; 4-byte Folded Spill
	v_add_u32_e32 v12, 0x780, v11
	v_mul_u32_u24_e32 v7, 0xf0, v1
	v_mad_u32_u24 v1, v1, s3, 0
	scratch_store_dword off, v12, off offset:116 ; 4-byte Folded Spill
	v_add_u32_e32 v12, v12, v0
	scratch_store_dword off, v12, off offset:120 ; 4-byte Folded Spill
	scratch_store_dword off, v1, off offset:152 ; 4-byte Folded Spill
	v_add_u32_e32 v1, v1, v0
	scratch_store_dword off, v1, off offset:156 ; 4-byte Folded Spill
	v_add_u32_e32 v1, 0x1680, v11
	v_mul_u32_u24_e32 v8, 0xf0, v2
	v_mad_u32_u24 v2, v2, s3, 0
	scratch_store_dword off, v1, off offset:172 ; 4-byte Folded Spill
	v_add_u32_e32 v1, v1, v0
	scratch_store_dword off, v1, off offset:176 ; 4-byte Folded Spill
	scratch_store_dword off, v2, off offset:192 ; 4-byte Folded Spill
	v_add_u32_e32 v1, v2, v0
	scratch_store_dword off, v1, off offset:196 ; 4-byte Folded Spill
	v_add_u32_e32 v1, 0x2580, v11
	;; [unrolled: 2-line block ×3, first 2 shown]
	scratch_store_dword off, v1, off offset:204 ; 4-byte Folded Spill
	scratch_store_dword off, v10, off offset:212 ; 4-byte Folded Spill
	v_add_u32_e32 v1, v10, v0
	s_movk_i32 s24, 0xff0
	v_add_u32_e32 v82, 16, v51
	v_and_b32_e32 v3, 15, v51
	scratch_store_dword off, v1, off offset:216 ; 4-byte Folded Spill
	scratch_store_dword off, v11, off offset:28 ; 4-byte Folded Spill
	v_add_u32_e32 v1, 0x3480, v11
	v_add_u32_e32 v182, 16, v179
	;; [unrolled: 1-line block ×6, first 2 shown]
	v_and_or_b32 v4, v82, s24, v3
	v_add_u32_e32 v210, 0, v0
	v_add_u32_e32 v0, v1, v0
	v_lshl_add_u32 v180, v179, 1, v5
	v_lshl_add_u32 v191, v182, 1, v5
	;; [unrolled: 1-line block ×4, first 2 shown]
	v_and_or_b32 v5, v218, s24, v3
	v_and_or_b32 v3, v206, s24, v3
	scratch_store_dword off, v1, off offset:220 ; 4-byte Folded Spill
	scratch_store_dword off, v0, off offset:224 ; 4-byte Folded Spill
	v_mad_u32_u24 v1, v4, s3, 0
	v_lshlrev_b32_e32 v0, 2, v40
	v_writelane_b32 v255, s15, 6
	v_mul_lo_u32 v64, s38, v170
	v_mul_u32_u24_e32 v10, 0xf0, v4
	v_mad_u32_u24 v2, v5, s3, 0
	v_mul_u32_u24_e32 v12, 0xf0, v3
	v_mad_u32_u24 v3, v3, s3, 0
	v_mad_u32_u24 v4, v51, s3, 0
	scratch_store_dword off, v1, off offset:124 ; 4-byte Folded Spill
	v_add_u32_e32 v1, v1, v0
	v_writelane_b32 v255, s13, 7
	v_ashrrev_i32_e32 v65, 31, v64
	v_add_u32_e32 v227, 0, v0
	scratch_store_dword off, v4, off offset:36 ; 4-byte Folded Spill
	v_add_u32_e32 v229, v4, v0
	scratch_store_dword off, v1, off offset:128 ; 4-byte Folded Spill
	scratch_store_dword off, v2, off offset:160 ; 4-byte Folded Spill
	v_add_u32_e32 v1, v2, v0
	v_add_u32_e32 v0, v3, v0
	s_ashr_i32 s3, s27, 31
	scratch_store_dword off, v1, off offset:164 ; 4-byte Folded Spill
	scratch_store_dword off, v3, off offset:180 ; 4-byte Folded Spill
	;; [unrolled: 1-line block ×3, first 2 shown]
	v_writelane_b32 v255, s3, 8
	s_ashr_i32 s3, s26, 31
	v_lshl_add_u64 v[0:1], v[64:65], 2, v[44:45]
	v_writelane_b32 v255, s3, 9
	s_ashr_i32 s3, s25, 31
	v_lshl_add_u64 v[0:1], s[80:81], 0, v[0:1]
	s_mov_b64 s[24:25], 0xc0
	v_lshl_add_u64 v[0:1], v[0:1], 0, s[24:25]
	v_mul_lo_u32 v70, s38, v171
	scratch_store_dwordx2 off, v[0:1], off offset:40 ; 8-byte Folded Spill
	v_and_b32_e32 v0, 3, v14
	v_mul_lo_u32 v48, s42, v171
	v_ashrrev_i32_e32 v71, 31, v70
	v_lshlrev_b32_e32 v0, 4, v0
	v_mov_b32_e32 v1, v45
	v_ashrrev_i32_e32 v49, 31, v48
	v_lshl_add_u64 v[2:3], v[70:71], 2, v[0:1]
	v_lshl_add_u64 v[2:3], s[80:81], 0, v[2:3]
	s_mov_b64 s[46:47], 0x80
	v_lshl_add_u64 v[0:1], v[48:49], 2, v[0:1]
	v_mul_lo_u32 v54, s42, v53
	v_lshl_add_u64 v[2:3], v[2:3], 0, s[46:47]
	v_lshl_add_u64 v[0:1], s[78:79], 0, v[0:1]
	v_ashrrev_i32_e32 v55, 31, v54
	scratch_store_dwordx2 off, v[2:3], off offset:48 ; 8-byte Folded Spill
	v_lshlrev_b32_e32 v2, 4, v72
	v_mov_b32_e32 v3, v45
	v_lshl_add_u64 v[0:1], v[0:1], 0, s[46:47]
	v_lshl_add_u32 v56, s42, 5, v54
	scratch_store_dwordx2 off, v[0:1], off offset:72 ; 8-byte Folded Spill
	v_lshl_add_u64 v[0:1], v[54:55], 2, v[2:3]
	v_ashrrev_i32_e32 v57, 31, v56
	v_lshl_add_u64 v[0:1], s[78:79], 0, v[0:1]
	v_mul_lo_u32 v58, s42, v170
	scratch_store_dwordx2 off, v[0:1], off offset:80 ; 8-byte Folded Spill
	v_lshl_add_u64 v[0:1], v[56:57], 2, v[2:3]
	v_ashrrev_i32_e32 v59, 31, v58
	v_lshl_add_u64 v[0:1], s[78:79], 0, v[0:1]
	scratch_store_dwordx2 off, v[0:1], off offset:88 ; 8-byte Folded Spill
	v_lshl_add_u64 v[0:1], v[58:59], 2, v[44:45]
	v_lshl_add_u64 v[0:1], s[78:79], 0, v[0:1]
	s_mov_b32 s2, 0x10001
	v_lshl_add_u64 v[0:1], v[0:1], 0, s[24:25]
	v_writelane_b32 v255, s3, 10
	scratch_store_dwordx2 off, v[0:1], off offset:96 ; 8-byte Folded Spill
                                        ; implicit-def: $vgpr0
	v_mul_lo_u32 v240, v15, s2
	v_cmp_gt_u32_e64 s[2:3], 16, v42
	v_add_u32_e32 v0, v210, v7
	v_mul_lo_u32 v68, s38, v53
	v_writelane_b32 v255, s2, 11
	scratch_store_dword off, v0, off offset:132 ; 4-byte Folded Spill
	v_add_u32_e32 v0, v210, v8
	v_writelane_b32 v255, s3, 12
	s_mov_b32 s2, s40
	v_add_u32_e32 v196, 32, v53
	v_ashrrev_i32_e32 v69, 31, v68
	scratch_store_dword off, v0, off offset:188 ; 4-byte Folded Spill
	v_add_u32_e32 v0, v210, v9
	v_writelane_b32 v254, s2, 54
	v_mul_lo_u32 v66, s38, v196
	v_mul_u32_u24_e32 v11, 0xf0, v5
	v_lshl_add_u64 v[4:5], v[68:69], 2, v[2:3]
	scratch_store_dword off, v0, off offset:208 ; 4-byte Folded Spill
	v_add_u32_e32 v0, v227, v10
	v_writelane_b32 v254, s3, 55
	s_lshl_b64 s[2:3], s[40:41], 1
	v_ashrrev_i32_e32 v67, 31, v66
	v_lshl_add_u64 v[4:5], s[80:81], 0, v[4:5]
	scratch_store_dword off, v0, off offset:108 ; 4-byte Folded Spill
	v_add_u32_e32 v0, v227, v11
	v_writelane_b32 v255, s2, 13
	s_mov_b64 s[44:45], src_private_base
	s_movk_i32 s12, 0x100
	s_mul_i32 s57, s61, 56
	scratch_store_dwordx2 off, v[4:5], off offset:56 ; 8-byte Folded Spill
	v_lshl_add_u64 v[4:5], v[66:67], 2, v[2:3]
	scratch_store_dword off, v0, off offset:136 ; 4-byte Folded Spill
	v_add_u32_e32 v0, v227, v12
	v_writelane_b32 v255, s3, 14
	v_writelane_b32 v254, s38, 56
	v_cmp_gt_u32_e64 s[0:1], 64, v42
	v_cmp_lt_u32_e64 s[54:55], 63, v42
	v_cmp_gt_u32_e64 s[4:5], 64, v170
	v_cmp_gt_u32_e64 s[6:7], 64, v171
	;; [unrolled: 1-line block ×10, first 2 shown]
	v_mov_b32_e32 v41, v45
	v_mov_b32_e32 v73, v45
	;; [unrolled: 1-line block ×3, first 2 shown]
	v_lshl_add_u64 v[4:5], s[80:81], 0, v[4:5]
	s_mov_b32 s61, 0x42b17218
	s_mov_b32 s44, 0x3fb8aa3b
	;; [unrolled: 1-line block ×4, first 2 shown]
	scratch_store_dword off, v0, off offset:168 ; 4-byte Folded Spill
	v_add_u32_e32 v0, 0, v6
	v_mov_b32_e32 v230, v45
	v_mov_b32_e32 v231, v45
	;; [unrolled: 1-line block ×4, first 2 shown]
	s_mov_b32 s62, 0x5040100
	v_add_u32_e32 v242, 0x240, v169
	v_add_u32_e32 v244, 0x480, v169
	;; [unrolled: 1-line block ×15, first 2 shown]
	v_mul_u32_u24_e32 v226, 0xf0, v53
	v_add_u32_e32 v175, 34, v179
	v_add_u32_e32 v167, 50, v179
	v_or_b32_e32 v237, 1, v179
	v_or_b32_e32 v43, 2, v179
	v_add_u32_e32 v207, 17, v179
	v_add_u32_e32 v225, 19, v179
	v_add_u32_e32 v214, 33, v179
	v_add_u32_e32 v238, 35, v179
	v_add_u32_e32 v224, 49, v179
	v_add_u32_e32 v236, 51, v179
	v_mul_u32_u24_e32 v166, 0xf0, v39
	v_add_u32_e32 v212, 8, v39
	v_add_u32_e32 v74, 24, v39
	;; [unrolled: 1-line block ×4, first 2 shown]
	v_mul_u32_u24_e32 v77, 0xf0, v51
	v_mov_b32_e32 v81, 0x7f800000
	v_mbcnt_hi_u32_b32 v83, -1, v13
	v_mov_b32_e32 v84, 0
	v_cmp_gt_u32_e64 s[24:25], 31, v179
	v_cmp_gt_u32_e64 s[26:27], 30, v179
	;; [unrolled: 1-line block ×6, first 2 shown]
	v_writelane_b32 v254, s39, 57
	s_lshl_b64 s[66:67], s[38:39], 8
	s_lshl_b64 s[64:65], s[42:43], 8
	v_writelane_b32 v255, s57, 15
	scratch_store_dwordx2 off, v[4:5], off offset:64 ; 8-byte Folded Spill
	scratch_store_dword off, v0, off offset:104 ; 4-byte Folded Spill
	s_branch .LBB19_13
.LBB19_12:                              ;   in Loop: Header=BB19_13 Depth=1
	s_or_b64 exec, exec, s[38:39]
	v_readlane_b32 s41, v254, 1
	v_readlane_b32 s2, v254, 12
	s_add_i32 s2, s2, s41
	s_abs_i32 s38, s2
	v_readlane_b32 s39, v254, 30
	s_mul_hi_u32 s39, s38, s39
	v_readlane_b32 s40, v254, 31
	s_mul_i32 s39, s39, s40
	v_readlane_b32 s3, v254, 13
	s_sub_i32 s38, s38, s39
	s_ashr_i32 s3, s2, 31
	s_sub_i32 s39, s38, s40
	s_cmp_ge_u32 s38, s40
	s_cselect_b32 s38, s39, s38
	s_sub_i32 s39, s38, s40
	s_cmp_ge_u32 s38, s40
	s_cselect_b32 s38, s39, s38
	s_xor_b32 s38, s38, s3
	s_sub_i32 s3, s3, s38
	s_add_i32 s40, s2, s3
	v_readlane_b32 s2, v254, 15
	s_sub_i32 s38, s2, s40
	v_readlane_b32 s3, v254, 16
	s_mov_b32 s50, s2
	s_min_i32 s63, s41, s38
	s_mov_b32 s2, s40
	v_writelane_b32 v254, s2, 12
	s_cmp_gt_i32 s50, s40
	s_mov_b32 s72, 0
	v_writelane_b32 v254, s3, 13
	s_cselect_b64 s[2:3], -1, 0
	s_cmp_le_i32 s41, s38
	s_cselect_b64 s[38:39], -1, 0
	s_and_b64 s[38:39], s[38:39], s[2:3]
	s_and_b64 vcc, exec, s[38:39]
	s_cbranch_vccz .LBB19_364
.LBB19_13:                              ; =>This Loop Header: Depth=1
                                        ;     Child Loop BB19_80 Depth 2
                                        ;     Child Loop BB19_259 Depth 2
	v_readlane_b32 s2, v254, 12
	v_readlane_b32 s3, v254, 13
	s_mov_b32 s38, s2
	s_ashr_i32 s2, s2, 31
	v_readlane_b32 s3, v255, 8
	s_xor_b32 s2, s2, s3
	s_abs_i32 s3, s38
	v_mul_hi_u32 v0, s3, v187
	v_readlane_b32 s38, v255, 4
	v_add_u32_e32 v2, 1, v0
	s_nop 0
	v_mul_lo_u32 v1, v0, s38
	v_sub_u32_e32 v1, s3, v1
	v_subrev_u32_e32 v3, s38, v1
	v_cmp_le_u32_e32 vcc, s38, v1
	s_nop 1
	v_cndmask_b32_e32 v0, v0, v2, vcc
	v_cndmask_b32_e32 v1, v1, v3, vcc
	v_add_u32_e32 v2, 1, v0
	v_cmp_le_u32_e32 vcc, s38, v1
	s_nop 1
	v_cndmask_b32_e32 v0, v0, v2, vcc
	v_xor_b32_e32 v0, s2, v0
	v_subrev_u32_e32 v1, s2, v0
	v_readlane_b32 s2, v254, 58
	v_readlane_b32 s3, v254, 59
	s_andn2_b64 vcc, exec, s[2:3]
	v_ashrrev_i32_e32 v4, 31, v1
	s_cbranch_vccnz .LBB19_15
; %bb.14:                               ;   in Loop: Header=BB19_13 Depth=1
	v_sub_u32_e32 v0, 0, v1
	v_max_i32_e32 v0, v1, v0
	v_mul_hi_u32 v2, v0, v190
	v_readlane_b32 s2, v255, 7
	v_readlane_b32 s76, v254, 32
	;; [unrolled: 1-line block ×3, first 2 shown]
	v_mul_lo_u32 v2, v2, s2
	v_sub_u32_e32 v0, v0, v2
	v_subrev_u32_e32 v2, s2, v0
	v_cmp_le_u32_e32 vcc, s2, v0
	v_readlane_b32 s83, v254, 39
	v_readlane_b32 s77, v254, 33
	v_cndmask_b32_e32 v0, v0, v2, vcc
	v_subrev_u32_e32 v2, s2, v0
	v_cmp_le_u32_e32 vcc, s2, v0
	v_readlane_b32 s2, v254, 21
	v_readlane_b32 s3, v254, 22
	v_cndmask_b32_e32 v0, v0, v2, vcc
	v_xor_b32_e32 v0, v0, v4
	v_sub_u32_e32 v0, v0, v4
	v_ashrrev_i32_e32 v2, 31, v0
	v_mul_lo_u32 v2, s2, v2
	v_mul_hi_u32 v3, s2, v0
	v_add_u32_e32 v2, v3, v2
	v_mul_lo_u32 v3, s3, v0
	v_add_u32_e32 v3, v2, v3
	v_mul_lo_u32 v2, s2, v0
	v_lshl_add_u64 v[98:99], s[82:83], 0, v[2:3]
	v_readlane_b32 s78, v254, 34
	v_readlane_b32 s79, v254, 35
	;; [unrolled: 1-line block ×12, first 2 shown]
	s_branch .LBB19_16
.LBB19_15:                              ;   in Loop: Header=BB19_13 Depth=1
	v_mov_b64_e32 v[98:99], 0
.LBB19_16:                              ;   in Loop: Header=BB19_13 Depth=1
	v_readlane_b32 s2, v254, 7
	v_mov_b32_e32 v96, 1.0
	s_nop 0
	v_mul_lo_u32 v0, v1, s2
	v_readlane_b32 s2, v254, 12
	v_readlane_b32 s3, v254, 13
	s_nop 0
	v_sub_u32_e32 v0, s2, v0
	v_sub_u32_e32 v3, 0, v0
	v_ashrrev_i32_e32 v2, 31, v0
	v_readlane_b32 s2, v255, 9
	v_max_i32_e32 v3, v0, v3
	v_mul_hi_u32 v5, v3, v188
	v_xor_b32_e32 v2, s2, v2
	v_readlane_b32 s2, v255, 5
	s_nop 1
	v_mul_lo_u32 v6, v5, s2
	v_sub_u32_e32 v3, v3, v6
	v_add_u32_e32 v6, 1, v5
	v_subrev_u32_e32 v7, s2, v3
	v_cmp_le_u32_e32 vcc, s2, v3
	s_nop 1
	v_cndmask_b32_e32 v5, v5, v6, vcc
	v_cndmask_b32_e32 v3, v3, v7, vcc
	v_add_u32_e32 v6, 1, v5
	v_cmp_le_u32_e32 vcc, s2, v3
	v_readlane_b32 s2, v254, 6
	s_nop 0
	v_cndmask_b32_e32 v3, v5, v6, vcc
	v_xor_b32_e32 v3, v3, v2
	v_sub_u32_e32 v5, v3, v2
	v_mul_lo_u32 v2, v5, s2
	v_sub_u32_e32 v3, v0, v2
	v_sub_u32_e32 v2, 0, v3
	v_ashrrev_i32_e32 v0, 31, v3
	v_readlane_b32 s2, v255, 10
	v_max_i32_e32 v2, v3, v2
	v_mul_hi_u32 v6, v2, v189
	v_xor_b32_e32 v0, s2, v0
	v_readlane_b32 s2, v255, 6
	s_nop 1
	v_mul_lo_u32 v7, v6, s2
	v_sub_u32_e32 v2, v2, v7
	v_add_u32_e32 v7, 1, v6
	v_subrev_u32_e32 v8, s2, v2
	v_cmp_le_u32_e32 vcc, s2, v2
	s_nop 1
	v_cndmask_b32_e32 v6, v6, v7, vcc
	v_cndmask_b32_e32 v2, v2, v8, vcc
	v_add_u32_e32 v7, 1, v6
	v_cmp_le_u32_e32 vcc, s2, v2
	v_readlane_b32 s2, v254, 2
	s_nop 0
	v_cndmask_b32_e32 v2, v6, v7, vcc
	v_xor_b32_e32 v2, v2, v0
	v_sub_u32_e32 v6, v2, v0
	v_mul_lo_u32 v0, v5, s2
	v_readlane_b32 s2, v254, 63
	v_readlane_b32 s3, v255, 0
	v_add_u32_e32 v2, v0, v6
	s_andn2_b64 vcc, exec, s[2:3]
	s_cbranch_vccnz .LBB19_18
; %bb.17:                               ;   in Loop: Header=BB19_13 Depth=1
	v_readlane_b32 s68, v254, 48
	v_readlane_b32 s2, v254, 18
	;; [unrolled: 1-line block ×4, first 2 shown]
	v_subrev_co_u32_e32 v8, vcc, s2, v2
	s_nop 0
	v_mov_b32_e32 v0, s71
	v_mov_b32_e32 v7, s70
	v_lshlrev_b32_e32 v8, 1, v8
	v_cndmask_b32_e32 v0, v0, v7, vcc
	v_add_u32_e32 v7, 1, v2
	v_or_b32_e32 v8, 1, v8
	v_cndmask_b32_e32 v7, v8, v7, vcc
	v_cvt_f32_i32_e32 v7, v7
	v_cmp_neq_f32_e32 vcc, 1.0, v0
	s_mov_b32 s2, 0x3f2aaaab
	s_movk_i32 s3, 0x204
	v_cndmask_b32_e32 v7, 1.0, v7, vcc
	v_cmp_neq_f32_e32 vcc, 0, v7
	s_brev_b32 s50, -2
	v_cmp_gt_f32_e64 s[40:41], 0, v7
	v_cndmask_b32_e32 v0, 1.0, v0, vcc
	v_frexp_mant_f32_e64 v8, |v0|
	v_cmp_gt_f32_e32 vcc, s2, v8
	s_mov_b32 s2, 0x3f317218
	v_readlane_b32 s69, v254, 49
	v_cndmask_b32_e64 v9, 1.0, 2.0, vcc
	v_mul_f32_e32 v8, v8, v9
	v_add_f32_e32 v11, 1.0, v8
	v_rcp_f32_e32 v16, v11
	v_add_f32_e32 v9, -1.0, v11
	v_sub_f32_e32 v13, v8, v9
	v_add_f32_e32 v9, -1.0, v8
	v_mul_f32_e32 v17, v9, v16
	v_mul_f32_e32 v10, v11, v17
	v_fma_f32 v12, v17, v11, -v10
	v_fmac_f32_e32 v12, v17, v13
	v_add_f32_e32 v8, v10, v12
	v_sub_f32_e32 v11, v9, v8
	v_pk_add_f32 v[14:15], v[8:9], v[10:11] neg_lo:[0,1] neg_hi:[0,1]
	v_mov_b32_e32 v13, v8
	v_pk_add_f32 v[8:9], v[14:15], v[12:13] neg_lo:[0,1] neg_hi:[0,1]
	v_mov_b32_e32 v12, 0x3e91f4c4
	v_add_f32_e32 v8, v8, v9
	v_add_f32_e32 v8, v11, v8
	v_mul_f32_e32 v9, v16, v8
	v_add_f32_e32 v8, v17, v9
	v_sub_f32_e32 v10, v8, v17
	v_sub_f32_e32 v18, v9, v10
	v_mul_f32_e32 v9, v8, v8
	v_fma_f32 v11, v8, v8, -v9
	v_add_f32_e32 v10, v18, v18
	v_fmac_f32_e32 v11, v8, v10
	v_add_f32_e32 v10, v9, v11
	v_fmamk_f32 v12, v10, 0x3e76c4e1, v12
	v_fmaak_f32 v12, v10, v12, 0x3ecccdef
	v_sub_f32_e32 v9, v10, v9
	v_sub_f32_e32 v19, v11, v9
	v_mul_f32_e32 v9, v10, v12
	v_fma_f32 v11, v10, v12, -v9
	v_fmac_f32_e32 v11, v19, v12
	v_add_f32_e32 v12, v9, v11
	v_add_f32_e32 v13, 0x3f2aaaaa, v12
	v_sub_f32_e32 v9, v12, v9
	v_sub_f32_e32 v9, v11, v9
	v_add_f32_e32 v11, 0xbf2aaaaa, v13
	v_add_f32_e32 v9, 0x31739010, v9
	v_sub_f32_e32 v11, v12, v11
	v_pk_mul_f32 v[14:15], v[8:9], v[10:11]
	v_pk_add_f32 v[16:17], v[8:9], v[10:11]
	v_fma_f32 v12, v10, v8, -v14
	v_fmac_f32_e32 v12, v10, v18
	v_mov_b32_e32 v15, v17
	v_fmac_f32_e32 v12, v19, v8
	v_pk_add_f32 v[10:11], v[14:15], v[12:13]
	v_ldexp_f32 v20, v18, 1
	v_sub_f32_e32 v9, v10, v14
	v_sub_f32_e32 v9, v12, v9
	;; [unrolled: 1-line block ×3, first 2 shown]
	v_add_f32_e32 v16, v17, v12
	v_pk_mul_f32 v[12:13], v[10:11], v[10:11] op_sel:[0,1] op_sel_hi:[1,0]
	v_cvt_f64_f32_e64 v[14:15], |v0|
	v_frexp_exp_i32_f64_e32 v13, v[14:15]
	v_subbrev_co_u32_e32 v13, vcc, 0, v13, vcc
	v_cvt_f32_i32_e32 v13, v13
	v_fma_f32 v14, v10, v11, -v12
	v_fmac_f32_e32 v14, v10, v16
	v_fmac_f32_e32 v14, v9, v11
	v_mul_f32_e32 v10, 0x3f317218, v13
	v_fma_f32 v16, v13, s2, -v10
	v_fmac_f32_e32 v16, 0xb102e308, v13
	v_ldexp_f32 v17, v8, 1
	v_add_f32_e32 v11, v12, v14
	v_pk_add_f32 v[8:9], v[10:11], v[16:17]
	v_mov_b32_e32 v18, v11
	v_mov_b32_e32 v19, v9
	;; [unrolled: 1-line block ×3, first 2 shown]
	v_pk_add_f32 v[12:13], v[18:19], v[12:13] neg_lo:[0,1] neg_hi:[0,1]
	v_mov_b32_e32 v15, v11
	v_pk_add_f32 v[12:13], v[14:15], v[12:13] neg_lo:[0,1] neg_hi:[0,1]
	v_mov_b32_e32 v17, v8
	v_add_f32_e32 v11, v20, v12
	v_add_f32_e32 v11, v11, v13
	v_pk_add_f32 v[12:13], v[8:9], v[10:11] neg_lo:[0,1] neg_hi:[0,1]
	v_pk_add_f32 v[14:15], v[8:9], v[10:11]
	v_mov_b32_e32 v22, v9
	v_mov_b32_e32 v13, v15
	v_pk_add_f32 v[18:19], v[16:17], v[12:13] neg_lo:[0,1] neg_hi:[0,1]
	v_pk_add_f32 v[12:13], v[16:17], v[12:13]
	v_mov_b32_e32 v10, v11
	v_pk_add_f32 v[16:17], v[12:13], v[8:9] op_sel:[1,0] op_sel_hi:[0,1] neg_lo:[0,1] neg_hi:[0,1]
	v_pk_add_f32 v[20:21], v[14:15], v[16:17] op_sel_hi:[1,0] neg_lo:[0,1] neg_hi:[0,1]
	v_mov_b32_e32 v14, v15
	v_mov_b32_e32 v15, v13
	;; [unrolled: 1-line block ×3, first 2 shown]
	v_pk_add_f32 v[14:15], v[14:15], v[22:23] neg_lo:[0,1] neg_hi:[0,1]
	v_mov_b32_e32 v11, v8
	v_pk_add_f32 v[8:9], v[10:11], v[14:15] neg_lo:[0,1] neg_hi:[0,1]
	v_mov_b32_e32 v20, v18
	v_pk_add_f32 v[10:11], v[20:21], v[8:9]
	v_mov_b32_e32 v19, v13
	v_pk_add_f32 v[14:15], v[10:11], v[10:11] op_sel:[0,1] op_sel_hi:[1,0]
	s_mov_b32 s2, 0x7f800000
	v_pk_add_f32 v[12:13], v[12:13], v[14:15] op_sel:[1,0] op_sel_hi:[0,1]
	v_mov_b32_e32 v11, v12
	v_pk_add_f32 v[16:17], v[10:11], v[18:19] neg_lo:[0,1] neg_hi:[0,1]
	v_mov_b32_e32 v9, v14
	v_sub_f32_e32 v10, v10, v16
	v_pk_add_f32 v[8:9], v[8:9], v[16:17] neg_lo:[0,1] neg_hi:[0,1]
	v_sub_f32_e32 v10, v18, v10
	v_add_f32_e32 v8, v8, v10
	v_add_f32_e32 v8, v8, v9
	;; [unrolled: 1-line block ×3, first 2 shown]
	v_sub_f32_e32 v10, v9, v12
	v_sub_f32_e32 v8, v8, v10
	v_mul_f32_e32 v10, v7, v9
	v_fma_f32 v9, v7, v9, -v10
	v_fmac_f32_e32 v9, v7, v8
	v_add_f32_e32 v8, v10, v9
	v_cmp_class_f32_e64 vcc, v10, s3
	v_sub_f32_e32 v11, v8, v10
	v_sub_f32_e32 v9, v9, v11
	v_cndmask_b32_e32 v8, v8, v10, vcc
	v_cmp_eq_f32_e32 vcc, s61, v8
	v_mov_b32_e32 v10, 0x37000000
	s_nop 0
	v_cndmask_b32_e32 v10, 0, v10, vcc
	v_sub_f32_e32 v11, v8, v10
	v_mul_f32_e32 v12, 0x3fb8aa3b, v11
	v_fma_f32 v13, v11, s44, -v12
	v_rndne_f32_e32 v14, v12
	v_fmac_f32_e32 v13, 0x32a5705f, v11
	v_sub_f32_e32 v12, v12, v14
	v_add_f32_e32 v12, v12, v13
	v_exp_f32_e32 v12, v12
	v_cvt_i32_f32_e32 v13, v14
	v_cmp_neq_f32_e64 vcc, |v8|, s2
	s_nop 1
	v_cndmask_b32_e32 v8, 0, v9, vcc
	v_ldexp_f32 v9, v12, v13
	v_cmp_ngt_f32_e32 vcc, s33, v11
	v_add_f32_e32 v8, v10, v8
	s_nop 0
	v_cndmask_b32_e32 v9, 0, v9, vcc
	v_cmp_nlt_f32_e32 vcc, s61, v11
	s_nop 1
	v_cndmask_b32_e32 v9, v81, v9, vcc
	v_fma_f32 v8, v9, v8, v9
	v_cmp_class_f32_e64 vcc, v9, s3
	v_cmp_class_f32_e64 s[2:3], v0, s3
	s_nop 0
	v_cndmask_b32_e32 v8, v8, v9, vcc
	v_trunc_f32_e32 v9, v7
	v_cmp_eq_f32_e32 vcc, v9, v7
	v_mul_f32_e32 v9, 0.5, v7
	v_trunc_f32_e32 v10, v9
	v_cmp_neq_f32_e64 s[38:39], v10, v9
	s_and_b64 s[38:39], vcc, s[38:39]
	v_mov_b32_e32 v10, 0x7fc00000
	v_cndmask_b32_e64 v9, 1.0, v0, s[38:39]
	v_bfi_b32 v8, s50, v8, v9
	v_cndmask_b32_e32 v9, v10, v8, vcc
	v_cmp_gt_f32_e32 vcc, 0, v0
	s_nop 1
	v_cndmask_b32_e32 v8, v8, v9, vcc
	v_cmp_eq_f32_e32 vcc, 0, v0
	s_xor_b64 s[40:41], s[40:41], vcc
	v_cndmask_b32_e64 v7, v81, 0, s[40:41]
	v_cndmask_b32_e64 v9, 0, v0, s[38:39]
	v_bfi_b32 v7, s50, v7, v9
	s_or_b64 vcc, vcc, s[2:3]
	v_cndmask_b32_e32 v7, v8, v7, vcc
	v_cmp_o_f32_e32 vcc, v0, v0
	s_nop 1
	v_cndmask_b32_e32 v96, v10, v7, vcc
.LBB19_18:                              ;   in Loop: Header=BB19_13 Depth=1
	v_readlane_b32 s2, v254, 3
	s_nop 1
	v_mul_lo_u32 v0, v6, s2
	v_sub_u32_e32 v0, v3, v0
	v_ashrrev_i32_e32 v3, 31, v0
	v_readlane_b32 s2, v254, 29
	v_sub_u32_e32 v6, 0, v0
	v_max_i32_e32 v0, v0, v6
	v_xor_b32_e32 v3, s2, v3
	v_readlane_b32 s2, v254, 30
	s_nop 1
	v_mul_hi_u32 v6, v0, s2
	v_readlane_b32 s2, v254, 31
	s_nop 1
	v_mul_lo_u32 v7, v6, s2
	v_sub_u32_e32 v0, v0, v7
	v_add_u32_e32 v7, 1, v6
	v_subrev_u32_e32 v8, s2, v0
	v_cmp_le_u32_e32 vcc, s2, v0
	s_nop 1
	v_cndmask_b32_e32 v6, v6, v7, vcc
	v_cndmask_b32_e32 v0, v0, v8, vcc
	v_add_u32_e32 v7, 1, v6
	v_cmp_le_u32_e32 vcc, s2, v0
	v_readlane_b32 s2, v255, 1
	v_readlane_b32 s3, v255, 2
	v_cndmask_b32_e32 v0, v6, v7, vcc
	v_xor_b32_e32 v0, v0, v3
	s_andn2_b64 vcc, exec, s[2:3]
	v_sub_u32_e32 v6, v0, v3
	s_cbranch_vccnz .LBB19_20
; %bb.19:                               ;   in Loop: Header=BB19_13 Depth=1
	v_readlane_b32 s2, v254, 0
	v_readlane_b32 s76, v254, 32
	;; [unrolled: 1-line block ×3, first 2 shown]
	v_mul_lo_u32 v0, v1, s2
	v_add_u32_e32 v8, v6, v0
	v_ashrrev_i32_e32 v9, 31, v8
	v_lshlrev_b64 v[8:9], 2, v[8:9]
	v_readlane_b32 s87, v254, 43
	v_readlane_b32 s77, v254, 33
	;; [unrolled: 1-line block ×3, first 2 shown]
	v_lshl_add_u64 v[8:9], s[86:87], 0, v[8:9]
	global_load_dword v0, v[8:9], off
	v_readlane_b32 s79, v254, 35
	v_readlane_b32 s80, v254, 36
	;; [unrolled: 1-line block ×11, first 2 shown]
	s_waitcnt vmcnt(0)
	v_readfirstlane_b32 s2, v0
	s_ashr_i32 s3, s2, 31
	s_lshr_b32 s3, s3, 26
	s_add_i32 s2, s2, s3
	s_ashr_i32 s2, s2, 6
	s_min_i32 s63, s63, s2
	s_branch .LBB19_21
.LBB19_20:                              ;   in Loop: Header=BB19_13 Depth=1
	v_readlane_b32 s76, v254, 32
	v_readlane_b32 s77, v254, 33
	;; [unrolled: 1-line block ×16, first 2 shown]
.LBB19_21:                              ;   in Loop: Header=BB19_13 Depth=1
	v_readlane_b32 s2, v254, 60
	v_readlane_b32 s68, v254, 25
	;; [unrolled: 1-line block ×3, first 2 shown]
	v_mul_lo_u32 v0, s2, v1
	v_add_u32_e32 v0, v2, v0
	v_readlane_b32 s2, v254, 19
	v_mul_lo_u32 v44, v0, 56
	v_readlane_b32 s3, v254, 20
	v_mul_lo_u32 v0, s2, v4
	v_mul_hi_u32 v3, s2, v1
	v_add_u32_e32 v0, v3, v0
	v_mul_lo_u32 v3, s3, v1
	v_lshlrev_b64 v[8:9], 3, v[44:45]
	v_add_u32_e32 v107, v0, v3
	v_mul_lo_u32 v106, s2, v1
	v_mul_lo_u32 v102, v5, s71
	v_lshl_add_u64 v[90:91], s[88:89], 0, v[8:9]
	v_lshl_add_u64 v[8:9], s[80:81], 0, v[106:107]
	v_ashrrev_i32_e32 v103, 31, v102
	v_ashrrev_i32_e32 v3, 31, v2
	v_lshl_add_u64 v[94:95], v[8:9], 0, v[102:103]
	v_lshlrev_b64 v[8:9], 2, v[2:3]
	v_readlane_b32 s2, v254, 61
	v_lshl_add_u64 v[8:9], s[84:85], 0, v[8:9]
	v_readlane_b32 s3, v254, 62
	v_readlane_b32 s69, v254, 26
	v_mul_lo_u32 v0, s68, v4
	v_cndmask_b32_e64 v93, v9, 0, s[2:3]
	v_cndmask_b32_e64 v92, v8, 0, s[2:3]
	v_readlane_b32 s2, v254, 10
	v_readlane_b32 s3, v254, 11
	v_mul_lo_u32 v108, s68, v1
	v_mul_lo_u32 v2, v2, s2
	;; [unrolled: 1-line block ×3, first 2 shown]
	v_ashrrev_i32_e32 v9, 31, v8
	v_lshl_add_u64 v[8:9], s[76:77], 0, v[8:9]
	v_ashrrev_i32_e32 v3, 31, v2
	v_lshl_add_u64 v[110:111], v[8:9], 0, v[2:3]
	v_mul_hi_u32 v2, s68, v1
	v_readlane_b32 s2, v254, 23
	v_add_u32_e32 v0, v2, v0
	v_mul_lo_u32 v2, s69, v1
	v_readlane_b32 s3, v254, 24
	v_add_u32_e32 v109, v0, v2
	v_lshl_add_u64 v[2:3], s[78:79], 0, v[108:109]
	v_mul_lo_u32 v104, v5, s3
	v_ashrrev_i32_e32 v105, 31, v104
	v_lshlrev_b32_e32 v87, 6, v6
	v_lshl_add_u64 v[100:101], v[2:3], 0, v[104:105]
	s_cmp_lg_u32 s72, 0
	v_add_u32_e32 v86, v39, v87
	v_readlane_b32 s70, v254, 27
	s_cbranch_scc0 .LBB19_98
; %bb.22:                               ;   in Loop: Header=BB19_13 Depth=1
	v_cmp_gt_i32_e64 s[40:41], s60, v86
	v_cmp_le_i32_e32 vcc, s60, v86
	s_and_saveexec_b64 s[2:3], vcc
	s_xor_b64 s[2:3], exec, s[2:3]
; %bb.23:                               ;   in Loop: Header=BB19_13 Depth=1
	v_add_u32_e32 v0, v210, v166
	ds_write_b32 v0, v45
; %bb.24:                               ;   in Loop: Header=BB19_13 Depth=1
	s_andn2_saveexec_b64 s[2:3], s[2:3]
	s_cbranch_execz .LBB19_26
; %bb.25:                               ;   in Loop: Header=BB19_13 Depth=1
	v_mad_u64_u32 v[0:1], s[38:39], v86, s56, v[38:39]
	v_ashrrev_i32_e32 v1, 31, v0
	v_lshl_add_u64 v[0:1], v[0:1], 3, v[110:111]
	global_load_dwordx2 v[0:1], v[0:1], off
	s_waitcnt vmcnt(0)
	v_cvt_pk_f16_f32 v0, v0, v1
	v_pk_mul_f16 v0, v0, v240
	v_add_u32_e32 v1, v210, v166
	ds_write_b32 v1, v0
.LBB19_26:                              ;   in Loop: Header=BB19_13 Depth=1
	s_or_b64 exec, exec, s[2:3]
	v_add_u32_e32 v162, v212, v87
	v_cmp_gt_i32_e64 s[2:3], s60, v162
	v_cmp_le_i32_e32 vcc, s60, v162
	s_nop 0
	v_writelane_b32 v255, s2, 32
	s_nop 1
	v_writelane_b32 v255, s3, 33
	s_and_saveexec_b64 s[2:3], vcc
	s_xor_b64 s[2:3], exec, s[2:3]
; %bb.27:                               ;   in Loop: Header=BB19_13 Depth=1
	v_add_u32_e32 v0, v210, v166
	ds_write_b32 v0, v45 offset:1920
; %bb.28:                               ;   in Loop: Header=BB19_13 Depth=1
	s_andn2_saveexec_b64 s[2:3], s[2:3]
	s_cbranch_execz .LBB19_30
; %bb.29:                               ;   in Loop: Header=BB19_13 Depth=1
	v_mad_u64_u32 v[0:1], s[38:39], v162, s56, v[38:39]
	v_ashrrev_i32_e32 v1, 31, v0
	v_lshl_add_u64 v[0:1], v[0:1], 3, v[110:111]
	global_load_dwordx2 v[0:1], v[0:1], off
	s_waitcnt vmcnt(0)
	v_cvt_pk_f16_f32 v0, v0, v1
	v_pk_mul_f16 v0, v0, v240
	v_add_u32_e32 v1, v210, v166
	ds_write_b32 v1, v0 offset:1920
.LBB19_30:                              ;   in Loop: Header=BB19_13 Depth=1
	s_or_b64 exec, exec, s[2:3]
	v_add_u32_e32 v161, v201, v87
	v_cmp_gt_i32_e64 s[2:3], s60, v161
	v_cmp_le_i32_e32 vcc, s60, v161
	s_nop 0
	v_writelane_b32 v255, s2, 34
	s_nop 1
	v_writelane_b32 v255, s3, 35
	s_and_saveexec_b64 s[2:3], vcc
	s_xor_b64 s[2:3], exec, s[2:3]
; %bb.31:                               ;   in Loop: Header=BB19_13 Depth=1
	v_add_u32_e32 v0, v210, v166
	ds_write_b32 v0, v45 offset:3840
; %bb.32:                               ;   in Loop: Header=BB19_13 Depth=1
	s_andn2_saveexec_b64 s[2:3], s[2:3]
	s_cbranch_execz .LBB19_34
; %bb.33:                               ;   in Loop: Header=BB19_13 Depth=1
	v_mad_u64_u32 v[0:1], s[38:39], v161, s56, v[38:39]
	v_ashrrev_i32_e32 v1, 31, v0
	v_lshl_add_u64 v[0:1], v[0:1], 3, v[110:111]
	global_load_dwordx2 v[0:1], v[0:1], off
	s_waitcnt vmcnt(0)
	v_cvt_pk_f16_f32 v0, v0, v1
	v_pk_mul_f16 v0, v0, v240
	v_add_u32_e32 v1, v210, v166
	ds_write_b32 v1, v0 offset:3840
.LBB19_34:                              ;   in Loop: Header=BB19_13 Depth=1
	;; [unrolled: 27-line block ×7, first 2 shown]
	s_or_b64 exec, exec, s[2:3]
	v_add_u32_e32 v88, v51, v87
	v_cmp_gt_i32_e64 s[52:53], s60, v88
	v_cmp_le_i32_e32 vcc, s60, v88
	s_and_saveexec_b64 s[2:3], vcc
	s_xor_b64 s[2:3], exec, s[2:3]
; %bb.55:                               ;   in Loop: Header=BB19_13 Depth=1
	ds_write_b32 v229, v45 offset:128
; %bb.56:                               ;   in Loop: Header=BB19_13 Depth=1
	s_andn2_saveexec_b64 s[2:3], s[2:3]
	s_cbranch_execz .LBB19_58
; %bb.57:                               ;   in Loop: Header=BB19_13 Depth=1
	v_mul_lo_u32 v0, v88, s56
	v_ashrrev_i32_e32 v1, 31, v0
	v_lshl_add_u64 v[0:1], v[0:1], 0, v[40:41]
	v_lshl_add_u64 v[0:1], v[0:1], 3, v[110:111]
	global_load_dwordx2 v[0:1], v[0:1], off offset:256
	s_waitcnt vmcnt(0)
	v_cvt_pk_f16_f32 v0, v0, v1
	v_pk_mul_f16 v0, v0, v240
	v_add_u32_e32 v1, v227, v77
	ds_write_b32 v1, v0 offset:128
.LBB19_58:                              ;   in Loop: Header=BB19_13 Depth=1
	s_or_b64 exec, exec, s[2:3]
	v_add_u32_e32 v79, v82, v87
	v_cmp_gt_i32_e64 s[2:3], s60, v79
	v_cmp_le_i32_e32 vcc, s60, v79
	s_nop 0
	v_writelane_b32 v255, s2, 40
	s_nop 1
	v_writelane_b32 v255, s3, 41
	s_and_saveexec_b64 s[2:3], vcc
	s_xor_b64 s[2:3], exec, s[2:3]
; %bb.59:                               ;   in Loop: Header=BB19_13 Depth=1
	v_add_u32_e32 v0, 0xf00, v229
	ds_write_b32 v0, v45 offset:128
; %bb.60:                               ;   in Loop: Header=BB19_13 Depth=1
	s_andn2_saveexec_b64 s[2:3], s[2:3]
	s_cbranch_execz .LBB19_62
; %bb.61:                               ;   in Loop: Header=BB19_13 Depth=1
	v_mul_lo_u32 v0, v79, s56
	v_ashrrev_i32_e32 v1, 31, v0
	v_lshl_add_u64 v[0:1], v[0:1], 0, v[40:41]
	v_lshl_add_u64 v[0:1], v[0:1], 3, v[110:111]
	global_load_dwordx2 v[0:1], v[0:1], off offset:256
	s_waitcnt vmcnt(0)
	v_cvt_pk_f16_f32 v0, v0, v1
	v_pk_mul_f16 v0, v0, v240
	v_add_u32_e32 v1, v227, v77
	ds_write_b32 v1, v0 offset:3968
.LBB19_62:                              ;   in Loop: Header=BB19_13 Depth=1
	s_or_b64 exec, exec, s[2:3]
	v_add_u32_e32 v78, v218, v87
	v_cmp_gt_i32_e64 s[2:3], s60, v78
	v_cmp_le_i32_e32 vcc, s60, v78
	s_nop 0
	v_writelane_b32 v255, s2, 16
	s_nop 1
	v_writelane_b32 v255, s3, 17
	s_and_saveexec_b64 s[2:3], vcc
	s_xor_b64 s[2:3], exec, s[2:3]
; %bb.63:                               ;   in Loop: Header=BB19_13 Depth=1
	v_add_u32_e32 v0, 0x1e00, v229
	;; [unrolled: 28-line block ×3, first 2 shown]
	ds_write_b32 v0, v45 offset:128
; %bb.68:                               ;   in Loop: Header=BB19_13 Depth=1
	s_andn2_saveexec_b64 s[2:3], s[2:3]
	s_cbranch_execz .LBB19_70
; %bb.69:                               ;   in Loop: Header=BB19_13 Depth=1
	v_mul_lo_u32 v0, v62, s56
	v_ashrrev_i32_e32 v1, 31, v0
	v_lshl_add_u64 v[0:1], v[0:1], 0, v[40:41]
	v_lshl_add_u64 v[0:1], v[0:1], 3, v[110:111]
	global_load_dwordx2 v[0:1], v[0:1], off offset:256
	s_waitcnt vmcnt(0)
	v_cvt_pk_f16_f32 v0, v0, v1
	v_pk_mul_f16 v0, v0, v240
	v_add_u32_e32 v1, v227, v77
	ds_write_b32 v1, v0 offset:11648
.LBB19_70:                              ;   in Loop: Header=BB19_13 Depth=1
	s_or_b64 exec, exec, s[2:3]
	v_add_u32_e32 v63, v53, v87
	v_cmp_gt_i32_e64 s[2:3], s60, v63
	v_cmp_le_i32_e32 vcc, s60, v63
	s_nop 0
	v_writelane_b32 v255, s2, 38
	s_nop 1
	v_writelane_b32 v255, s3, 39
	s_and_saveexec_b64 s[2:3], vcc
	s_xor_b64 s[2:3], exec, s[2:3]
; %bb.71:                               ;   in Loop: Header=BB19_13 Depth=1
	ds_write_b32 v199, v45 offset:192
; %bb.72:                               ;   in Loop: Header=BB19_13 Depth=1
	s_andn2_saveexec_b64 s[2:3], s[2:3]
	s_cbranch_execz .LBB19_74
; %bb.73:                               ;   in Loop: Header=BB19_13 Depth=1
	v_mul_lo_u32 v0, v63, s56
	v_ashrrev_i32_e32 v1, 31, v0
	v_lshl_add_u64 v[0:1], v[0:1], 0, v[72:73]
	v_lshl_add_u64 v[0:1], v[0:1], 3, v[110:111]
	global_load_dwordx2 v[0:1], v[0:1], off offset:384
	s_waitcnt vmcnt(0)
	v_cvt_pk_f16_f32 v0, v0, v1
	v_pk_mul_f16 v0, v0, v240
	v_add_u32_e32 v1, v198, v226
	ds_write_b32 v1, v0 offset:192
.LBB19_74:                              ;   in Loop: Header=BB19_13 Depth=1
	s_or_b64 exec, exec, s[2:3]
	v_add_u32_e32 v85, v196, v87
	v_cmp_gt_i32_e64 s[2:3], s60, v85
	v_cmp_le_i32_e32 vcc, s60, v85
	s_nop 0
	v_writelane_b32 v255, s2, 30
	s_nop 1
	v_writelane_b32 v255, s3, 31
	s_and_saveexec_b64 s[2:3], vcc
	s_xor_b64 s[2:3], exec, s[2:3]
; %bb.75:                               ;   in Loop: Header=BB19_13 Depth=1
	ds_write_b32 v200, v45 offset:192
; %bb.76:                               ;   in Loop: Header=BB19_13 Depth=1
	s_andn2_saveexec_b64 s[2:3], s[2:3]
	s_cbranch_execz .LBB19_78
; %bb.77:                               ;   in Loop: Header=BB19_13 Depth=1
	v_mul_lo_u32 v0, v85, s56
	v_ashrrev_i32_e32 v1, 31, v0
	v_lshl_add_u64 v[0:1], v[0:1], 0, v[72:73]
	v_lshl_add_u64 v[0:1], v[0:1], 3, v[110:111]
	global_load_dwordx2 v[0:1], v[0:1], off offset:384
	s_waitcnt vmcnt(0)
	v_cvt_pk_f16_f32 v0, v0, v1
	v_pk_mul_f16 v0, v0, v240
	v_add_u32_e32 v1, v198, v226
	ds_write_b32 v1, v0 offset:7872
.LBB19_78:                              ;   in Loop: Header=BB19_13 Depth=1
	s_or_b64 exec, exec, s[2:3]
	s_waitcnt lgkmcnt(0)
	s_barrier
	ds_read2_b64 v[10:13], v61 offset1:4
	ds_read2_b64 v[6:9], v61 offset0:8 offset1:12
	ds_read2_b64 v[2:5], v61 offset0:16 offset1:20
	ds_read_b64 v[112:113], v61 offset:192
	s_add_i32 s50, s63, -1
	s_cmp_ge_i32 s72, s50
	s_waitcnt lgkmcnt(0)
	s_barrier
	s_cbranch_scc1 .LBB19_99
; %bb.79:                               ;   in Loop: Header=BB19_13 Depth=1
	v_add_u32_e32 v0, v87, v168
	v_mul_hi_u32 v1, s48, v0
	v_add_u32_e32 v1, v0, v1
	v_lshrrev_b32_e32 v1, s49, v1
	v_mul_lo_u32 v1, v1, s60
	v_sub_u32_e32 v0, v0, v1
	v_readlane_b32 s38, v254, 54
	v_lshlrev_b32_e32 v44, 1, v42
	v_cmp_ne_u64_e64 s[68:69], 0, v[98:99]
	v_mad_i64_i32 v[116:117], s[2:3], v0, s38, 0
	v_add_u32_e32 v0, 4, v168
	v_add_u32_e32 v0, v87, v0
	v_mul_hi_u32 v1, s48, v0
	v_add_u32_e32 v1, v0, v1
	v_lshrrev_b32_e32 v1, s49, v1
	v_mul_lo_u32 v1, v1, s60
	v_sub_u32_e32 v0, v0, v1
	v_mad_i64_i32 v[118:119], s[2:3], v0, s38, 0
	v_add_u32_e32 v0, 8, v168
	v_add_u32_e32 v0, v87, v0
	v_mul_hi_u32 v1, s48, v0
	v_add_u32_e32 v1, v0, v1
	v_lshrrev_b32_e32 v1, s49, v1
	v_mul_lo_u32 v1, v1, s60
	v_sub_u32_e32 v0, v0, v1
	;; [unrolled: 8-line block ×15, first 2 shown]
	v_mad_i64_i32 v[146:147], s[2:3], v0, s38, 0
	v_and_b32_e32 v0, 64, v83
	v_add_u32_e32 v0, 64, v0
	v_xor_b32_e32 v1, 32, v83
	v_cmp_lt_i32_e32 vcc, v1, v0
	v_lshl_add_u64 v[114:115], v[98:99], 0, v[44:45]
	v_mov_b32_e32 v148, v96
	v_cndmask_b32_e32 v1, v83, v1, vcc
	v_lshlrev_b32_e32 v164, 2, v1
	v_xor_b32_e32 v1, 16, v83
	v_cmp_lt_i32_e32 vcc, v1, v0
	v_mov_b32_e32 v149, v96
	s_lshl_b32 s2, s72, 6
	v_cndmask_b32_e32 v0, v83, v1, vcc
	v_lshlrev_b32_e32 v165, 2, v0
	v_mov_b32_e32 v150, 0
	v_mov_b32_e32 v221, 0xfeffffff
	;; [unrolled: 1-line block ×16, first 2 shown]
	v_readlane_b32 s39, v254, 55
.LBB19_80:                              ;   Parent Loop BB19_13 Depth=1
                                        ; =>  This Inner Loop Header: Depth=2
	v_cndmask_b32_e64 v0, 0, 1, s[68:69]
	v_cmp_ne_u32_e64 s[70:71], 1, v0
	s_andn2_b64 vcc, exec, s[68:69]
	s_ashr_i32 s3, s2, 31
	s_cbranch_vccnz .LBB19_90
; %bb.81:                               ;   in Loop: Header=BB19_80 Depth=2
	s_and_saveexec_b64 s[38:39], s[54:55]
	s_xor_b64 s[38:39], exec, s[38:39]
	s_cbranch_execz .LBB19_83
; %bb.82:                               ;   in Loop: Header=BB19_80 Depth=2
	ds_write_b16 v169, v45 offset:15360
	ds_write_b16 v242, v45 offset:15360
	ds_write_b16 v244, v45 offset:15360
	ds_write_b16 v246, v45 offset:15360
.LBB19_83:                              ;   in Loop: Header=BB19_80 Depth=2
	s_or_saveexec_b64 s[38:39], s[38:39]
	v_lshl_add_u64 v[14:15], s[2:3], 1, v[114:115]
	v_mov_b32_e32 v1, 0
	v_mov_b32_e32 v16, 0
	;; [unrolled: 1-line block ×4, first 2 shown]
	s_xor_b64 exec, exec, s[38:39]
	s_cbranch_execz .LBB19_85
; %bb.84:                               ;   in Loop: Header=BB19_80 Depth=2
	v_lshl_add_u64 v[0:1], v[116:117], 1, v[14:15]
	global_load_ushort v16, v[0:1], off
	v_lshl_add_u64 v[0:1], v[118:119], 1, v[14:15]
	global_load_ushort v17, v[0:1], off
	;; [unrolled: 2-line block ×4, first 2 shown]
	s_waitcnt vmcnt(3)
	ds_write_b16 v169, v16 offset:15360
	s_waitcnt vmcnt(2)
	ds_write_b16 v242, v17 offset:15360
	;; [unrolled: 2-line block ×4, first 2 shown]
	v_lshl_add_u64 v[0:1], v[124:125], 1, v[14:15]
	v_lshl_add_u64 v[16:17], v[126:127], 1, v[14:15]
	;; [unrolled: 1-line block ×3, first 2 shown]
	global_load_ushort v1, v[0:1], off
	s_nop 0
	global_load_ushort v16, v[16:17], off
	s_nop 0
	global_load_ushort v17, v[18:19], off
	v_lshl_add_u64 v[18:19], v[130:131], 1, v[14:15]
	global_load_ushort v18, v[18:19], off
.LBB19_85:                              ;   in Loop: Header=BB19_80 Depth=2
	s_or_b64 exec, exec, s[38:39]
	s_waitcnt vmcnt(3)
	ds_write_b16 v248, v1 offset:15360
	s_waitcnt vmcnt(2)
	ds_write_b16 v250, v16 offset:15360
	;; [unrolled: 2-line block ×4, first 2 shown]
	s_and_saveexec_b64 s[38:39], s[54:55]
	s_xor_b64 s[38:39], exec, s[38:39]
	s_cbranch_execz .LBB19_87
; %bb.86:                               ;   in Loop: Header=BB19_80 Depth=2
	ds_write_b16 v219, v45 offset:15360
	ds_write_b16 v235, v45 offset:15360
	;; [unrolled: 1-line block ×4, first 2 shown]
                                        ; implicit-def: $vgpr14_vgpr15
.LBB19_87:                              ;   in Loop: Header=BB19_80 Depth=2
	s_or_saveexec_b64 s[38:39], s[38:39]
	v_mov_b32_e32 v1, 0
	v_mov_b32_e32 v16, 0
	;; [unrolled: 1-line block ×4, first 2 shown]
	s_xor_b64 exec, exec, s[38:39]
	s_cbranch_execz .LBB19_89
; %bb.88:                               ;   in Loop: Header=BB19_80 Depth=2
	v_lshl_add_u64 v[0:1], v[132:133], 1, v[14:15]
	global_load_ushort v16, v[0:1], off
	v_lshl_add_u64 v[0:1], v[134:135], 1, v[14:15]
	global_load_ushort v17, v[0:1], off
	;; [unrolled: 2-line block ×4, first 2 shown]
	s_waitcnt vmcnt(3)
	ds_write_b16 v219, v16 offset:15360
	s_waitcnt vmcnt(2)
	ds_write_b16 v235, v17 offset:15360
	;; [unrolled: 2-line block ×4, first 2 shown]
	v_lshl_add_u64 v[0:1], v[140:141], 1, v[14:15]
	v_lshl_add_u64 v[16:17], v[142:143], 1, v[14:15]
	;; [unrolled: 1-line block ×4, first 2 shown]
	global_load_ushort v1, v[0:1], off
	s_nop 0
	global_load_ushort v16, v[16:17], off
	s_nop 0
	;; [unrolled: 2-line block ×3, first 2 shown]
	global_load_ushort v18, v[14:15], off
.LBB19_89:                              ;   in Loop: Header=BB19_80 Depth=2
	s_or_b64 exec, exec, s[38:39]
	s_waitcnt vmcnt(3)
	ds_write_b16 v217, v1 offset:15360
	s_waitcnt vmcnt(2)
	ds_write_b16 v209, v16 offset:15360
	;; [unrolled: 2-line block ×4, first 2 shown]
.LBB19_90:                              ;   in Loop: Header=BB19_80 Depth=2
	s_mul_hi_i32 s39, s2, s42
	s_mul_i32 s38, s2, s42
	s_lshl_b64 s[38:39], s[38:39], 2
	v_lshl_add_u64 v[14:15], v[100:101], 0, s[38:39]
	scratch_store_dwordx4 off, v[230:233], off
	s_and_saveexec_b64 s[38:39], s[4:5]
	s_cbranch_execz .LBB19_92
; %bb.91:                               ;   in Loop: Header=BB19_80 Depth=2
	v_lshl_add_u64 v[0:1], v[58:59], 2, v[14:15]
	v_lshlrev_b32_e32 v44, 2, v60
	v_lshl_add_u64 v[0:1], v[0:1], 0, v[44:45]
	global_load_dwordx4 v[16:19], v[0:1], off offset:192
	s_waitcnt vmcnt(0)
	ds_write_b128 v178, v[16:19]
.LBB19_92:                              ;   in Loop: Header=BB19_80 Depth=2
	s_or_b64 exec, exec, s[38:39]
	v_lshl_add_u64 v[0:1], v[48:49], 2, v[14:15]
	v_lshlrev_b32_e32 v44, 2, v50
	v_lshl_add_u64 v[0:1], v[0:1], 0, v[44:45]
	v_lshl_add_u64 v[0:1], v[0:1], 0, s[46:47]
	v_mov_b32_e32 v20, s45
	v_lshl_add_u64 v[16:17], v[54:55], 2, v[14:15]
	v_lshlrev_b32_e32 v34, 2, v52
	v_mov_b32_e32 v35, v45
	v_lshl_add_u64 v[14:15], v[56:57], 2, v[14:15]
	v_cndmask_b32_e64 v1, v20, v1, s[6:7]
	v_cndmask_b32_e64 v0, v84, v0, s[6:7]
	v_lshl_add_u64 v[16:17], v[16:17], 0, v[34:35]
	v_lshl_add_u64 v[14:15], v[14:15], 0, v[34:35]
	v_cndmask_b32_e64 v19, v20, v17, s[8:9]
	v_cndmask_b32_e64 v18, v84, v16, s[8:9]
	;; [unrolled: 1-line block ×4, first 2 shown]
	flat_load_dwordx4 v[14:17], v[0:1]
	s_and_b64 vcc, exec, s[70:71]
	s_waitcnt vmcnt(0) lgkmcnt(0)
	ds_write_b128 v172, v[14:17]
	flat_load_dwordx4 v[14:17], v[18:19]
	s_waitcnt vmcnt(0) lgkmcnt(0)
	ds_write_b128 v174, v[14:17]
	flat_load_dwordx4 v[14:17], v[22:23]
	s_waitcnt vmcnt(0) lgkmcnt(0)
	ds_write_b128 v176, v[14:17]
	s_waitcnt lgkmcnt(0)
	s_barrier
	ds_read2_b64 v[14:17], v177 offset1:4
	s_waitcnt lgkmcnt(0)
	v_mfma_f32_16x16x16_f16 v[22:25], v[14:15], v[10:11], 0
	ds_read_b64 v[0:1], v177 offset:192
	v_mfma_f32_16x16x16_f16 v[14:17], v[16:17], v[12:13], v[22:25]
	s_nop 5
	ds_read2_b64 v[22:25], v177 offset0:8 offset1:12
	s_waitcnt lgkmcnt(0)
	v_mfma_f32_16x16x16_f16 v[14:17], v[22:23], v[6:7], v[14:17]
	v_mfma_f32_16x16x16_f16 v[14:17], v[24:25], v[8:9], v[14:17]
	ds_read2_b64 v[22:25], v177 offset0:16 offset1:20
	s_waitcnt lgkmcnt(0)
	v_mfma_f32_16x16x16_f16 v[14:17], v[22:23], v[2:3], v[14:17]
	v_mfma_f32_16x16x16_f16 v[14:17], v[24:25], v[4:5], v[14:17]
	;; [unrolled: 1-line block ×3, first 2 shown]
	v_add_u32_e32 v0, 0x800, v177
	s_nop 5
	ds_read2_b64 v[14:17], v0 offset0:224 offset1:228
	s_waitcnt lgkmcnt(0)
	v_mfma_f32_16x16x16_f16 v[22:25], v[14:15], v[10:11], 0
	v_mfma_f32_16x16x16_f16 v[14:17], v[16:17], v[12:13], v[22:25]
	s_nop 6
	ds_read2_b64 v[22:25], v0 offset0:232 offset1:236
	s_waitcnt lgkmcnt(0)
	v_mfma_f32_16x16x16_f16 v[14:17], v[22:23], v[6:7], v[14:17]
	v_mfma_f32_16x16x16_f16 v[14:17], v[24:25], v[8:9], v[14:17]
	ds_read2_b64 v[22:25], v0 offset0:240 offset1:244
	ds_read_b64 v[0:1], v177 offset:4032
	s_waitcnt lgkmcnt(1)
	v_mfma_f32_16x16x16_f16 v[14:17], v[22:23], v[2:3], v[14:17]
	v_mfma_f32_16x16x16_f16 v[14:17], v[24:25], v[4:5], v[14:17]
	s_waitcnt lgkmcnt(0)
	v_mfma_f32_16x16x16_f16 v[16:19], v[0:1], v[112:113], v[14:17]
	v_add_u32_e32 v0, 0x1800, v177
	ds_read2_b64 v[22:25], v0 offset0:192 offset1:196
	s_waitcnt lgkmcnt(0)
	v_mfma_f32_16x16x16_f16 v[30:33], v[22:23], v[10:11], 0
	v_mfma_f32_16x16x16_f16 v[22:25], v[24:25], v[12:13], v[30:33]
	s_nop 6
	ds_read2_b64 v[30:33], v0 offset0:200 offset1:204
	s_waitcnt lgkmcnt(0)
	v_mfma_f32_16x16x16_f16 v[22:25], v[30:31], v[6:7], v[22:25]
	v_mfma_f32_16x16x16_f16 v[22:25], v[32:33], v[8:9], v[22:25]
	ds_read2_b64 v[30:33], v0 offset0:208 offset1:212
	ds_read_b64 v[0:1], v177 offset:7872
	s_waitcnt lgkmcnt(1)
	v_mfma_f32_16x16x16_f16 v[22:25], v[30:31], v[2:3], v[22:25]
	v_mfma_f32_16x16x16_f16 v[22:25], v[32:33], v[4:5], v[22:25]
	s_waitcnt lgkmcnt(0)
	v_mfma_f32_16x16x16_f16 v[22:25], v[0:1], v[112:113], v[22:25]
	v_add_u32_e32 v0, 0x2800, v177
	ds_read2_b64 v[30:33], v0 offset0:160 offset1:164
	s_waitcnt lgkmcnt(0)
	v_mfma_f32_16x16x16_f16 v[202:205], v[30:31], v[10:11], 0
	v_mfma_f32_16x16x16_f16 v[30:33], v[32:33], v[12:13], v[202:205]
	s_nop 6
	ds_read2_b64 v[202:205], v0 offset0:168 offset1:172
	s_waitcnt lgkmcnt(0)
	v_mfma_f32_16x16x16_f16 v[30:33], v[202:203], v[6:7], v[30:33]
	v_mfma_f32_16x16x16_f16 v[30:33], v[204:205], v[8:9], v[30:33]
	ds_read2_b64 v[202:205], v0 offset0:176 offset1:180
	ds_read_b64 v[0:1], v177 offset:11712
	s_waitcnt lgkmcnt(0)
	v_mfma_f32_16x16x16_f16 v[30:33], v[202:203], v[2:3], v[30:33]
	s_barrier
	v_mfma_f32_16x16x16_f16 v[30:33], v[204:205], v[4:5], v[30:33]
	v_mfma_f32_16x16x16_f16 v[30:33], v[0:1], v[112:113], v[30:33]
	s_cbranch_vccnz .LBB19_94
; %bb.93:                               ;   in Loop: Header=BB19_80 Depth=2
	ds_read_b32 v0, v180 offset:15360
	ds_read_b32 v14, v181 offset:15360
	v_mov_b32_e32 v97, v96
	s_waitcnt lgkmcnt(1)
	v_cvt_f32_f16_sdwa v1, v0 dst_sel:DWORD dst_unused:UNUSED_PAD src0_sel:WORD_1
	v_cvt_f32_f16_e32 v0, v0
	v_pk_fma_f32 v[26:27], v[148:149], v[0:1], v[26:27]
	v_add_u32_e32 v0, 0x3c00, v191
	ds_read2_b32 v[0:1], v0 offset1:1
	s_waitcnt lgkmcnt(1)
	v_cvt_f32_f16_sdwa v15, v14 dst_sel:DWORD dst_unused:UNUSED_PAD src0_sel:WORD_1
	v_cvt_f32_f16_e32 v14, v14
	v_pk_fma_f32 v[28:29], v[96:97], v[14:15], v[28:29]
	s_waitcnt lgkmcnt(0)
	v_cvt_f32_f16_e32 v14, v0
	v_cvt_f32_f16_sdwa v15, v0 dst_sel:DWORD dst_unused:UNUSED_PAD src0_sel:WORD_1
	v_cvt_f32_f16_e32 v0, v1
	v_cvt_f32_f16_sdwa v1, v1 dst_sel:DWORD dst_unused:UNUSED_PAD src0_sel:WORD_1
	v_pk_fma_f32 v[16:17], v[148:149], v[14:15], v[16:17]
	v_pk_fma_f32 v[18:19], v[96:97], v[0:1], v[18:19]
	v_add_u32_e32 v0, 0x3c00, v193
	ds_read2_b32 v[0:1], v0 offset1:1
	s_waitcnt lgkmcnt(0)
	v_cvt_f32_f16_e32 v14, v0
	v_cvt_f32_f16_sdwa v15, v0 dst_sel:DWORD dst_unused:UNUSED_PAD src0_sel:WORD_1
	v_cvt_f32_f16_e32 v0, v1
	v_cvt_f32_f16_sdwa v1, v1 dst_sel:DWORD dst_unused:UNUSED_PAD src0_sel:WORD_1
	v_pk_fma_f32 v[22:23], v[148:149], v[14:15], v[22:23]
	v_pk_fma_f32 v[24:25], v[96:97], v[0:1], v[24:25]
	v_add_u32_e32 v0, 0x3c00, v195
	ds_read2_b32 v[0:1], v0 offset1:1
	s_waitcnt lgkmcnt(0)
	v_cvt_f32_f16_e32 v14, v0
	v_cvt_f32_f16_sdwa v15, v0 dst_sel:DWORD dst_unused:UNUSED_PAD src0_sel:WORD_1
	v_cvt_f32_f16_e32 v0, v1
	v_cvt_f32_f16_sdwa v1, v1 dst_sel:DWORD dst_unused:UNUSED_PAD src0_sel:WORD_1
	v_pk_fma_f32 v[30:31], v[148:149], v[14:15], v[30:31]
	v_pk_fma_f32 v[32:33], v[96:97], v[0:1], v[32:33]
.LBB19_94:                              ;   in Loop: Header=BB19_80 Depth=2
	v_add_f32_e32 v0, 0x40051340, v26
	v_max_f32_e32 v1, v221, v221
	v_max_f32_e32 v0, v1, v0
	v_cndmask_b32_e64 v0, v221, v0, s[12:13]
	v_add_f32_e32 v1, 0x40051340, v27
	v_max_f32_e32 v0, v0, v0
	v_max_f32_e32 v0, v0, v1
	v_cndmask_b32_e64 v0, v221, v0, s[12:13]
	;; [unrolled: 4-line block ×16, first 2 shown]
	ds_bpermute_b32 v1, v164, v0
	v_max_f32_e32 v0, v0, v0
	v_readlane_b32 s38, v254, 56
	v_readlane_b32 s39, v254, 57
	s_mul_hi_i32 s39, s2, s38
	s_waitcnt lgkmcnt(0)
	v_max_f32_e32 v1, v1, v1
	v_max_f32_e32 v1, v0, v1
	ds_bpermute_b32 v14, v165, v1
	s_mul_i32 s38, s2, s38
	s_lshl_b64 s[38:39], s[38:39], 2
	v_lshl_add_u64 v[36:37], v[94:95], 0, s[38:39]
	scratch_store_dwordx4 off, v[230:233], off
	s_and_saveexec_b64 s[38:39], s[4:5]
	s_cbranch_execz .LBB19_96
; %bb.95:                               ;   in Loop: Header=BB19_80 Depth=2
	v_lshl_add_u64 v[202:203], v[64:65], 2, v[36:37]
	v_lshlrev_b32_e32 v204, 2, v60
	v_mov_b32_e32 v205, v45
	v_lshl_add_u64 v[202:203], v[202:203], 0, v[204:205]
	global_load_dwordx4 v[202:205], v[202:203], off offset:192
	s_waitcnt vmcnt(0)
	ds_write_b128 v178, v[202:205]
.LBB19_96:                              ;   in Loop: Header=BB19_80 Depth=2
	s_or_b64 exec, exec, s[38:39]
	s_waitcnt lgkmcnt(0)
	v_max_f32_e32 v0, v14, v14
	v_max_f32_e32 v1, v1, v1
	;; [unrolled: 1-line block ×3, first 2 shown]
	v_sub_f32_e32 v0, v26, v97
	v_mul_f32_e32 v1, 0x3fb8aa3b, v0
	v_fma_f32 v14, v0, s44, -v1
	v_rndne_f32_e32 v15, v1
	v_fmac_f32_e32 v14, 0x32a5705f, v0
	v_sub_f32_e32 v1, v1, v15
	v_add_f32_e32 v1, v1, v14
	v_exp_f32_e32 v1, v1
	v_cvt_i32_f32_e32 v14, v15
	v_cmp_ngt_f32_e32 vcc, s33, v0
	s_add_i32 s72, s72, 1
	s_add_i32 s2, s2, 64
	v_ldexp_f32 v1, v1, v14
	v_cndmask_b32_e32 v1, 0, v1, vcc
	v_cmp_nlt_f32_e32 vcc, s61, v0
	s_cmp_lt_i32 s72, s50
	s_nop 0
	v_cndmask_b32_e32 v0, v81, v1, vcc
	v_sub_f32_e32 v1, v27, v97
	v_mul_f32_e32 v15, 0x3fb8aa3b, v1
	v_fma_f32 v20, v1, s44, -v15
	v_rndne_f32_e32 v26, v15
	v_fmac_f32_e32 v20, 0x32a5705f, v1
	v_sub_f32_e32 v15, v15, v26
	v_add_f32_e32 v15, v15, v20
	v_exp_f32_e32 v15, v15
	v_cvt_i32_f32_e32 v20, v26
	v_cmp_ngt_f32_e32 vcc, s33, v1
	v_cndmask_b32_e64 v14, 0, v0, s[12:13]
	v_ldexp_f32 v15, v15, v20
	v_cndmask_b32_e32 v15, 0, v15, vcc
	v_cmp_nlt_f32_e32 vcc, s61, v1
	v_mov_b32_e32 v1, s59
	s_nop 0
	v_cndmask_b32_e32 v15, v81, v15, vcc
	v_add_f32_e32 v0, v0, v15
	v_cndmask_b32_e64 v1, v1, v15, s[12:13]
	v_sub_f32_e32 v15, v28, v97
	v_mul_f32_e32 v20, 0x3fb8aa3b, v15
	v_fma_f32 v26, v15, s44, -v20
	v_rndne_f32_e32 v27, v20
	v_fmac_f32_e32 v26, 0x32a5705f, v15
	v_sub_f32_e32 v20, v20, v27
	v_add_f32_e32 v20, v20, v26
	v_exp_f32_e32 v20, v20
	v_cvt_i32_f32_e32 v26, v27
	v_cmp_ngt_f32_e32 vcc, s33, v15
	v_ldexp_f32 v20, v20, v26
	s_nop 0
	v_cndmask_b32_e32 v20, 0, v20, vcc
	v_cmp_nlt_f32_e32 vcc, s61, v15
	s_nop 1
	v_cndmask_b32_e32 v15, v81, v20, vcc
	v_mov_b32_e32 v20, s59
	v_add_f32_e32 v0, v0, v15
	v_cndmask_b32_e64 v20, v20, v15, s[12:13]
	v_sub_f32_e32 v15, v29, v97
	v_mul_f32_e32 v26, 0x3fb8aa3b, v15
	v_fma_f32 v27, v15, s44, -v26
	v_rndne_f32_e32 v28, v26
	v_fmac_f32_e32 v27, 0x32a5705f, v15
	v_sub_f32_e32 v26, v26, v28
	v_add_f32_e32 v26, v26, v27
	v_exp_f32_e32 v26, v26
	v_cvt_i32_f32_e32 v27, v28
	v_cmp_ngt_f32_e32 vcc, s33, v15
	v_ldexp_f32 v26, v26, v27
	s_nop 0
	v_cndmask_b32_e32 v26, 0, v26, vcc
	v_cmp_nlt_f32_e32 vcc, s61, v15
	v_sub_f32_e32 v15, v16, v97
	v_mul_f32_e32 v16, 0x3fb8aa3b, v15
	v_cndmask_b32_e32 v35, v81, v26, vcc
	v_fma_f32 v26, v15, s44, -v16
	v_rndne_f32_e32 v27, v16
	v_fmac_f32_e32 v26, 0x32a5705f, v15
	v_sub_f32_e32 v16, v16, v27
	v_add_f32_e32 v16, v16, v26
	v_exp_f32_e32 v16, v16
	v_cvt_i32_f32_e32 v26, v27
	v_cmp_ngt_f32_e32 vcc, s33, v15
	v_add_f32_e32 v0, v0, v35
	v_cndmask_b32_e64 v0, 0, v0, s[12:13]
	v_ldexp_f32 v16, v16, v26
	v_cndmask_b32_e32 v16, 0, v16, vcc
	v_cmp_nlt_f32_e32 vcc, s61, v15
	s_nop 1
	v_cndmask_b32_e32 v15, v81, v16, vcc
	v_mov_b32_e32 v16, s59
	v_add_f32_e32 v26, v15, v0
	v_cndmask_b32_e64 v16, v16, v15, s[14:15]
	v_sub_f32_e32 v15, v17, v97
	v_mul_f32_e32 v17, 0x3fb8aa3b, v15
	v_cndmask_b32_e64 v0, v0, v26, s[14:15]
	v_fma_f32 v26, v15, s44, -v17
	v_rndne_f32_e32 v27, v17
	v_fmac_f32_e32 v26, 0x32a5705f, v15
	v_sub_f32_e32 v17, v17, v27
	v_add_f32_e32 v17, v17, v26
	v_exp_f32_e32 v17, v17
	v_cvt_i32_f32_e32 v26, v27
	v_cmp_ngt_f32_e32 vcc, s33, v15
	v_ldexp_f32 v17, v17, v26
	s_nop 0
	v_cndmask_b32_e32 v17, 0, v17, vcc
	v_cmp_nlt_f32_e32 vcc, s61, v15
	v_mov_b32_e32 v15, s59
	s_nop 0
	v_cndmask_b32_e32 v17, v81, v17, vcc
	v_add_f32_e32 v26, v17, v0
	v_cndmask_b32_e64 v15, v15, v17, s[16:17]
	v_sub_f32_e32 v17, v18, v97
	v_mul_f32_e32 v18, 0x3fb8aa3b, v17
	v_cndmask_b32_e64 v0, v0, v26, s[16:17]
	v_fma_f32 v26, v17, s44, -v18
	v_rndne_f32_e32 v27, v18
	v_fmac_f32_e32 v26, 0x32a5705f, v17
	v_sub_f32_e32 v18, v18, v27
	v_add_f32_e32 v18, v18, v26
	v_exp_f32_e32 v18, v18
	v_cvt_i32_f32_e32 v26, v27
	v_cmp_ngt_f32_e32 vcc, s33, v17
	v_ldexp_f32 v18, v18, v26
	s_nop 0
	v_cndmask_b32_e32 v18, 0, v18, vcc
	v_cmp_nlt_f32_e32 vcc, s61, v17
	s_nop 1
	v_cndmask_b32_e32 v17, v81, v18, vcc
	v_mov_b32_e32 v18, s59
	v_add_f32_e32 v26, v17, v0
	v_cndmask_b32_e64 v18, v18, v17, s[18:19]
	v_sub_f32_e32 v17, v19, v97
	v_mul_f32_e32 v19, 0x3fb8aa3b, v17
	v_cndmask_b32_e64 v0, v0, v26, s[18:19]
	v_fma_f32 v26, v17, s44, -v19
	v_rndne_f32_e32 v27, v19
	v_fmac_f32_e32 v26, 0x32a5705f, v17
	v_sub_f32_e32 v19, v19, v27
	v_add_f32_e32 v19, v19, v26
	v_exp_f32_e32 v19, v19
	v_cvt_i32_f32_e32 v26, v27
	v_cmp_ngt_f32_e32 vcc, s33, v17
	v_ldexp_f32 v19, v19, v26
	s_nop 0
	v_cndmask_b32_e32 v19, 0, v19, vcc
	v_cmp_nlt_f32_e32 vcc, s61, v17
	s_nop 1
	v_cndmask_b32_e32 v202, v81, v19, vcc
	v_add_f32_e32 v17, v202, v0
	v_cndmask_b32_e64 v0, v0, v17, s[20:21]
	v_sub_f32_e32 v17, v22, v97
	v_mul_f32_e32 v19, 0x3fb8aa3b, v17
	v_fma_f32 v22, v17, s44, -v19
	v_rndne_f32_e32 v26, v19
	v_fmac_f32_e32 v22, 0x32a5705f, v17
	v_sub_f32_e32 v19, v19, v26
	v_add_f32_e32 v19, v19, v22
	v_exp_f32_e32 v19, v19
	v_cvt_i32_f32_e32 v22, v26
	v_cmp_ngt_f32_e32 vcc, s33, v17
	v_ldexp_f32 v19, v19, v22
	s_nop 0
	v_cndmask_b32_e32 v19, 0, v19, vcc
	v_cmp_nlt_f32_e32 vcc, s61, v17
	v_mov_b32_e32 v22, s59
	s_nop 0
	v_cndmask_b32_e32 v17, v81, v19, vcc
	v_add_f32_e32 v19, v17, v0
	v_cndmask_b32_e64 v22, v22, v17, s[22:23]
	v_sub_f32_e32 v17, v23, v97
	v_cndmask_b32_e64 v0, v0, v19, s[22:23]
	v_mul_f32_e32 v19, 0x3fb8aa3b, v17
	v_fma_f32 v23, v17, s44, -v19
	v_rndne_f32_e32 v26, v19
	v_fmac_f32_e32 v23, 0x32a5705f, v17
	v_sub_f32_e32 v19, v19, v26
	v_add_f32_e32 v19, v19, v23
	v_exp_f32_e32 v19, v19
	v_cvt_i32_f32_e32 v23, v26
	v_cmp_ngt_f32_e32 vcc, s33, v17
	v_ldexp_f32 v19, v19, v23
	s_nop 0
	v_cndmask_b32_e32 v19, 0, v19, vcc
	v_cmp_nlt_f32_e32 vcc, s61, v17
	v_mov_b32_e32 v17, s59
	s_nop 0
	v_cndmask_b32_e32 v19, v81, v19, vcc
	v_add_f32_e32 v23, v19, v0
	v_cndmask_b32_e64 v17, v17, v19, s[24:25]
	v_sub_f32_e32 v19, v24, v97
	v_cndmask_b32_e64 v0, v0, v23, s[24:25]
	;; [unrolled: 20-line block ×3, first 2 shown]
	v_mul_f32_e32 v23, 0x3fb8aa3b, v19
	v_fma_f32 v25, v19, s44, -v23
	v_rndne_f32_e32 v26, v23
	v_fmac_f32_e32 v25, 0x32a5705f, v19
	v_sub_f32_e32 v23, v23, v26
	v_add_f32_e32 v23, v23, v25
	v_exp_f32_e32 v23, v23
	v_cvt_i32_f32_e32 v25, v26
	v_cmp_ngt_f32_e32 vcc, s33, v19
	v_ldexp_f32 v23, v23, v25
	s_nop 0
	v_cndmask_b32_e32 v23, 0, v23, vcc
	v_cmp_nlt_f32_e32 vcc, s61, v19
	s_nop 1
	v_cndmask_b32_e32 v203, v81, v23, vcc
	v_add_f32_e32 v19, v203, v0
	v_cndmask_b32_e64 v0, v0, v19, s[28:29]
	v_sub_f32_e32 v19, v30, v97
	v_mul_f32_e32 v23, 0x3fb8aa3b, v19
	v_fma_f32 v25, v19, s44, -v23
	v_rndne_f32_e32 v26, v23
	v_fmac_f32_e32 v25, 0x32a5705f, v19
	v_sub_f32_e32 v23, v23, v26
	v_add_f32_e32 v23, v23, v25
	v_exp_f32_e32 v23, v23
	v_cvt_i32_f32_e32 v25, v26
	v_cmp_ngt_f32_e32 vcc, s33, v19
	v_mov_b32_e32 v26, s59
	v_ldexp_f32 v23, v23, v25
	v_cndmask_b32_e32 v23, 0, v23, vcc
	v_cmp_nlt_f32_e32 vcc, s61, v19
	s_nop 1
	v_cndmask_b32_e32 v19, v81, v23, vcc
	v_add_f32_e32 v23, v19, v0
	v_cndmask_b32_e64 v26, v26, v19, s[0:1]
	v_sub_f32_e32 v19, v31, v97
	v_cndmask_b32_e64 v0, v0, v23, s[0:1]
	v_mul_f32_e32 v23, 0x3fb8aa3b, v19
	v_fma_f32 v25, v19, s44, -v23
	v_rndne_f32_e32 v27, v23
	v_fmac_f32_e32 v25, 0x32a5705f, v19
	v_sub_f32_e32 v23, v23, v27
	v_add_f32_e32 v23, v23, v25
	v_exp_f32_e32 v23, v23
	v_cvt_i32_f32_e32 v25, v27
	v_cmp_ngt_f32_e32 vcc, s33, v19
	v_mov_b32_e32 v31, s59
	v_ldexp_f32 v23, v23, v25
	v_cndmask_b32_e32 v23, 0, v23, vcc
	v_cmp_nlt_f32_e32 vcc, s61, v19
	v_mov_b32_e32 v19, s59
	s_nop 0
	v_cndmask_b32_e32 v23, v81, v23, vcc
	v_add_f32_e32 v25, v23, v0
	v_cndmask_b32_e64 v19, v19, v23, s[30:31]
	v_sub_f32_e32 v23, v32, v97
	v_cndmask_b32_e64 v0, v0, v25, s[30:31]
	v_mul_f32_e32 v25, 0x3fb8aa3b, v23
	v_fma_f32 v27, v23, s44, -v25
	v_rndne_f32_e32 v28, v25
	v_fmac_f32_e32 v27, 0x32a5705f, v23
	v_sub_f32_e32 v25, v25, v28
	v_add_f32_e32 v25, v25, v27
	v_exp_f32_e32 v25, v25
	v_cvt_i32_f32_e32 v27, v28
	v_cmp_ngt_f32_e32 vcc, s33, v23
	v_mov_b32_e32 v28, s59
	v_ldexp_f32 v25, v25, v27
	v_cndmask_b32_e32 v25, 0, v25, vcc
	v_cmp_nlt_f32_e32 vcc, s61, v23
	s_nop 1
	v_cndmask_b32_e32 v23, v81, v25, vcc
	v_add_f32_e32 v25, v23, v0
	v_cndmask_b32_e64 v28, v28, v23, s[34:35]
	v_sub_f32_e32 v23, v33, v97
	v_cndmask_b32_e64 v0, v0, v25, s[34:35]
	v_mul_f32_e32 v25, 0x3fb8aa3b, v23
	v_fma_f32 v27, v23, s44, -v25
	v_rndne_f32_e32 v29, v25
	v_fmac_f32_e32 v27, 0x32a5705f, v23
	v_sub_f32_e32 v25, v25, v29
	v_add_f32_e32 v25, v25, v27
	v_exp_f32_e32 v25, v25
	v_cvt_i32_f32_e32 v27, v29
	v_cmp_ngt_f32_e32 vcc, s33, v23
	v_ldexp_f32 v25, v25, v27
	s_nop 0
	v_cndmask_b32_e32 v25, 0, v25, vcc
	v_cmp_nlt_f32_e32 vcc, s61, v23
	s_nop 1
	v_cndmask_b32_e32 v30, v81, v25, vcc
	v_add_f32_e32 v23, v30, v0
	v_cndmask_b32_e64 v163, v0, v23, s[36:37]
	v_sub_f32_e32 v0, v221, v97
	v_mul_f32_e32 v23, 0x3fb8aa3b, v0
	v_fma_f32 v25, v0, s44, -v23
	v_rndne_f32_e32 v27, v23
	v_fmac_f32_e32 v25, 0x32a5705f, v0
	v_sub_f32_e32 v23, v23, v27
	v_add_f32_e32 v23, v23, v25
	v_exp_f32_e32 v23, v23
	v_cvt_i32_f32_e32 v25, v27
	v_cmp_ngt_f32_e32 vcc, s33, v0
	v_ldexp_f32 v23, v23, v25
	s_nop 0
	v_cndmask_b32_e32 v23, 0, v23, vcc
	v_cmp_nlt_f32_e32 vcc, s61, v0
	s_nop 1
	v_cndmask_b32_e32 v23, v81, v23, vcc
	v_cmp_le_f32_e32 vcc, s58, v0
	s_nop 1
	v_cndmask_b32_e32 v0, 0, v23, vcc
	v_fmac_f32_e32 v163, v21, v0
	v_cvt_f16_f32_e32 v0, v0
	v_mul_u32_u24_e32 v0, 0x10001, v0
	v_pk_mul_f16 v247, v243, v0
	v_pk_mul_f16 v245, v241, v0
	;; [unrolled: 1-line block ×8, first 2 shown]
	v_cndmask_b32_e64 v150, v31, v30, s[36:37]
	v_cndmask_b32_e64 v151, v31, v203, s[28:29]
	;; [unrolled: 1-line block ×4, first 2 shown]
	v_lshl_add_u64 v[30:31], v[70:71], 2, v[36:37]
	v_lshl_add_u64 v[30:31], v[30:31], 0, v[44:45]
	;; [unrolled: 1-line block ×3, first 2 shown]
	v_mov_b32_e32 v44, s45
	v_cndmask_b32_e64 v31, v44, v31, s[6:7]
	v_cndmask_b32_e64 v30, v84, v30, s[6:7]
	flat_load_dwordx4 v[30:33], v[30:31]
	v_mov_b32_e32 v35, v45
	v_pk_mul_f16 v25, v211, v0
	v_pk_mul_f16 v23, v173, v0
	;; [unrolled: 1-line block ×6, first 2 shown]
	v_cvt_pk_f16_f32 v153, v20, v152
	v_cvt_pk_f16_f32 v152, v14, v1
	;; [unrolled: 1-line block ×5, first 2 shown]
	v_cvt_f32_f16_sdwa v19, v223 dst_sel:DWORD dst_unused:UNUSED_PAD src0_sel:WORD_1
	v_cvt_f32_f16_sdwa v205, v173 dst_sel:DWORD dst_unused:UNUSED_PAD src0_sel:WORD_1
	s_waitcnt vmcnt(0) lgkmcnt(0)
	ds_write_b128 v172, v[30:33]
	v_lshl_add_u64 v[30:31], v[68:69], 2, v[36:37]
	v_lshl_add_u64 v[30:31], v[30:31], 0, v[34:35]
	v_cndmask_b32_e64 v31, v44, v31, s[8:9]
	v_cndmask_b32_e64 v30, v84, v30, s[8:9]
	flat_load_dwordx4 v[30:33], v[30:31]
	s_waitcnt vmcnt(0) lgkmcnt(0)
	ds_write_b128 v174, v[30:33]
	v_lshl_add_u64 v[30:31], v[66:67], 2, v[36:37]
	v_lshl_add_u64 v[30:31], v[30:31], 0, v[34:35]
	v_cndmask_b32_e64 v31, v44, v31, s[10:11]
	v_cndmask_b32_e64 v30, v84, v30, s[10:11]
	flat_load_dwordx4 v[30:33], v[30:31]
	s_waitcnt vmcnt(0) lgkmcnt(0)
	ds_write_b128 v176, v[30:33]
	s_waitcnt lgkmcnt(0)
	s_barrier
	ds_read_u16 v0, v183 offset:240
	ds_read_u16 v34, v184
	ds_read_u16 v36, v184 offset:32
	ds_read_u16 v35, v185
	ds_read_u16 v37, v185 offset:32
	v_cvt_f32_f16_e32 v30, v247
	v_cvt_f32_f16_sdwa v31, v247 dst_sel:DWORD dst_unused:UNUSED_PAD src0_sel:WORD_1
	v_cvt_f32_f16_e32 v32, v245
	s_waitcnt lgkmcnt(1)
	v_perm_b32 v35, v35, v34, s62
	ds_read_u16 v34, v183
	ds_read_u16 v44, v183 offset:32
	v_cvt_f32_f16_sdwa v33, v245 dst_sel:DWORD dst_unused:UNUSED_PAD src0_sel:WORD_1
	s_waitcnt lgkmcnt(1)
	v_perm_b32 v34, v0, v34, s62
	s_nop 1
	v_mfma_f32_16x16x16_f16 v[30:33], v[34:35], v[152:153], v[30:33]
	ds_read_u16 v34, v183 offset:3840
	ds_read_u16 v35, v183 offset:4080
	;; [unrolled: 1-line block ×4, first 2 shown]
	s_nop 3
	v_cvt_f16_f32_e32 v0, v30
	v_cvt_f16_f32_e32 v1, v31
	;; [unrolled: 1-line block ×4, first 2 shown]
	v_cvt_f32_f16_e32 v30, v0
	v_cvt_f32_f16_e32 v31, v1
	s_waitcnt lgkmcnt(0)
	v_perm_b32 v1, v156, v155, s62
	v_perm_b32 v0, v35, v34, s62
	v_cvt_f32_f16_e32 v32, v14
	v_cvt_f32_f16_e32 v33, v20
	v_cvt_pk_f16_f32 v155, v18, v154
	v_cvt_pk_f16_f32 v154, v16, v15
	ds_read_u16 v16, v183 offset:7680
	ds_read_u16 v18, v183 offset:7920
	;; [unrolled: 1-line block ×4, first 2 shown]
	v_mfma_f32_16x16x16_f16 v[30:33], v[0:1], v[154:155], v[30:33]
	v_cvt_pk_f16_f32 v156, v22, v17
	s_nop 6
	v_cvt_f16_f32_e32 v0, v30
	v_cvt_f16_f32_e32 v1, v31
	;; [unrolled: 1-line block ×4, first 2 shown]
	v_cvt_f32_f16_e32 v30, v0
	v_cvt_f32_f16_e32 v31, v1
	s_waitcnt lgkmcnt(0)
	v_perm_b32 v1, v34, v20, s62
	v_perm_b32 v0, v18, v16, s62
	v_cvt_f32_f16_e32 v32, v14
	v_cvt_f32_f16_e32 v33, v15
	ds_read_u16 v18, v183 offset:11520
	ds_read_u16 v20, v183 offset:11760
	;; [unrolled: 1-line block ×4, first 2 shown]
	v_mfma_f32_16x16x16_f16 v[14:17], v[0:1], v[156:157], v[30:33]
	s_nop 2
	v_cvt_f32_f16_e32 v30, v25
	v_cvt_f32_f16_sdwa v31, v25 dst_sel:DWORD dst_unused:UNUSED_PAD src0_sel:WORD_1
	s_nop 2
	v_cvt_f16_f32_e32 v0, v14
	v_cvt_f16_f32_e32 v1, v15
	;; [unrolled: 1-line block ×4, first 2 shown]
	v_cvt_f32_f16_e32 v14, v0
	v_cvt_f32_f16_e32 v15, v1
	s_waitcnt lgkmcnt(0)
	v_perm_b32 v1, v24, v22, s62
	v_perm_b32 v0, v20, v18, s62
	v_cvt_f32_f16_e32 v16, v16
	v_cvt_f32_f16_e32 v17, v17
	;; [unrolled: 1-line block ×4, first 2 shown]
	v_mfma_f32_16x16x16_f16 v[14:17], v[0:1], v[150:151], v[14:17]
	ds_read_u16 v0, v183 offset:272
	v_perm_b32 v1, v37, v36, s62
	v_cvt_f32_f16_sdwa v21, v21 dst_sel:DWORD dst_unused:UNUSED_PAD src0_sel:WORD_1
	ds_read_u16 v22, v183 offset:3872
	ds_read_u16 v24, v183 offset:4112
	;; [unrolled: 1-line block ×4, first 2 shown]
	v_cvt_f32_f16_e32 v32, v23
	s_waitcnt lgkmcnt(4)
	v_perm_b32 v0, v0, v44, s62
	v_cvt_f32_f16_sdwa v33, v23 dst_sel:DWORD dst_unused:UNUSED_PAD src0_sel:WORD_1
	s_nop 0
	v_mfma_f32_16x16x16_f16 v[18:21], v[0:1], v[152:153], v[18:21]
	s_nop 7
	v_cvt_f16_f32_e32 v0, v18
	v_cvt_f16_f32_e32 v1, v19
	;; [unrolled: 1-line block ×4, first 2 shown]
	v_cvt_f32_f16_e32 v18, v0
	v_cvt_f32_f16_e32 v19, v1
	s_waitcnt lgkmcnt(0)
	v_perm_b32 v1, v28, v26, s62
	v_perm_b32 v0, v24, v22, s62
	v_cvt_f32_f16_e32 v20, v20
	v_cvt_f32_f16_e32 v21, v21
	ds_read_u16 v22, v183 offset:7712
	ds_read_u16 v24, v183 offset:7952
	;; [unrolled: 1-line block ×4, first 2 shown]
	v_mfma_f32_16x16x16_f16 v[18:21], v[0:1], v[154:155], v[18:21]
	s_nop 7
	v_cvt_f16_f32_e32 v0, v18
	v_cvt_f16_f32_e32 v1, v19
	;; [unrolled: 1-line block ×4, first 2 shown]
	v_cvt_f32_f16_e32 v18, v0
	v_cvt_f32_f16_e32 v19, v1
	s_waitcnt lgkmcnt(0)
	v_perm_b32 v1, v28, v26, s62
	v_perm_b32 v0, v24, v22, s62
	v_cvt_f32_f16_e32 v20, v20
	v_cvt_f32_f16_e32 v21, v21
	ds_read_u16 v22, v183 offset:11552
	ds_read_u16 v24, v183 offset:11792
	;; [unrolled: 1-line block ×4, first 2 shown]
	v_mfma_f32_16x16x16_f16 v[18:21], v[0:1], v[156:157], v[18:21]
	s_nop 7
	v_cvt_f16_f32_e32 v0, v18
	v_cvt_f16_f32_e32 v1, v19
	;; [unrolled: 1-line block ×4, first 2 shown]
	v_cvt_f32_f16_e32 v18, v0
	v_cvt_f32_f16_e32 v19, v1
	s_waitcnt lgkmcnt(0)
	v_perm_b32 v1, v28, v26, s62
	v_perm_b32 v0, v24, v22, s62
	v_cvt_f32_f16_e32 v20, v20
	v_cvt_f32_f16_e32 v21, v21
	s_nop 1
	v_mfma_f32_16x16x16_f16 v[18:21], v[0:1], v[150:151], v[18:21]
	ds_read_u16 v0, v183 offset:64
	ds_read_u16 v22, v183 offset:304
	;; [unrolled: 1-line block ×4, first 2 shown]
	s_waitcnt lgkmcnt(2)
	v_perm_b32 v0, v22, v0, s62
	s_waitcnt lgkmcnt(0)
	v_perm_b32 v1, v24, v1, s62
	s_nop 1
	v_mfma_f32_16x16x16_f16 v[22:25], v[0:1], v[152:153], v[30:33]
	ds_read_u16 v26, v183 offset:3904
	ds_read_u16 v28, v183 offset:4144
	s_nop 0
	ds_read_u16 v30, v184 offset:3904
	ds_read_u16 v31, v185 offset:3904
	s_nop 2
	v_cvt_f16_f32_e32 v0, v22
	v_cvt_f16_f32_e32 v1, v23
	;; [unrolled: 1-line block ×4, first 2 shown]
	v_cvt_f32_f16_e32 v22, v0
	v_cvt_f32_f16_e32 v23, v1
	s_waitcnt lgkmcnt(0)
	v_perm_b32 v1, v31, v30, s62
	v_perm_b32 v0, v28, v26, s62
	v_cvt_f32_f16_e32 v24, v24
	v_cvt_f32_f16_e32 v25, v25
	ds_read_u16 v26, v183 offset:7744
	ds_read_u16 v28, v183 offset:7984
	ds_read_u16 v30, v184 offset:7744
	ds_read_u16 v31, v185 offset:7744
	v_mfma_f32_16x16x16_f16 v[22:25], v[0:1], v[154:155], v[22:25]
	s_nop 7
	v_cvt_f16_f32_e32 v0, v22
	v_cvt_f16_f32_e32 v1, v23
	;; [unrolled: 1-line block ×4, first 2 shown]
	v_cvt_f32_f16_e32 v22, v0
	v_cvt_f32_f16_e32 v23, v1
	s_waitcnt lgkmcnt(0)
	v_perm_b32 v1, v31, v30, s62
	v_perm_b32 v0, v28, v26, s62
	v_cvt_f32_f16_e32 v24, v24
	v_cvt_f32_f16_e32 v25, v25
	ds_read_u16 v26, v183 offset:11584
	ds_read_u16 v28, v183 offset:11824
	;; [unrolled: 1-line block ×4, first 2 shown]
	v_mfma_f32_16x16x16_f16 v[22:25], v[0:1], v[156:157], v[22:25]
	s_nop 7
	v_cvt_f16_f32_e32 v0, v22
	v_cvt_f16_f32_e32 v1, v23
	;; [unrolled: 1-line block ×4, first 2 shown]
	v_cvt_f32_f16_e32 v22, v0
	v_cvt_f32_f16_e32 v23, v1
	s_waitcnt lgkmcnt(0)
	v_perm_b32 v1, v31, v30, s62
	v_perm_b32 v0, v28, v26, s62
	v_cvt_f32_f16_e32 v24, v24
	v_cvt_f32_f16_e32 v25, v25
	;; [unrolled: 1-line block ×3, first 2 shown]
	v_cvt_f32_f16_sdwa v29, v29 dst_sel:DWORD dst_unused:UNUSED_PAD src0_sel:WORD_1
	v_mfma_f32_16x16x16_f16 v[22:25], v[0:1], v[150:151], v[22:25]
	ds_read_u16 v0, v183 offset:96
	ds_read_u16 v26, v183 offset:336
	;; [unrolled: 1-line block ×4, first 2 shown]
	v_cvt_f32_f16_e32 v30, v27
	v_cvt_f32_f16_sdwa v31, v27 dst_sel:DWORD dst_unused:UNUSED_PAD src0_sel:WORD_1
	s_waitcnt lgkmcnt(2)
	v_perm_b32 v0, v26, v0, s62
	s_waitcnt lgkmcnt(0)
	v_perm_b32 v1, v32, v1, s62
	s_nop 1
	v_mfma_f32_16x16x16_f16 v[26:29], v[0:1], v[152:153], v[28:31]
	s_nop 2
	ds_read_u16 v30, v183 offset:3936
	ds_read_u16 v31, v183 offset:4176
	;; [unrolled: 1-line block ×4, first 2 shown]
	s_nop 0
	v_cvt_f16_f32_e32 v0, v26
	v_cvt_f16_f32_e32 v1, v27
	;; [unrolled: 1-line block ×4, first 2 shown]
	v_cvt_f32_f16_e32 v26, v0
	v_cvt_f32_f16_e32 v27, v1
	s_waitcnt lgkmcnt(0)
	v_perm_b32 v1, v33, v32, s62
	v_perm_b32 v0, v31, v30, s62
	v_cvt_f32_f16_e32 v28, v28
	v_cvt_f32_f16_e32 v29, v29
	ds_read_u16 v30, v183 offset:7776
	ds_read_u16 v31, v183 offset:8016
	;; [unrolled: 1-line block ×4, first 2 shown]
	v_mfma_f32_16x16x16_f16 v[26:29], v[0:1], v[154:155], v[26:29]
	s_nop 7
	v_cvt_f16_f32_e32 v0, v26
	v_cvt_f16_f32_e32 v1, v27
	;; [unrolled: 1-line block ×4, first 2 shown]
	v_cvt_f32_f16_e32 v26, v0
	v_cvt_f32_f16_e32 v27, v1
	s_waitcnt lgkmcnt(0)
	v_perm_b32 v1, v33, v32, s62
	v_perm_b32 v0, v31, v30, s62
	v_cvt_f32_f16_e32 v28, v28
	v_cvt_f32_f16_e32 v29, v29
	ds_read_u16 v30, v183 offset:11616
	ds_read_u16 v31, v183 offset:11856
	;; [unrolled: 1-line block ×4, first 2 shown]
	v_mfma_f32_16x16x16_f16 v[26:29], v[0:1], v[156:157], v[26:29]
	s_nop 7
	v_cvt_f16_f32_e32 v0, v26
	v_cvt_f16_f32_e32 v1, v27
	;; [unrolled: 1-line block ×4, first 2 shown]
	v_cvt_f32_f16_e32 v26, v0
	v_cvt_f32_f16_e32 v27, v1
	s_waitcnt lgkmcnt(0)
	v_perm_b32 v1, v33, v32, s62
	v_perm_b32 v0, v31, v30, s62
	v_cvt_f32_f16_e32 v28, v28
	v_cvt_f32_f16_e32 v29, v29
	;; [unrolled: 1-line block ×3, first 2 shown]
	v_cvt_f32_f16_sdwa v31, v243 dst_sel:DWORD dst_unused:UNUSED_PAD src0_sel:WORD_1
	v_mfma_f32_16x16x16_f16 v[26:29], v[0:1], v[150:151], v[26:29]
	ds_read_u16 v0, v183 offset:128
	ds_read_u16 v34, v183 offset:368
	;; [unrolled: 1-line block ×4, first 2 shown]
	v_cvt_f32_f16_e32 v32, v241
	v_cvt_f32_f16_sdwa v33, v241 dst_sel:DWORD dst_unused:UNUSED_PAD src0_sel:WORD_1
	s_waitcnt lgkmcnt(2)
	v_perm_b32 v0, v34, v0, s62
	v_cvt_pk_f16_f32 v243, v14, v15
	s_waitcnt lgkmcnt(0)
	v_perm_b32 v1, v35, v1, s62
	ds_read_u16 v34, v183 offset:3968
	ds_read_u16 v35, v183 offset:4208
	;; [unrolled: 1-line block ×4, first 2 shown]
	v_mfma_f32_16x16x16_f16 v[30:33], v[0:1], v[152:153], v[30:33]
	v_cvt_pk_f16_f32 v241, v16, v17
	s_nop 6
	v_cvt_f16_f32_e32 v0, v30
	v_cvt_f16_f32_e32 v1, v31
	;; [unrolled: 1-line block ×4, first 2 shown]
	v_cvt_f32_f16_e32 v30, v0
	v_cvt_f32_f16_e32 v31, v1
	s_waitcnt lgkmcnt(0)
	v_perm_b32 v1, v37, v36, s62
	v_perm_b32 v0, v35, v34, s62
	v_cvt_f32_f16_e32 v32, v32
	v_cvt_f32_f16_e32 v33, v33
	ds_read_u16 v34, v183 offset:7808
	ds_read_u16 v35, v183 offset:8048
	;; [unrolled: 1-line block ×4, first 2 shown]
	v_mfma_f32_16x16x16_f16 v[30:33], v[0:1], v[154:155], v[30:33]
	s_nop 7
	v_cvt_f16_f32_e32 v0, v30
	v_cvt_f16_f32_e32 v1, v31
	;; [unrolled: 1-line block ×4, first 2 shown]
	v_cvt_f32_f16_e32 v30, v0
	v_cvt_f32_f16_e32 v31, v1
	s_waitcnt lgkmcnt(0)
	v_perm_b32 v1, v37, v36, s62
	v_perm_b32 v0, v35, v34, s62
	v_cvt_f32_f16_e32 v32, v32
	v_cvt_f32_f16_e32 v33, v33
	ds_read_u16 v34, v183 offset:11648
	ds_read_u16 v35, v183 offset:11888
	;; [unrolled: 1-line block ×4, first 2 shown]
	v_mfma_f32_16x16x16_f16 v[30:33], v[0:1], v[156:157], v[30:33]
	s_nop 7
	v_cvt_f16_f32_e32 v0, v30
	v_cvt_f16_f32_e32 v1, v31
	;; [unrolled: 1-line block ×4, first 2 shown]
	v_cvt_f32_f16_e32 v30, v0
	v_cvt_f32_f16_e32 v31, v1
	s_waitcnt lgkmcnt(0)
	v_perm_b32 v1, v37, v36, s62
	v_perm_b32 v0, v35, v34, s62
	v_cvt_f32_f16_e32 v32, v32
	v_cvt_f32_f16_e32 v33, v33
	;; [unrolled: 1-line block ×3, first 2 shown]
	v_cvt_f32_f16_sdwa v35, v239 dst_sel:DWORD dst_unused:UNUSED_PAD src0_sel:WORD_1
	v_mfma_f32_16x16x16_f16 v[30:33], v[0:1], v[150:151], v[30:33]
	ds_read_u16 v0, v183 offset:160
	ds_read_u16 v44, v183 offset:400
	;; [unrolled: 1-line block ×4, first 2 shown]
	v_cvt_f32_f16_e32 v36, v228
	v_cvt_f32_f16_sdwa v37, v228 dst_sel:DWORD dst_unused:UNUSED_PAD src0_sel:WORD_1
	s_waitcnt lgkmcnt(2)
	v_perm_b32 v0, v44, v0, s62
	v_cvt_pk_f16_f32 v239, v18, v19
	s_waitcnt lgkmcnt(0)
	v_perm_b32 v1, v202, v1, s62
	ds_read_u16 v44, v183 offset:4000
	ds_read_u16 v202, v183 offset:4240
	ds_read_u16 v203, v184 offset:4000
	ds_read_u16 v204, v185 offset:4000
	v_mfma_f32_16x16x16_f16 v[34:37], v[0:1], v[152:153], v[34:37]
	v_cvt_pk_f16_f32 v228, v20, v21
	s_nop 6
	v_cvt_f16_f32_e32 v0, v34
	v_cvt_f16_f32_e32 v1, v35
	;; [unrolled: 1-line block ×4, first 2 shown]
	v_cvt_f32_f16_e32 v34, v0
	v_cvt_f32_f16_e32 v35, v1
	s_waitcnt lgkmcnt(0)
	v_perm_b32 v1, v204, v203, s62
	v_perm_b32 v0, v202, v44, s62
	v_cvt_f32_f16_e32 v36, v36
	v_cvt_f32_f16_e32 v37, v37
	ds_read_u16 v44, v183 offset:7840
	ds_read_u16 v202, v183 offset:8080
	;; [unrolled: 1-line block ×4, first 2 shown]
	v_mfma_f32_16x16x16_f16 v[34:37], v[0:1], v[154:155], v[34:37]
	s_nop 7
	v_cvt_f16_f32_e32 v0, v34
	v_cvt_f16_f32_e32 v1, v35
	;; [unrolled: 1-line block ×4, first 2 shown]
	v_cvt_f32_f16_e32 v34, v0
	v_cvt_f32_f16_e32 v35, v1
	s_waitcnt lgkmcnt(0)
	v_perm_b32 v1, v204, v203, s62
	v_perm_b32 v0, v202, v44, s62
	v_cvt_f32_f16_e32 v36, v36
	v_cvt_f32_f16_e32 v37, v37
	ds_read_u16 v44, v183 offset:11680
	ds_read_u16 v202, v183 offset:11920
	;; [unrolled: 1-line block ×4, first 2 shown]
	v_mfma_f32_16x16x16_f16 v[34:37], v[0:1], v[156:157], v[34:37]
	s_nop 7
	v_cvt_f16_f32_e32 v0, v34
	v_cvt_f16_f32_e32 v1, v35
	;; [unrolled: 1-line block ×4, first 2 shown]
	v_cvt_f32_f16_e32 v34, v0
	v_cvt_f32_f16_e32 v35, v1
	s_waitcnt lgkmcnt(0)
	v_perm_b32 v1, v204, v203, s62
	v_perm_b32 v0, v202, v44, s62
	v_cvt_f32_f16_e32 v36, v36
	v_cvt_f32_f16_e32 v37, v37
	;; [unrolled: 1-line block ×3, first 2 shown]
	v_cvt_f32_f16_sdwa v203, v211 dst_sel:DWORD dst_unused:UNUSED_PAD src0_sel:WORD_1
	v_mfma_f32_16x16x16_f16 v[34:37], v[0:1], v[150:151], v[34:37]
	ds_read_u16 v0, v183 offset:192
	ds_read_u16 v44, v183 offset:432
	;; [unrolled: 1-line block ×4, first 2 shown]
	v_cvt_f32_f16_e32 v204, v173
	s_waitcnt lgkmcnt(2)
	v_perm_b32 v0, v44, v0, s62
	s_waitcnt lgkmcnt(0)
	v_perm_b32 v1, v221, v1, s62
	s_nop 1
	v_mfma_f32_16x16x16_f16 v[202:205], v[0:1], v[152:153], v[202:205]
	ds_read_u16 v153, v183 offset:4032
	ds_read_u16 v173, v183 offset:4272
	;; [unrolled: 1-line block ×4, first 2 shown]
	s_nop 3
	v_cvt_f16_f32_e32 v0, v202
	v_cvt_f16_f32_e32 v1, v203
	;; [unrolled: 1-line block ×4, first 2 shown]
	v_cvt_f32_f16_e32 v202, v0
	v_cvt_f32_f16_e32 v203, v1
	s_waitcnt lgkmcnt(0)
	v_perm_b32 v1, v221, v211, s62
	v_perm_b32 v0, v173, v153, s62
	v_cvt_f32_f16_e32 v204, v44
	v_cvt_f32_f16_e32 v205, v152
	v_cvt_pk_f16_f32 v211, v22, v23
	s_nop 0
	v_mfma_f32_16x16x16_f16 v[152:155], v[0:1], v[154:155], v[202:205]
	ds_read_u16 v173, v183 offset:7872
	s_nop 1
	ds_read_u16 v202, v183 offset:8112
	ds_read_u16 v203, v184 offset:7872
	;; [unrolled: 1-line block ×3, first 2 shown]
	s_nop 1
	v_cvt_f16_f32_e32 v0, v152
	v_cvt_f16_f32_e32 v1, v153
	;; [unrolled: 1-line block ×4, first 2 shown]
	v_cvt_f32_f16_e32 v152, v0
	v_cvt_f32_f16_e32 v153, v1
	s_waitcnt lgkmcnt(0)
	v_perm_b32 v1, v204, v203, s62
	v_perm_b32 v0, v202, v173, s62
	v_cvt_f32_f16_e32 v154, v44
	v_cvt_f32_f16_e32 v155, v155
	v_cvt_pk_f16_f32 v173, v24, v25
	s_nop 0
	v_mfma_f32_16x16x16_f16 v[152:155], v[0:1], v[156:157], v[152:155]
	ds_read_u16 v1, v183 offset:11712
	ds_read_u16 v44, v183 offset:11952
	ds_read_u16 v156, v184 offset:11712
	ds_read_u16 v157, v185 offset:11712
	s_waitcnt lgkmcnt(0)
	s_barrier
	s_nop 1
	v_cvt_f16_f32_e32 v152, v152
	v_cvt_f16_f32_e32 v153, v153
	;; [unrolled: 1-line block ×4, first 2 shown]
	v_perm_b32 v157, v157, v156, s62
	v_perm_b32 v156, v44, v1, s62
	v_cvt_f32_f16_e32 v152, v152
	v_cvt_f32_f16_e32 v153, v153
	;; [unrolled: 1-line block ×4, first 2 shown]
	s_nop 1
	v_mfma_f32_16x16x16_f16 v[202:205], v[156:157], v[150:151], v[152:155]
	v_cvt_pk_f16_f32 v150, v34, v35
	v_cvt_pk_f16_f32 v151, v36, v37
	s_nop 0
	v_cvt_pk_f16_f32 v154, v30, v31
	v_cvt_pk_f16_f32 v152, v32, v33
	;; [unrolled: 1-line block ×4, first 2 shown]
	s_nop 0
	v_cvt_pk_f16_f32 v155, v202, v203
	v_cvt_pk_f16_f32 v153, v204, v205
	s_cbranch_scc0 .LBB19_100
; %bb.97:                               ;   in Loop: Header=BB19_80 Depth=2
	v_mov_b32_e32 v21, v163
	v_mov_b32_e32 v221, v97
	s_branch .LBB19_80
.LBB19_98:                              ;   in Loop: Header=BB19_13 Depth=1
	s_mov_b64 s[2:3], 0
                                        ; implicit-def: $vgpr2_vgpr3
                                        ; implicit-def: $vgpr85
	s_cbranch_execnz .LBB19_192
	s_branch .LBB19_361
.LBB19_99:                              ;   in Loop: Header=BB19_13 Depth=1
	v_mov_b32_e32 v97, 0xfeffffff
	v_mov_b32_e32 v163, 0
	;; [unrolled: 1-line block ×16, first 2 shown]
.LBB19_100:                             ;   in Loop: Header=BB19_13 Depth=1
	s_lshl_b32 s56, s72, 6
	v_readlane_b32 s2, v254, 4
	v_cmp_eq_u64_e32 vcc, 0, v[98:99]
	s_sub_i32 s58, s2, s56
	v_cmp_ne_u64_e64 s[74:75], 0, v[98:99]
	s_ashr_i32 s57, s56, 31
	v_readlane_b32 s3, v254, 5
	s_cbranch_vccnz .LBB19_118
; %bb.101:                              ;   in Loop: Header=BB19_13 Depth=1
	v_cmp_le_i32_e32 vcc, s58, v42
	s_and_saveexec_b64 s[2:3], vcc
	s_xor_b64 s[2:3], exec, s[2:3]
	s_cbranch_execz .LBB19_103
; %bb.102:                              ;   in Loop: Header=BB19_13 Depth=1
	ds_write_b16 v169, v45 offset:15360
	ds_write_b16 v242, v45 offset:15360
.LBB19_103:                             ;   in Loop: Header=BB19_13 Depth=1
	s_or_saveexec_b64 s[2:3], s[2:3]
	s_lshl_b64 s[38:39], s[56:57], 1
	v_lshl_add_u64 v[0:1], v[98:99], 0, s[38:39]
	v_lshlrev_b32_e32 v44, 1, v42
	v_lshl_add_u64 v[14:15], v[0:1], 0, v[44:45]
	v_mov_b32_e32 v1, 0
	v_mov_b32_e32 v16, 0
	s_xor_b64 exec, exec, s[2:3]
	s_cbranch_execz .LBB19_105
; %bb.104:                              ;   in Loop: Header=BB19_13 Depth=1
	v_add_u32_e32 v0, v87, v168
	v_mul_hi_u32 v1, s48, v0
	v_add_u32_e32 v1, v0, v1
	v_lshrrev_b32_e32 v1, s49, v1
	v_mul_lo_u32 v1, v1, s60
	v_readlane_b32 s38, v254, 54
	v_sub_u32_e32 v0, v0, v1
	v_readlane_b32 s39, v254, 55
	s_mov_b32 s50, s38
	v_mad_i64_i32 v[0:1], s[38:39], v0, s50, 0
	v_lshl_add_u64 v[0:1], v[0:1], 1, v[14:15]
	global_load_ushort v16, v[0:1], off
	v_add_u32_e32 v0, 4, v168
	v_add_u32_e32 v0, v87, v0
	v_mul_hi_u32 v1, s48, v0
	v_add_u32_e32 v1, v0, v1
	v_lshrrev_b32_e32 v1, s49, v1
	v_mul_lo_u32 v1, v1, s60
	v_sub_u32_e32 v0, v0, v1
	v_mad_i64_i32 v[0:1], s[38:39], v0, s50, 0
	v_lshl_add_u64 v[0:1], v[0:1], 1, v[14:15]
	global_load_ushort v0, v[0:1], off
	s_waitcnt vmcnt(1)
	ds_write_b16 v169, v16 offset:15360
	s_waitcnt vmcnt(0)
	ds_write_b16 v242, v0 offset:15360
	v_add_u32_e32 v0, 8, v168
	v_add_u32_e32 v0, v87, v0
	v_mul_hi_u32 v1, s48, v0
	v_add_u32_e32 v1, v0, v1
	v_lshrrev_b32_e32 v1, s49, v1
	v_mul_lo_u32 v1, v1, s60
	v_sub_u32_e32 v0, v0, v1
	v_mad_i64_i32 v[0:1], s[38:39], v0, s50, 0
	v_lshl_add_u64 v[0:1], v[0:1], 1, v[14:15]
	global_load_ushort v1, v[0:1], off
	v_add_u32_e32 v0, 12, v168
	v_add_u32_e32 v0, v87, v0
	v_mul_hi_u32 v16, s48, v0
	v_add_u32_e32 v16, v0, v16
	v_lshrrev_b32_e32 v16, s49, v16
	v_mul_lo_u32 v16, v16, s60
	v_sub_u32_e32 v0, v0, v16
	v_mad_i64_i32 v[16:17], s[38:39], v0, s50, 0
	v_lshl_add_u64 v[16:17], v[16:17], 1, v[14:15]
	global_load_ushort v16, v[16:17], off
.LBB19_105:                             ;   in Loop: Header=BB19_13 Depth=1
	s_or_b64 exec, exec, s[2:3]
	s_waitcnt vmcnt(1)
	ds_write_b16 v244, v1 offset:15360
	s_waitcnt vmcnt(0)
	ds_write_b16 v246, v16 offset:15360
	s_and_saveexec_b64 s[2:3], vcc
	s_xor_b64 s[2:3], exec, s[2:3]
	s_cbranch_execz .LBB19_107
; %bb.106:                              ;   in Loop: Header=BB19_13 Depth=1
	ds_write_b16 v248, v45 offset:15360
	ds_write_b16 v250, v45 offset:15360
.LBB19_107:                             ;   in Loop: Header=BB19_13 Depth=1
	s_or_saveexec_b64 s[2:3], s[2:3]
	v_mov_b32_e32 v1, 0
	v_mov_b32_e32 v16, 0
	s_xor_b64 exec, exec, s[2:3]
	s_cbranch_execz .LBB19_109
; %bb.108:                              ;   in Loop: Header=BB19_13 Depth=1
	v_add_u32_e32 v0, 16, v168
	v_add_u32_e32 v0, v87, v0
	v_mul_hi_u32 v1, s48, v0
	v_add_u32_e32 v1, v0, v1
	v_lshrrev_b32_e32 v1, s49, v1
	v_mul_lo_u32 v1, v1, s60
	v_readlane_b32 s38, v254, 54
	v_sub_u32_e32 v0, v0, v1
	v_readlane_b32 s39, v254, 55
	s_mov_b32 s50, s38
	v_mad_i64_i32 v[0:1], s[38:39], v0, s50, 0
	v_lshl_add_u64 v[0:1], v[0:1], 1, v[14:15]
	global_load_ushort v16, v[0:1], off
	v_add_u32_e32 v0, 20, v168
	v_add_u32_e32 v0, v87, v0
	v_mul_hi_u32 v1, s48, v0
	v_add_u32_e32 v1, v0, v1
	v_lshrrev_b32_e32 v1, s49, v1
	v_mul_lo_u32 v1, v1, s60
	v_sub_u32_e32 v0, v0, v1
	v_mad_i64_i32 v[0:1], s[38:39], v0, s50, 0
	v_lshl_add_u64 v[0:1], v[0:1], 1, v[14:15]
	global_load_ushort v0, v[0:1], off
	s_waitcnt vmcnt(1)
	ds_write_b16 v248, v16 offset:15360
	s_waitcnt vmcnt(0)
	ds_write_b16 v250, v0 offset:15360
	v_add_u32_e32 v0, 24, v168
	v_add_u32_e32 v0, v87, v0
	v_mul_hi_u32 v1, s48, v0
	v_add_u32_e32 v1, v0, v1
	v_lshrrev_b32_e32 v1, s49, v1
	v_mul_lo_u32 v1, v1, s60
	v_sub_u32_e32 v0, v0, v1
	v_mad_i64_i32 v[0:1], s[38:39], v0, s50, 0
	v_lshl_add_u64 v[0:1], v[0:1], 1, v[14:15]
	global_load_ushort v1, v[0:1], off
	v_add_u32_e32 v0, 28, v168
	v_add_u32_e32 v0, v87, v0
	v_mul_hi_u32 v16, s48, v0
	v_add_u32_e32 v16, v0, v16
	v_lshrrev_b32_e32 v16, s49, v16
	v_mul_lo_u32 v16, v16, s60
	v_sub_u32_e32 v0, v0, v16
	v_mad_i64_i32 v[16:17], s[38:39], v0, s50, 0
	v_lshl_add_u64 v[16:17], v[16:17], 1, v[14:15]
	global_load_ushort v16, v[16:17], off
.LBB19_109:                             ;   in Loop: Header=BB19_13 Depth=1
	s_or_b64 exec, exec, s[2:3]
	s_waitcnt vmcnt(1)
	ds_write_b16 v252, v1 offset:15360
	s_waitcnt vmcnt(0)
	ds_write_b16 v222, v16 offset:15360
	s_and_saveexec_b64 s[2:3], vcc
	s_xor_b64 s[2:3], exec, s[2:3]
	s_cbranch_execz .LBB19_111
; %bb.110:                              ;   in Loop: Header=BB19_13 Depth=1
	ds_write_b16 v219, v45 offset:15360
	ds_write_b16 v235, v45 offset:15360
.LBB19_111:                             ;   in Loop: Header=BB19_13 Depth=1
	s_or_saveexec_b64 s[2:3], s[2:3]
	v_mov_b32_e32 v1, 0
	v_mov_b32_e32 v16, 0
	s_xor_b64 exec, exec, s[2:3]
	s_cbranch_execz .LBB19_113
; %bb.112:                              ;   in Loop: Header=BB19_13 Depth=1
	v_add_u32_e32 v0, 32, v168
	v_add_u32_e32 v0, v87, v0
	v_mul_hi_u32 v1, s48, v0
	v_add_u32_e32 v1, v0, v1
	v_lshrrev_b32_e32 v1, s49, v1
	v_mul_lo_u32 v1, v1, s60
	v_readlane_b32 s38, v254, 54
	v_sub_u32_e32 v0, v0, v1
	v_readlane_b32 s39, v254, 55
	s_mov_b32 s50, s38
	v_mad_i64_i32 v[0:1], s[38:39], v0, s50, 0
	v_lshl_add_u64 v[0:1], v[0:1], 1, v[14:15]
	global_load_ushort v16, v[0:1], off
	v_add_u32_e32 v0, 36, v168
	v_add_u32_e32 v0, v87, v0
	v_mul_hi_u32 v1, s48, v0
	v_add_u32_e32 v1, v0, v1
	v_lshrrev_b32_e32 v1, s49, v1
	v_mul_lo_u32 v1, v1, s60
	v_sub_u32_e32 v0, v0, v1
	v_mad_i64_i32 v[0:1], s[38:39], v0, s50, 0
	v_lshl_add_u64 v[0:1], v[0:1], 1, v[14:15]
	global_load_ushort v0, v[0:1], off
	s_waitcnt vmcnt(1)
	ds_write_b16 v219, v16 offset:15360
	s_waitcnt vmcnt(0)
	ds_write_b16 v235, v0 offset:15360
	v_add_u32_e32 v0, 40, v168
	v_add_u32_e32 v0, v87, v0
	v_mul_hi_u32 v1, s48, v0
	v_add_u32_e32 v1, v0, v1
	v_lshrrev_b32_e32 v1, s49, v1
	v_mul_lo_u32 v1, v1, s60
	v_sub_u32_e32 v0, v0, v1
	v_mad_i64_i32 v[0:1], s[38:39], v0, s50, 0
	v_lshl_add_u64 v[0:1], v[0:1], 1, v[14:15]
	global_load_ushort v1, v[0:1], off
	v_add_u32_e32 v0, 44, v168
	v_add_u32_e32 v0, v87, v0
	v_mul_hi_u32 v16, s48, v0
	v_add_u32_e32 v16, v0, v16
	v_lshrrev_b32_e32 v16, s49, v16
	v_mul_lo_u32 v16, v16, s60
	v_sub_u32_e32 v0, v0, v16
	v_mad_i64_i32 v[16:17], s[38:39], v0, s50, 0
	v_lshl_add_u64 v[16:17], v[16:17], 1, v[14:15]
	global_load_ushort v16, v[16:17], off
.LBB19_113:                             ;   in Loop: Header=BB19_13 Depth=1
	s_or_b64 exec, exec, s[2:3]
	s_waitcnt vmcnt(1)
	ds_write_b16 v216, v1 offset:15360
	s_waitcnt vmcnt(0)
	ds_write_b16 v234, v16 offset:15360
	s_and_saveexec_b64 s[2:3], vcc
	s_xor_b64 s[2:3], exec, s[2:3]
	s_cbranch_execz .LBB19_115
; %bb.114:                              ;   in Loop: Header=BB19_13 Depth=1
	ds_write_b16 v217, v45 offset:15360
	ds_write_b16 v209, v45 offset:15360
                                        ; implicit-def: $vgpr14_vgpr15
.LBB19_115:                             ;   in Loop: Header=BB19_13 Depth=1
	s_or_saveexec_b64 s[2:3], s[2:3]
	v_mov_b32_e32 v1, 0
	v_mov_b32_e32 v16, 0
	s_xor_b64 exec, exec, s[2:3]
	s_cbranch_execz .LBB19_117
; %bb.116:                              ;   in Loop: Header=BB19_13 Depth=1
	v_add_u32_e32 v0, 48, v168
	v_add_u32_e32 v0, v87, v0
	v_mul_hi_u32 v1, s48, v0
	v_add_u32_e32 v1, v0, v1
	v_lshrrev_b32_e32 v1, s49, v1
	v_mul_lo_u32 v1, v1, s60
	v_readlane_b32 s38, v254, 54
	v_sub_u32_e32 v0, v0, v1
	v_readlane_b32 s39, v254, 55
	s_mov_b32 s50, s38
	v_mad_i64_i32 v[0:1], s[38:39], v0, s50, 0
	v_lshl_add_u64 v[0:1], v[0:1], 1, v[14:15]
	global_load_ushort v16, v[0:1], off
	v_add_u32_e32 v0, 52, v168
	v_add_u32_e32 v0, v87, v0
	v_mul_hi_u32 v1, s48, v0
	v_add_u32_e32 v1, v0, v1
	v_lshrrev_b32_e32 v1, s49, v1
	v_mul_lo_u32 v1, v1, s60
	v_sub_u32_e32 v0, v0, v1
	v_mad_i64_i32 v[0:1], s[38:39], v0, s50, 0
	v_lshl_add_u64 v[0:1], v[0:1], 1, v[14:15]
	global_load_ushort v0, v[0:1], off
	s_waitcnt vmcnt(1)
	ds_write_b16 v217, v16 offset:15360
	s_waitcnt vmcnt(0)
	ds_write_b16 v209, v0 offset:15360
	v_add_u32_e32 v0, 56, v168
	v_add_u32_e32 v0, v87, v0
	v_mul_hi_u32 v1, s48, v0
	v_add_u32_e32 v1, v0, v1
	v_lshrrev_b32_e32 v1, s49, v1
	v_mul_lo_u32 v1, v1, s60
	v_sub_u32_e32 v0, v0, v1
	v_mad_i64_i32 v[0:1], s[38:39], v0, s50, 0
	v_lshl_add_u64 v[0:1], v[0:1], 1, v[14:15]
	global_load_ushort v1, v[0:1], off
	v_add_u32_e32 v0, 60, v168
	v_add_u32_e32 v0, v87, v0
	v_mul_hi_u32 v16, s48, v0
	v_add_u32_e32 v16, v0, v16
	v_lshrrev_b32_e32 v16, s49, v16
	v_mul_lo_u32 v16, v16, s60
	v_sub_u32_e32 v0, v0, v16
	v_mad_i64_i32 v[16:17], s[38:39], v0, s50, 0
	v_lshl_add_u64 v[14:15], v[16:17], 1, v[14:15]
	global_load_ushort v16, v[14:15], off
.LBB19_117:                             ;   in Loop: Header=BB19_13 Depth=1
	s_or_b64 exec, exec, s[2:3]
	s_waitcnt vmcnt(1)
	ds_write_b16 v208, v1 offset:15360
	s_waitcnt vmcnt(0)
	ds_write_b16 v215, v16 offset:15360
.LBB19_118:                             ;   in Loop: Header=BB19_13 Depth=1
	s_mul_hi_i32 s3, s56, s42
	s_mul_i32 s2, s56, s42
	s_lshl_b64 s[2:3], s[2:3], 2
	v_lshl_add_u64 v[14:15], v[100:101], 0, s[2:3]
	scratch_store_dwordx4 off, v[230:233], off
	s_and_saveexec_b64 s[2:3], s[4:5]
	s_cbranch_execz .LBB19_120
; %bb.119:                              ;   in Loop: Header=BB19_13 Depth=1
	v_lshl_add_u64 v[0:1], v[58:59], 2, v[14:15]
	v_lshlrev_b32_e32 v44, 2, v60
	v_lshl_add_u64 v[0:1], v[0:1], 0, v[44:45]
	s_mov_b64 s[38:39], 0xc0
	v_lshl_add_u64 v[0:1], v[0:1], 0, s[38:39]
	v_mov_b32_e32 v16, s45
	v_cmp_gt_i32_e32 vcc, s58, v170
	s_nop 1
	v_cndmask_b32_e32 v1, v16, v1, vcc
	v_cndmask_b32_e32 v0, v84, v0, vcc
	flat_load_dwordx4 v[16:19], v[0:1]
	s_waitcnt vmcnt(0) lgkmcnt(0)
	ds_write_b128 v178, v[16:19]
.LBB19_120:                             ;   in Loop: Header=BB19_13 Depth=1
	s_or_b64 exec, exec, s[2:3]
	v_lshl_add_u64 v[0:1], v[48:49], 2, v[14:15]
	v_lshlrev_b32_e32 v44, 2, v50
	v_lshl_add_u64 v[0:1], v[0:1], 0, v[44:45]
	v_cmp_gt_i32_e64 s[72:73], s58, v171
	v_lshl_add_u64 v[0:1], v[0:1], 0, s[46:47]
	v_mov_b32_e32 v20, s45
	v_lshl_add_u64 v[16:17], v[54:55], 2, v[14:15]
	v_lshlrev_b32_e32 v32, 2, v52
	v_mov_b32_e32 v33, v45
	v_lshl_add_u64 v[14:15], v[56:57], 2, v[14:15]
	v_cndmask_b32_e64 v1, v20, v1, s[72:73]
	v_cndmask_b32_e64 v0, v84, v0, s[72:73]
	v_cmp_gt_i32_e64 s[70:71], s58, v53
	v_lshl_add_u64 v[16:17], v[16:17], 0, v[32:33]
	v_cmp_gt_i32_e64 s[68:69], s58, v196
	v_lshl_add_u64 v[14:15], v[14:15], 0, v[32:33]
	v_cndmask_b32_e64 v19, v20, v17, s[70:71]
	v_cndmask_b32_e64 v18, v84, v16, s[70:71]
	;; [unrolled: 1-line block ×4, first 2 shown]
	flat_load_dwordx4 v[14:17], v[0:1]
	s_andn2_b64 vcc, exec, s[74:75]
	s_waitcnt vmcnt(0) lgkmcnt(0)
	ds_write_b128 v172, v[14:17]
	flat_load_dwordx4 v[14:17], v[18:19]
	s_waitcnt vmcnt(0) lgkmcnt(0)
	ds_write_b128 v174, v[14:17]
	flat_load_dwordx4 v[14:17], v[20:21]
	s_waitcnt vmcnt(0) lgkmcnt(0)
	ds_write_b128 v176, v[14:17]
	s_waitcnt lgkmcnt(0)
	s_barrier
	ds_read2_b64 v[14:17], v177 offset1:4
	s_waitcnt lgkmcnt(0)
	v_mfma_f32_16x16x16_f16 v[18:21], v[14:15], v[10:11], 0
	ds_read_b64 v[0:1], v177 offset:192
	v_mfma_f32_16x16x16_f16 v[14:17], v[16:17], v[12:13], v[18:21]
	s_nop 5
	ds_read2_b64 v[18:21], v177 offset0:8 offset1:12
	s_waitcnt lgkmcnt(0)
	v_mfma_f32_16x16x16_f16 v[14:17], v[18:19], v[6:7], v[14:17]
	v_mfma_f32_16x16x16_f16 v[14:17], v[20:21], v[8:9], v[14:17]
	ds_read2_b64 v[18:21], v177 offset0:16 offset1:20
	s_waitcnt lgkmcnt(0)
	v_mfma_f32_16x16x16_f16 v[14:17], v[18:19], v[2:3], v[14:17]
	v_mfma_f32_16x16x16_f16 v[14:17], v[20:21], v[4:5], v[14:17]
	;; [unrolled: 1-line block ×3, first 2 shown]
	v_add_u32_e32 v0, 0x800, v177
	s_nop 5
	ds_read2_b64 v[14:17], v0 offset0:224 offset1:228
	s_waitcnt lgkmcnt(0)
	v_mfma_f32_16x16x16_f16 v[18:21], v[14:15], v[10:11], 0
	v_mfma_f32_16x16x16_f16 v[14:17], v[16:17], v[12:13], v[18:21]
	s_nop 6
	ds_read2_b64 v[18:21], v0 offset0:232 offset1:236
	s_waitcnt lgkmcnt(0)
	v_mfma_f32_16x16x16_f16 v[14:17], v[18:19], v[6:7], v[14:17]
	v_mfma_f32_16x16x16_f16 v[14:17], v[20:21], v[8:9], v[14:17]
	ds_read2_b64 v[18:21], v0 offset0:240 offset1:244
	ds_read_b64 v[0:1], v177 offset:4032
	s_waitcnt lgkmcnt(1)
	v_mfma_f32_16x16x16_f16 v[14:17], v[18:19], v[2:3], v[14:17]
	v_mfma_f32_16x16x16_f16 v[14:17], v[20:21], v[4:5], v[14:17]
	s_waitcnt lgkmcnt(0)
	v_mfma_f32_16x16x16_f16 v[18:21], v[0:1], v[112:113], v[14:17]
	v_add_u32_e32 v0, 0x1800, v177
	s_nop 4
	ds_read2_b64 v[14:17], v0 offset0:192 offset1:196
	s_waitcnt lgkmcnt(0)
	v_mfma_f32_16x16x16_f16 v[26:29], v[14:15], v[10:11], 0
	v_mfma_f32_16x16x16_f16 v[14:17], v[16:17], v[12:13], v[26:29]
	s_nop 6
	ds_read2_b64 v[26:29], v0 offset0:200 offset1:204
	s_waitcnt lgkmcnt(0)
	v_mfma_f32_16x16x16_f16 v[14:17], v[26:27], v[6:7], v[14:17]
	v_mfma_f32_16x16x16_f16 v[14:17], v[28:29], v[8:9], v[14:17]
	ds_read2_b64 v[26:29], v0 offset0:208 offset1:212
	ds_read_b64 v[0:1], v177 offset:7872
	s_waitcnt lgkmcnt(1)
	v_mfma_f32_16x16x16_f16 v[14:17], v[26:27], v[2:3], v[14:17]
	v_mfma_f32_16x16x16_f16 v[14:17], v[28:29], v[4:5], v[14:17]
	s_waitcnt lgkmcnt(0)
	v_mfma_f32_16x16x16_f16 v[14:17], v[0:1], v[112:113], v[14:17]
	v_add_u32_e32 v0, 0x2800, v177
	ds_read2_b64 v[26:29], v0 offset0:160 offset1:164
	s_waitcnt lgkmcnt(0)
	v_mfma_f32_16x16x16_f16 v[34:37], v[26:27], v[10:11], 0
	v_mfma_f32_16x16x16_f16 v[10:13], v[28:29], v[12:13], v[34:37]
	ds_read2_b64 v[26:29], v0 offset0:168 offset1:172
	s_waitcnt lgkmcnt(0)
	v_mfma_f32_16x16x16_f16 v[10:13], v[26:27], v[6:7], v[10:13]
	v_mfma_f32_16x16x16_f16 v[6:9], v[28:29], v[8:9], v[10:13]
	s_nop 6
	ds_read2_b64 v[10:13], v0 offset0:176 offset1:180
	ds_read_b64 v[0:1], v177 offset:11712
	s_waitcnt lgkmcnt(1)
	v_mfma_f32_16x16x16_f16 v[6:9], v[10:11], v[2:3], v[6:9]
	s_waitcnt lgkmcnt(0)
	s_barrier
	v_mfma_f32_16x16x16_f16 v[2:5], v[12:13], v[4:5], v[6:9]
	v_mfma_f32_16x16x16_f16 v[26:29], v[0:1], v[112:113], v[2:5]
	s_cbranch_vccnz .LBB19_122
; %bb.121:                              ;   in Loop: Header=BB19_13 Depth=1
	ds_read_b32 v0, v180 offset:15360
	s_nop 4
	ds_read_b32 v2, v181 offset:15360
	s_waitcnt lgkmcnt(1)
	v_cvt_f32_f16_sdwa v1, v0 dst_sel:DWORD dst_unused:UNUSED_PAD src0_sel:WORD_1
	v_cvt_f32_f16_e32 v0, v0
	v_pk_fma_f32 v[22:23], v[96:97], v[0:1], v[22:23] op_sel_hi:[0,1,1]
	v_add_u32_e32 v0, 0x3c00, v191
	ds_read2_b32 v[0:1], v0 offset1:1
	s_waitcnt lgkmcnt(1)
	v_cvt_f32_f16_sdwa v3, v2 dst_sel:DWORD dst_unused:UNUSED_PAD src0_sel:WORD_1
	v_cvt_f32_f16_e32 v2, v2
	v_pk_fma_f32 v[24:25], v[96:97], v[2:3], v[24:25] op_sel_hi:[0,1,1]
	s_waitcnt lgkmcnt(0)
	v_cvt_f32_f16_e32 v2, v0
	v_cvt_f32_f16_sdwa v3, v0 dst_sel:DWORD dst_unused:UNUSED_PAD src0_sel:WORD_1
	v_cvt_f32_f16_e32 v0, v1
	v_cvt_f32_f16_sdwa v1, v1 dst_sel:DWORD dst_unused:UNUSED_PAD src0_sel:WORD_1
	v_pk_fma_f32 v[18:19], v[96:97], v[2:3], v[18:19] op_sel_hi:[0,1,1]
	v_pk_fma_f32 v[20:21], v[96:97], v[0:1], v[20:21] op_sel_hi:[0,1,1]
	v_add_u32_e32 v0, 0x3c00, v193
	ds_read2_b32 v[0:1], v0 offset1:1
	s_waitcnt lgkmcnt(0)
	v_cvt_f32_f16_e32 v2, v0
	v_cvt_f32_f16_sdwa v3, v0 dst_sel:DWORD dst_unused:UNUSED_PAD src0_sel:WORD_1
	v_cvt_f32_f16_e32 v0, v1
	v_cvt_f32_f16_sdwa v1, v1 dst_sel:DWORD dst_unused:UNUSED_PAD src0_sel:WORD_1
	v_pk_fma_f32 v[14:15], v[96:97], v[2:3], v[14:15] op_sel_hi:[0,1,1]
	v_pk_fma_f32 v[16:17], v[96:97], v[0:1], v[16:17] op_sel_hi:[0,1,1]
	v_add_u32_e32 v0, 0x3c00, v195
	ds_read2_b32 v[0:1], v0 offset1:1
	s_waitcnt lgkmcnt(0)
	v_cvt_f32_f16_e32 v2, v0
	v_cvt_f32_f16_sdwa v3, v0 dst_sel:DWORD dst_unused:UNUSED_PAD src0_sel:WORD_1
	v_cvt_f32_f16_e32 v0, v1
	v_cvt_f32_f16_sdwa v1, v1 dst_sel:DWORD dst_unused:UNUSED_PAD src0_sel:WORD_1
	v_pk_fma_f32 v[26:27], v[96:97], v[2:3], v[26:27] op_sel_hi:[0,1,1]
	v_pk_fma_f32 v[28:29], v[96:97], v[0:1], v[28:29] op_sel_hi:[0,1,1]
.LBB19_122:                             ;   in Loop: Header=BB19_13 Depth=1
	v_add_f32_e32 v0, 0x40051340, v22
	v_max_f32_e32 v1, v97, v97
	v_max_f32_e32 v0, v1, v0
	v_cmp_gt_u32_e64 s[50:51], s58, v179
	v_add_f32_e32 v1, 0x40051340, v23
	v_cmp_gt_u32_e32 vcc, s58, v237
	v_cndmask_b32_e64 v0, v97, v0, s[50:51]
	v_max_f32_e32 v2, v0, v0
	v_max_f32_e32 v1, v2, v1
	v_cndmask_b32_e32 v0, v0, v1, vcc
	v_add_f32_e32 v1, 0x40051340, v24
	v_max_f32_e32 v2, v0, v0
	v_max_f32_e32 v1, v2, v1
	v_cmp_gt_u32_e64 s[98:99], s58, v43
	v_cmp_gt_u32_e64 s[38:39], s58, v197
	;; [unrolled: 1-line block ×3, first 2 shown]
	v_cndmask_b32_e64 v0, v0, v1, s[98:99]
	v_add_f32_e32 v1, 0x40051340, v25
	v_max_f32_e32 v2, v0, v0
	v_max_f32_e32 v1, v2, v1
	v_cndmask_b32_e64 v0, v0, v1, s[38:39]
	v_add_f32_e32 v1, 0x40051340, v18
	v_max_f32_e32 v2, v0, v0
	v_max_f32_e32 v1, v2, v1
	;; [unrolled: 4-line block ×3, first 2 shown]
	v_cmp_gt_u32_e64 s[94:95], s58, v207
	v_cmp_gt_u32_e64 s[74:75], s58, v225
	;; [unrolled: 1-line block ×3, first 2 shown]
	v_cndmask_b32_e64 v0, v0, v1, s[94:95]
	v_add_f32_e32 v1, 0x40051340, v20
	v_max_f32_e32 v2, v0, v0
	v_max_f32_e32 v1, v2, v1
	v_add_u32_e32 v2, 18, v179
	v_cmp_gt_u32_e64 s[92:93], s58, v2
	v_cmp_gt_u32_e64 s[88:89], s58, v214
	;; [unrolled: 1-line block ×3, first 2 shown]
	v_cndmask_b32_e64 v0, v0, v1, s[92:93]
	v_add_f32_e32 v1, 0x40051340, v21
	v_max_f32_e32 v2, v0, v0
	v_max_f32_e32 v1, v2, v1
	v_cndmask_b32_e64 v0, v0, v1, s[74:75]
	v_add_f32_e32 v1, 0x40051340, v14
	v_max_f32_e32 v2, v0, v0
	v_max_f32_e32 v1, v2, v1
	;; [unrolled: 4-line block ×5, first 2 shown]
	v_cmp_gt_u32_e64 s[76:77], s58, v238
	v_cmp_gt_u32_e64 s[84:85], s58, v194
	;; [unrolled: 1-line block ×3, first 2 shown]
	v_cndmask_b32_e64 v0, v0, v1, s[76:77]
	v_add_f32_e32 v1, 0x40051340, v26
	v_max_f32_e32 v2, v0, v0
	v_max_f32_e32 v1, v2, v1
	v_cndmask_b32_e64 v0, v0, v1, s[84:85]
	v_add_f32_e32 v1, 0x40051340, v27
	v_max_f32_e32 v2, v0, v0
	v_max_f32_e32 v1, v2, v1
	;; [unrolled: 4-line block ×3, first 2 shown]
	v_cmp_gt_u32_e64 s[80:81], s58, v167
	v_cmp_gt_u32_e64 s[78:79], s58, v236
	scratch_store_dwordx4 off, v[230:233], off
	v_cndmask_b32_e64 v0, v0, v1, s[80:81]
	v_add_f32_e32 v1, 0x40051340, v29
	v_max_f32_e32 v2, v0, v0
	v_max_f32_e32 v1, v2, v1
	v_cndmask_b32_e64 v0, v0, v1, s[78:79]
	v_and_b32_e32 v1, 64, v83
	v_add_u32_e32 v2, 64, v1
	v_xor_b32_e32 v1, 32, v83
	v_cmp_lt_i32_e64 s[2:3], v1, v2
	s_nop 1
	v_cndmask_b32_e64 v1, v83, v1, s[2:3]
	v_lshlrev_b32_e32 v36, 2, v1
	ds_bpermute_b32 v1, v36, v0
	v_max_f32_e32 v0, v0, v0
	s_waitcnt lgkmcnt(0)
	v_max_f32_e32 v1, v1, v1
	v_max_f32_e32 v1, v0, v1
	v_xor_b32_e32 v0, 16, v83
	v_cmp_lt_i32_e64 s[2:3], v0, v2
	s_nop 1
	v_cndmask_b32_e64 v0, v83, v0, s[2:3]
	v_lshlrev_b32_e32 v31, 2, v0
	ds_bpermute_b32 v2, v31, v1
	v_readlane_b32 s2, v254, 56
	v_readlane_b32 s3, v254, 57
	s_mul_hi_i32 s3, s56, s2
	s_mul_i32 s2, s56, s2
	s_lshl_b64 s[2:3], s[2:3], 2
	v_lshl_add_u64 v[34:35], v[94:95], 0, s[2:3]
	s_and_saveexec_b64 s[56:57], s[4:5]
	s_cbranch_execz .LBB19_124
; %bb.123:                              ;   in Loop: Header=BB19_13 Depth=1
	v_lshl_add_u64 v[4:5], v[64:65], 2, v[34:35]
	v_lshlrev_b32_e32 v6, 2, v60
	v_mov_b32_e32 v7, v45
	v_lshl_add_u64 v[4:5], v[4:5], 0, v[6:7]
	s_mov_b64 s[2:3], 0xc0
	v_lshl_add_u64 v[4:5], v[4:5], 0, s[2:3]
	v_mov_b32_e32 v0, s45
	v_cmp_gt_i32_e64 s[2:3], s58, v170
	s_nop 1
	v_cndmask_b32_e64 v5, v0, v5, s[2:3]
	v_cndmask_b32_e64 v4, v84, v4, s[2:3]
	flat_load_dwordx4 v[4:7], v[4:5]
	s_waitcnt vmcnt(0) lgkmcnt(0)
	ds_write_b128 v178, v[4:7]
.LBB19_124:                             ;   in Loop: Header=BB19_13 Depth=1
	s_or_b64 exec, exec, s[56:57]
	s_waitcnt lgkmcnt(0)
	v_max_f32_e32 v0, v2, v2
	v_max_f32_e32 v1, v1, v1
	v_max_f32_e32 v30, v1, v0
	v_sub_f32_e32 v0, v22, v30
	v_mul_f32_e32 v1, 0x3fb8aa3b, v0
	v_fma_f32 v2, v0, s44, -v1
	v_rndne_f32_e32 v3, v1
	v_fmac_f32_e32 v2, 0x32a5705f, v0
	v_sub_f32_e32 v1, v1, v3
	v_add_f32_e32 v1, v1, v2
	v_exp_f32_e32 v1, v1
	v_cvt_i32_f32_e32 v2, v3
	v_cmp_ngt_f32_e64 s[2:3], s33, v0
	s_mov_b32 s58, 0xc1a00000
	v_ldexp_f32 v1, v1, v2
	v_cndmask_b32_e64 v1, 0, v1, s[2:3]
	v_cmp_nlt_f32_e64 s[2:3], s61, v0
	s_nop 1
	v_cndmask_b32_e64 v0, v81, v1, s[2:3]
	v_cndmask_b32_e64 v2, 0, v0, s[50:51]
	v_sub_f32_e32 v0, v23, v30
	v_mul_f32_e32 v1, 0x3fb8aa3b, v0
	v_fma_f32 v3, v0, s44, -v1
	v_rndne_f32_e32 v4, v1
	v_fmac_f32_e32 v3, 0x32a5705f, v0
	v_sub_f32_e32 v1, v1, v4
	v_add_f32_e32 v1, v1, v3
	v_exp_f32_e32 v1, v1
	v_cvt_i32_f32_e32 v3, v4
	v_cmp_ngt_f32_e64 s[2:3], s33, v0
	v_ldexp_f32 v1, v1, v3
	s_nop 0
	v_cndmask_b32_e64 v1, 0, v1, s[2:3]
	v_cmp_nlt_f32_e64 s[2:3], s61, v0
	s_nop 1
	v_cndmask_b32_e64 v0, v81, v1, s[2:3]
	v_add_f32_e32 v3, v0, v2
	v_mov_b32_e32 v1, s59
	v_cndmask_b32_e32 v1, v1, v0, vcc
	v_cndmask_b32_e32 v0, v2, v3, vcc
	v_sub_f32_e32 v3, v24, v30
	v_mul_f32_e32 v4, 0x3fb8aa3b, v3
	v_fma_f32 v5, v3, s44, -v4
	v_rndne_f32_e32 v6, v4
	v_fmac_f32_e32 v5, 0x32a5705f, v3
	v_sub_f32_e32 v4, v4, v6
	v_add_f32_e32 v4, v4, v5
	v_exp_f32_e32 v4, v4
	v_cvt_i32_f32_e32 v5, v6
	v_cmp_ngt_f32_e32 vcc, s33, v3
	v_ldexp_f32 v4, v4, v5
	s_nop 0
	v_cndmask_b32_e32 v4, 0, v4, vcc
	v_cmp_nlt_f32_e32 vcc, s61, v3
	s_nop 1
	v_cndmask_b32_e32 v3, v81, v4, vcc
	v_mov_b32_e32 v4, s59
	v_add_f32_e32 v5, v0, v3
	v_cndmask_b32_e64 v8, v4, v3, s[98:99]
	v_sub_f32_e32 v3, v25, v30
	v_mul_f32_e32 v4, 0x3fb8aa3b, v3
	v_cndmask_b32_e64 v0, v0, v5, s[98:99]
	v_fma_f32 v5, v3, s44, -v4
	v_rndne_f32_e32 v6, v4
	v_fmac_f32_e32 v5, 0x32a5705f, v3
	v_sub_f32_e32 v4, v4, v6
	v_add_f32_e32 v4, v4, v5
	v_exp_f32_e32 v4, v4
	v_cvt_i32_f32_e32 v5, v6
	v_cmp_ngt_f32_e32 vcc, s33, v3
	v_ldexp_f32 v4, v4, v5
	s_nop 0
	v_cndmask_b32_e32 v4, 0, v4, vcc
	v_cmp_nlt_f32_e32 vcc, s61, v3
	s_nop 1
	v_cndmask_b32_e32 v33, v81, v4, vcc
	v_add_f32_e32 v3, v0, v33
	v_cndmask_b32_e64 v0, v0, v3, s[38:39]
	v_sub_f32_e32 v3, v18, v30
	v_mul_f32_e32 v4, 0x3fb8aa3b, v3
	v_fma_f32 v5, v3, s44, -v4
	v_rndne_f32_e32 v6, v4
	v_fmac_f32_e32 v5, 0x32a5705f, v3
	v_sub_f32_e32 v4, v4, v6
	v_add_f32_e32 v4, v4, v5
	v_exp_f32_e32 v4, v4
	v_cvt_i32_f32_e32 v5, v6
	v_cmp_ngt_f32_e32 vcc, s33, v3
	v_ldexp_f32 v4, v4, v5
	s_nop 0
	v_cndmask_b32_e32 v4, 0, v4, vcc
	v_cmp_nlt_f32_e32 vcc, s61, v3
	s_nop 1
	v_cndmask_b32_e32 v3, v81, v4, vcc
	v_mov_b32_e32 v4, s59
	v_add_f32_e32 v5, v3, v0
	v_cndmask_b32_e64 v4, v4, v3, s[96:97]
	v_sub_f32_e32 v3, v19, v30
	v_cndmask_b32_e64 v0, v0, v5, s[96:97]
	v_mul_f32_e32 v5, 0x3fb8aa3b, v3
	v_fma_f32 v6, v3, s44, -v5
	v_rndne_f32_e32 v7, v5
	v_fmac_f32_e32 v6, 0x32a5705f, v3
	v_sub_f32_e32 v5, v5, v7
	v_add_f32_e32 v5, v5, v6
	v_exp_f32_e32 v5, v5
	v_cvt_i32_f32_e32 v6, v7
	v_cmp_ngt_f32_e32 vcc, s33, v3
	v_ldexp_f32 v5, v5, v6
	s_nop 0
	v_cndmask_b32_e32 v5, 0, v5, vcc
	v_cmp_nlt_f32_e32 vcc, s61, v3
	v_mov_b32_e32 v3, s59
	s_nop 0
	v_cndmask_b32_e32 v5, v81, v5, vcc
	v_add_f32_e32 v6, v5, v0
	v_cndmask_b32_e64 v3, v3, v5, s[94:95]
	v_sub_f32_e32 v5, v20, v30
	v_cndmask_b32_e64 v0, v0, v6, s[94:95]
	v_mul_f32_e32 v6, 0x3fb8aa3b, v5
	v_fma_f32 v7, v5, s44, -v6
	v_rndne_f32_e32 v9, v6
	v_fmac_f32_e32 v7, 0x32a5705f, v5
	v_sub_f32_e32 v6, v6, v9
	v_add_f32_e32 v6, v6, v7
	v_exp_f32_e32 v6, v6
	v_cvt_i32_f32_e32 v7, v9
	v_cmp_ngt_f32_e32 vcc, s33, v5
	v_ldexp_f32 v6, v6, v7
	s_nop 0
	v_cndmask_b32_e32 v6, 0, v6, vcc
	v_cmp_nlt_f32_e32 vcc, s61, v5
	s_nop 1
	v_cndmask_b32_e32 v5, v81, v6, vcc
	v_mov_b32_e32 v6, s59
	v_add_f32_e32 v7, v5, v0
	v_cndmask_b32_e64 v6, v6, v5, s[92:93]
	v_sub_f32_e32 v5, v21, v30
	v_cndmask_b32_e64 v0, v0, v7, s[92:93]
	v_mul_f32_e32 v7, 0x3fb8aa3b, v5
	v_fma_f32 v9, v5, s44, -v7
	v_rndne_f32_e32 v10, v7
	v_fmac_f32_e32 v9, 0x32a5705f, v5
	v_sub_f32_e32 v7, v7, v10
	v_add_f32_e32 v7, v7, v9
	v_exp_f32_e32 v7, v7
	v_cvt_i32_f32_e32 v9, v10
	v_cmp_ngt_f32_e32 vcc, s33, v5
	v_ldexp_f32 v7, v7, v9
	s_nop 0
	v_cndmask_b32_e32 v7, 0, v7, vcc
	v_cmp_nlt_f32_e32 vcc, s61, v5
	s_nop 1
	v_cndmask_b32_e32 v18, v81, v7, vcc
	v_add_f32_e32 v5, v18, v0
	v_cndmask_b32_e64 v0, v0, v5, s[74:75]
	v_sub_f32_e32 v5, v14, v30
	v_mul_f32_e32 v7, 0x3fb8aa3b, v5
	v_fma_f32 v9, v5, s44, -v7
	v_rndne_f32_e32 v10, v7
	v_fmac_f32_e32 v9, 0x32a5705f, v5
	v_sub_f32_e32 v7, v7, v10
	v_add_f32_e32 v7, v7, v9
	v_exp_f32_e32 v7, v7
	v_cvt_i32_f32_e32 v9, v10
	v_cmp_ngt_f32_e32 vcc, s33, v5
	v_mov_b32_e32 v10, s59
	v_mov_b32_e32 v14, s59
	v_ldexp_f32 v7, v7, v9
	v_cndmask_b32_e32 v7, 0, v7, vcc
	v_cmp_nlt_f32_e32 vcc, s61, v5
	s_nop 1
	v_cndmask_b32_e32 v5, v81, v7, vcc
	v_add_f32_e32 v7, v5, v0
	v_cndmask_b32_e64 v10, v10, v5, s[90:91]
	v_sub_f32_e32 v5, v15, v30
	v_cndmask_b32_e64 v0, v0, v7, s[90:91]
	v_mul_f32_e32 v7, 0x3fb8aa3b, v5
	v_fma_f32 v9, v5, s44, -v7
	v_rndne_f32_e32 v11, v7
	v_fmac_f32_e32 v9, 0x32a5705f, v5
	v_sub_f32_e32 v7, v7, v11
	v_add_f32_e32 v7, v7, v9
	v_exp_f32_e32 v7, v7
	v_cvt_i32_f32_e32 v9, v11
	v_cmp_ngt_f32_e32 vcc, s33, v5
	v_ldexp_f32 v7, v7, v9
	s_nop 0
	v_cndmask_b32_e32 v7, 0, v7, vcc
	v_cmp_nlt_f32_e32 vcc, s61, v5
	v_mov_b32_e32 v5, s59
	s_nop 0
	v_cndmask_b32_e32 v7, v81, v7, vcc
	v_add_f32_e32 v9, v7, v0
	v_cndmask_b32_e64 v5, v5, v7, s[88:89]
	v_sub_f32_e32 v7, v16, v30
	v_cndmask_b32_e64 v0, v0, v9, s[88:89]
	v_mul_f32_e32 v9, 0x3fb8aa3b, v7
	v_fma_f32 v11, v7, s44, -v9
	v_rndne_f32_e32 v12, v9
	v_fmac_f32_e32 v11, 0x32a5705f, v7
	v_sub_f32_e32 v9, v9, v12
	v_add_f32_e32 v9, v9, v11
	v_exp_f32_e32 v9, v9
	v_cvt_i32_f32_e32 v11, v12
	v_cmp_ngt_f32_e32 vcc, s33, v7
	v_mov_b32_e32 v12, s59
	v_mov_b32_e32 v16, s59
	v_ldexp_f32 v9, v9, v11
	v_cndmask_b32_e32 v9, 0, v9, vcc
	v_cmp_nlt_f32_e32 vcc, s61, v7
	s_nop 1
	v_cndmask_b32_e32 v7, v81, v9, vcc
	v_add_f32_e32 v9, v7, v0
	v_cndmask_b32_e64 v12, v12, v7, s[86:87]
	v_sub_f32_e32 v7, v17, v30
	v_cndmask_b32_e64 v0, v0, v9, s[86:87]
	v_mul_f32_e32 v9, 0x3fb8aa3b, v7
	v_fma_f32 v11, v7, s44, -v9
	v_rndne_f32_e32 v13, v9
	v_fmac_f32_e32 v11, 0x32a5705f, v7
	v_sub_f32_e32 v9, v9, v13
	v_add_f32_e32 v9, v9, v11
	v_exp_f32_e32 v9, v9
	v_cvt_i32_f32_e32 v11, v13
	v_cmp_ngt_f32_e32 vcc, s33, v7
	v_mov_b32_e32 v17, s59
	v_ldexp_f32 v9, v9, v11
	v_cndmask_b32_e32 v9, 0, v9, vcc
	v_cmp_nlt_f32_e32 vcc, s61, v7
	s_nop 1
	v_cndmask_b32_e32 v20, v81, v9, vcc
	v_add_f32_e32 v7, v20, v0
	v_cndmask_b32_e64 v0, v0, v7, s[76:77]
	v_sub_f32_e32 v7, v26, v30
	v_mul_f32_e32 v9, 0x3fb8aa3b, v7
	v_fma_f32 v11, v7, s44, -v9
	v_rndne_f32_e32 v13, v9
	v_fmac_f32_e32 v11, 0x32a5705f, v7
	v_sub_f32_e32 v9, v9, v13
	v_add_f32_e32 v9, v9, v11
	v_exp_f32_e32 v9, v9
	v_cvt_i32_f32_e32 v11, v13
	v_cmp_ngt_f32_e32 vcc, s33, v7
	v_ldexp_f32 v9, v9, v11
	s_nop 0
	v_cndmask_b32_e32 v9, 0, v9, vcc
	v_cmp_nlt_f32_e32 vcc, s61, v7
	s_nop 1
	v_cndmask_b32_e32 v7, v81, v9, vcc
	v_add_f32_e32 v9, v7, v0
	v_cndmask_b32_e64 v14, v14, v7, s[84:85]
	v_sub_f32_e32 v7, v27, v30
	v_cndmask_b32_e64 v0, v0, v9, s[84:85]
	v_mul_f32_e32 v9, 0x3fb8aa3b, v7
	v_fma_f32 v11, v7, s44, -v9
	v_rndne_f32_e32 v13, v9
	v_fmac_f32_e32 v11, 0x32a5705f, v7
	v_sub_f32_e32 v9, v9, v13
	v_add_f32_e32 v9, v9, v11
	v_exp_f32_e32 v9, v9
	v_cvt_i32_f32_e32 v11, v13
	v_cmp_ngt_f32_e32 vcc, s33, v7
	v_ldexp_f32 v9, v9, v11
	s_nop 0
	v_cndmask_b32_e32 v9, 0, v9, vcc
	v_cmp_nlt_f32_e32 vcc, s61, v7
	v_mov_b32_e32 v7, s59
	s_nop 0
	v_cndmask_b32_e32 v9, v81, v9, vcc
	v_add_f32_e32 v11, v9, v0
	v_cndmask_b32_e64 v7, v7, v9, s[82:83]
	v_sub_f32_e32 v9, v28, v30
	v_cndmask_b32_e64 v0, v0, v11, s[82:83]
	v_mul_f32_e32 v11, 0x3fb8aa3b, v9
	v_fma_f32 v13, v9, s44, -v11
	v_rndne_f32_e32 v15, v11
	v_fmac_f32_e32 v13, 0x32a5705f, v9
	v_sub_f32_e32 v11, v11, v15
	v_add_f32_e32 v11, v11, v13
	v_exp_f32_e32 v11, v11
	v_cvt_i32_f32_e32 v13, v15
	v_cmp_ngt_f32_e32 vcc, s33, v9
	v_ldexp_f32 v11, v11, v13
	s_nop 0
	v_cndmask_b32_e32 v11, 0, v11, vcc
	v_cmp_nlt_f32_e32 vcc, s61, v9
	s_nop 1
	v_cndmask_b32_e32 v9, v81, v11, vcc
	v_add_f32_e32 v11, v9, v0
	v_cndmask_b32_e64 v16, v16, v9, s[80:81]
	v_sub_f32_e32 v9, v29, v30
	v_cndmask_b32_e64 v0, v0, v11, s[80:81]
	v_mul_f32_e32 v11, 0x3fb8aa3b, v9
	v_fma_f32 v13, v9, s44, -v11
	v_rndne_f32_e32 v15, v11
	v_fmac_f32_e32 v13, 0x32a5705f, v9
	v_sub_f32_e32 v11, v11, v15
	v_add_f32_e32 v11, v11, v13
	v_exp_f32_e32 v11, v11
	v_cvt_i32_f32_e32 v13, v15
	v_cmp_ngt_f32_e32 vcc, s33, v9
	v_ldexp_f32 v11, v11, v13
	s_nop 0
	v_cndmask_b32_e32 v11, 0, v11, vcc
	v_cmp_nlt_f32_e32 vcc, s61, v9
	s_nop 1
	v_cndmask_b32_e32 v19, v81, v11, vcc
	v_add_f32_e32 v9, v19, v0
	v_cndmask_b32_e64 v17, v17, v19, s[78:79]
	v_mov_b32_e32 v19, s59
	v_cndmask_b32_e64 v22, v19, v20, s[76:77]
	v_cndmask_b32_e64 v23, v19, v18, s[74:75]
	;; [unrolled: 1-line block ×3, first 2 shown]
	v_lshl_add_u64 v[18:19], v[70:71], 2, v[34:35]
	v_lshl_add_u64 v[18:19], v[18:19], 0, v[44:45]
	;; [unrolled: 1-line block ×3, first 2 shown]
	v_mov_b32_e32 v44, s45
	v_cndmask_b32_e64 v19, v44, v19, s[72:73]
	v_cndmask_b32_e64 v18, v84, v18, s[72:73]
	flat_load_dwordx4 v[18:21], v[18:19]
	v_mov_b32_e32 v33, v45
	v_cndmask_b32_e64 v24, v0, v9, s[78:79]
	v_sub_f32_e32 v0, v97, v30
	v_mul_f32_e32 v9, 0x3fb8aa3b, v0
	v_fma_f32 v11, v0, s44, -v9
	v_rndne_f32_e32 v13, v9
	v_fmac_f32_e32 v11, 0x32a5705f, v0
	v_sub_f32_e32 v9, v9, v13
	v_add_f32_e32 v9, v9, v11
	v_exp_f32_e32 v9, v9
	v_cvt_i32_f32_e32 v11, v13
	v_cmp_ngt_f32_e32 vcc, s33, v0
	v_cvt_pk_f16_f32 v17, v16, v17
	v_cvt_pk_f16_f32 v16, v14, v7
	v_ldexp_f32 v9, v9, v11
	v_cndmask_b32_e32 v9, 0, v9, vcc
	v_cmp_nlt_f32_e32 vcc, s61, v0
	s_waitcnt vmcnt(0) lgkmcnt(0)
	ds_write_b128 v172, v[18:21]
	v_lshl_add_u64 v[18:19], v[68:69], 2, v[34:35]
	v_lshl_add_u64 v[18:19], v[18:19], 0, v[32:33]
	v_cndmask_b32_e64 v19, v44, v19, s[70:71]
	v_cndmask_b32_e64 v18, v84, v18, s[70:71]
	flat_load_dwordx4 v[18:21], v[18:19]
	v_cndmask_b32_e32 v9, v81, v9, vcc
	v_cmp_le_f32_e32 vcc, s58, v0
	s_waitcnt vmcnt(0) lgkmcnt(0)
	ds_write_b128 v174, v[18:21]
	v_lshl_add_u64 v[18:19], v[66:67], 2, v[34:35]
	v_lshl_add_u64 v[18:19], v[18:19], 0, v[32:33]
	v_cndmask_b32_e64 v19, v44, v19, s[68:69]
	v_cndmask_b32_e64 v18, v84, v18, s[68:69]
	flat_load_dwordx4 v[18:21], v[18:19]
	v_cndmask_b32_e32 v0, 0, v9, vcc
	v_fmac_f32_e32 v24, v163, v0
	v_cvt_f16_f32_e32 v0, v0
	v_cmp_eq_u64_e32 vcc, 0, v[92:93]
	s_and_b64 vcc, exec, vcc
	v_mul_u32_u24_e32 v0, 0x10001, v0
	v_pk_mul_f16 v114, v241, v0
	v_pk_mul_f16 v115, v243, v0
	;; [unrolled: 1-line block ×14, first 2 shown]
	v_cvt_f32_f16_e32 v34, v114
	v_cvt_f32_f16_sdwa v35, v114 dst_sel:DWORD dst_unused:UNUSED_PAD src0_sel:WORD_1
	v_cvt_f32_f16_e32 v32, v115
	v_cvt_f32_f16_sdwa v33, v115 dst_sel:DWORD dst_unused:UNUSED_PAD src0_sel:WORD_1
	v_cvt_f32_f16_sdwa v7, v27 dst_sel:DWORD dst_unused:UNUSED_PAD src0_sel:WORD_1
	s_waitcnt vmcnt(0) lgkmcnt(0)
	ds_write_b128 v176, v[18:21]
	s_waitcnt lgkmcnt(0)
	s_barrier
	ds_read_u16 v0, v183 offset:240
	ds_read_u16 v18, v184
	ds_read_u16 v44, v184 offset:32
	ds_read_u16 v19, v185
	ds_read_u16 v114, v185 offset:32
	s_waitcnt lgkmcnt(1)
	v_perm_b32 v21, v19, v18, s62
	ds_read_u16 v18, v183
	ds_read_u16 v115, v183 offset:32
	v_cvt_pk_f16_f32 v19, v8, v113
	s_waitcnt lgkmcnt(1)
	v_perm_b32 v20, v0, v18, s62
	v_cvt_pk_f16_f32 v18, v2, v1
	s_nop 1
	v_mfma_f32_16x16x16_f16 v[32:35], v[20:21], v[18:19], v[32:35]
	ds_read_u16 v20, v183 offset:3840
	ds_read_u16 v21, v183 offset:4080
	;; [unrolled: 1-line block ×4, first 2 shown]
	s_nop 3
	v_cvt_f16_f32_e32 v0, v32
	v_cvt_f16_f32_e32 v1, v33
	;; [unrolled: 1-line block ×4, first 2 shown]
	v_cvt_f32_f16_e32 v32, v0
	v_cvt_f32_f16_e32 v33, v1
	s_waitcnt lgkmcnt(0)
	v_perm_b32 v1, v116, v113, s62
	v_perm_b32 v0, v21, v20, s62
	v_cvt_f32_f16_e32 v34, v2
	v_cvt_f32_f16_e32 v35, v8
	v_cvt_pk_f16_f32 v21, v6, v23
	v_cvt_pk_f16_f32 v20, v4, v3
	ds_read_u16 v4, v183 offset:7680
	ds_read_u16 v6, v183 offset:7920
	;; [unrolled: 1-line block ×4, first 2 shown]
	v_mfma_f32_16x16x16_f16 v[32:35], v[0:1], v[20:21], v[32:35]
	v_cvt_f32_f16_sdwa v113, v26 dst_sel:DWORD dst_unused:UNUSED_PAD src0_sel:WORD_1
	s_nop 6
	v_cvt_f16_f32_e32 v0, v32
	v_cvt_f16_f32_e32 v1, v33
	;; [unrolled: 1-line block ×4, first 2 shown]
	v_cvt_f32_f16_e32 v32, v0
	v_cvt_f32_f16_e32 v33, v1
	s_waitcnt lgkmcnt(0)
	v_perm_b32 v1, v23, v8, s62
	v_perm_b32 v0, v6, v4, s62
	v_cvt_f32_f16_e32 v34, v2
	v_cvt_f32_f16_e32 v35, v3
	v_cvt_pk_f16_f32 v23, v12, v22
	v_cvt_pk_f16_f32 v22, v10, v5
	ds_read_u16 v6, v183 offset:11520
	ds_read_u16 v8, v183 offset:11760
	;; [unrolled: 1-line block ×4, first 2 shown]
	v_mfma_f32_16x16x16_f16 v[2:5], v[0:1], v[22:23], v[32:35]
	s_nop 2
	v_perm_b32 v33, v114, v44, s62
	v_cvt_f32_f16_e32 v114, v25
	s_nop 2
	v_cvt_f16_f32_e32 v0, v2
	v_cvt_f16_f32_e32 v1, v3
	;; [unrolled: 1-line block ×4, first 2 shown]
	v_cvt_f32_f16_e32 v2, v0
	v_cvt_f32_f16_e32 v3, v1
	s_waitcnt lgkmcnt(0)
	v_perm_b32 v1, v12, v10, s62
	v_perm_b32 v0, v8, v6, s62
	v_cvt_f32_f16_e32 v4, v4
	v_cvt_f32_f16_e32 v5, v5
	;; [unrolled: 1-line block ×3, first 2 shown]
	s_nop 0
	v_mfma_f32_16x16x16_f16 v[2:5], v[0:1], v[16:17], v[2:5]
	s_nop 7
	v_cvt_f16_f32_e32 v0, v4
	v_cvt_f16_f32_e32 v1, v5
	v_cvt_f32_f16_e32 v4, v112
	v_cvt_f32_f16_sdwa v5, v112 dst_sel:DWORD dst_unused:UNUSED_PAD src0_sel:WORD_1
	v_cvt_f32_f16_e32 v112, v26
	v_perm_b32 v1, v1, v0, s62
	ds_read_u16 v0, v183 offset:272
	ds_read_u16 v8, v183 offset:3872
	;; [unrolled: 1-line block ×5, first 2 shown]
	s_waitcnt lgkmcnt(4)
	v_perm_b32 v32, v0, v115, s62
	s_nop 1
	v_mfma_f32_16x16x16_f16 v[4:7], v[32:33], v[18:19], v[4:7]
	s_waitcnt lgkmcnt(0)
	v_perm_b32 v33, v14, v12, s62
	v_perm_b32 v32, v10, v8, s62
	ds_read_u16 v8, v183 offset:7712
	ds_read_u16 v10, v183 offset:7952
	;; [unrolled: 1-line block ×4, first 2 shown]
	s_nop 0
	v_cvt_f16_f32_e32 v0, v4
	v_cvt_f16_f32_e32 v5, v5
	v_cvt_f16_f32_e32 v6, v6
	v_cvt_f16_f32_e32 v7, v7
	v_cvt_f32_f16_e32 v4, v0
	v_cvt_f32_f16_e32 v5, v5
	;; [unrolled: 1-line block ×4, first 2 shown]
	v_cvt_f32_f16_sdwa v115, v25 dst_sel:DWORD dst_unused:UNUSED_PAD src0_sel:WORD_1
	s_nop 0
	v_mfma_f32_16x16x16_f16 v[4:7], v[32:33], v[20:21], v[4:7]
	s_waitcnt lgkmcnt(0)
	v_perm_b32 v33, v14, v12, s62
	v_perm_b32 v32, v10, v8, s62
	ds_read_u16 v8, v183 offset:11552
	ds_read_u16 v10, v183 offset:11792
	;; [unrolled: 1-line block ×4, first 2 shown]
	s_nop 0
	v_cvt_f16_f32_e32 v0, v4
	v_cvt_f16_f32_e32 v5, v5
	;; [unrolled: 1-line block ×4, first 2 shown]
	v_cvt_f32_f16_e32 v4, v0
	v_cvt_f32_f16_e32 v5, v5
	v_cvt_f32_f16_e32 v6, v6
	v_cvt_f32_f16_e32 v7, v7
	s_nop 1
	v_mfma_f32_16x16x16_f16 v[4:7], v[32:33], v[22:23], v[4:7]
	s_waitcnt lgkmcnt(0)
	v_perm_b32 v33, v14, v12, s62
	v_perm_b32 v32, v10, v8, s62
	v_cvt_f32_f16_e32 v8, v9
	v_cvt_f32_f16_sdwa v9, v9 dst_sel:DWORD dst_unused:UNUSED_PAD src0_sel:WORD_1
	s_nop 2
	v_cvt_f16_f32_e32 v0, v4
	v_cvt_f16_f32_e32 v5, v5
	;; [unrolled: 1-line block ×4, first 2 shown]
	v_cvt_f32_f16_e32 v4, v0
	v_cvt_f32_f16_e32 v5, v5
	;; [unrolled: 1-line block ×4, first 2 shown]
	s_nop 1
	v_mfma_f32_16x16x16_f16 v[4:7], v[32:33], v[16:17], v[4:7]
	s_nop 7
	v_cvt_f16_f32_e32 v0, v6
	v_cvt_f16_f32_e32 v6, v7
	v_cvt_f32_f16_sdwa v7, v97 dst_sel:DWORD dst_unused:UNUSED_PAD src0_sel:WORD_1
	v_perm_b32 v27, v6, v0, s62
	ds_read_u16 v0, v183 offset:64
	ds_read_u16 v10, v183 offset:304
	;; [unrolled: 1-line block ×4, first 2 shown]
	v_cvt_f32_f16_e32 v6, v97
	s_waitcnt lgkmcnt(2)
	v_perm_b32 v32, v10, v0, s62
	s_waitcnt lgkmcnt(0)
	v_perm_b32 v33, v14, v12, s62
	s_nop 1
	v_mfma_f32_16x16x16_f16 v[6:9], v[32:33], v[18:19], v[6:9]
	ds_read_u16 v10, v183 offset:3904
	ds_read_u16 v12, v183 offset:4144
	ds_read_u16 v14, v184 offset:3904
	ds_read_u16 v32, v185 offset:3904
	s_nop 3
	v_cvt_f16_f32_e32 v0, v6
	v_cvt_f16_f32_e32 v7, v7
	v_cvt_f16_f32_e32 v8, v8
	v_cvt_f16_f32_e32 v9, v9
	s_waitcnt lgkmcnt(0)
	v_perm_b32 v33, v32, v14, s62
	v_perm_b32 v32, v12, v10, s62
	v_cvt_f32_f16_e32 v6, v0
	v_cvt_f32_f16_e32 v7, v7
	v_cvt_f32_f16_e32 v8, v8
	v_cvt_f32_f16_e32 v9, v9
	s_nop 1
	v_mfma_f32_16x16x16_f16 v[6:9], v[32:33], v[20:21], v[6:9]
	ds_read_u16 v10, v183 offset:7744
	ds_read_u16 v12, v183 offset:7984
	ds_read_u16 v14, v184 offset:7744
	ds_read_u16 v32, v185 offset:7744
	s_nop 3
	v_cvt_f16_f32_e32 v0, v6
	v_cvt_f16_f32_e32 v7, v7
	v_cvt_f16_f32_e32 v8, v8
	v_cvt_f16_f32_e32 v9, v9
	s_waitcnt lgkmcnt(0)
	v_perm_b32 v33, v32, v14, s62
	v_perm_b32 v32, v12, v10, s62
	v_cvt_f32_f16_e32 v6, v0
	v_cvt_f32_f16_e32 v7, v7
	v_cvt_f32_f16_e32 v8, v8
	v_cvt_f32_f16_e32 v9, v9
	;; [unrolled: 18-line block ×3, first 2 shown]
	v_cvt_f32_f16_e32 v10, v11
	v_cvt_f32_f16_sdwa v11, v11 dst_sel:DWORD dst_unused:UNUSED_PAD src0_sel:WORD_1
	v_mfma_f32_16x16x16_f16 v[6:9], v[32:33], v[16:17], v[6:9]
	s_nop 7
	v_cvt_f16_f32_e32 v0, v8
	v_cvt_f16_f32_e32 v8, v9
	v_cvt_f32_f16_sdwa v9, v37 dst_sel:DWORD dst_unused:UNUSED_PAD src0_sel:WORD_1
	v_perm_b32 v32, v8, v0, s62
	ds_read_u16 v0, v183 offset:96
	ds_read_u16 v12, v183 offset:336
	;; [unrolled: 1-line block ×4, first 2 shown]
	v_cvt_f32_f16_e32 v8, v37
	s_waitcnt lgkmcnt(2)
	v_perm_b32 v34, v12, v0, s62
	s_waitcnt lgkmcnt(0)
	v_perm_b32 v35, v33, v14, s62
	s_nop 1
	v_mfma_f32_16x16x16_f16 v[8:11], v[34:35], v[18:19], v[8:11]
	ds_read_u16 v12, v183 offset:3936
	ds_read_u16 v14, v183 offset:4176
	ds_read_u16 v33, v184 offset:3936
	ds_read_u16 v34, v185 offset:3936
	s_nop 3
	v_cvt_f16_f32_e32 v0, v8
	v_cvt_f16_f32_e32 v9, v9
	v_cvt_f16_f32_e32 v10, v10
	v_cvt_f16_f32_e32 v11, v11
	s_waitcnt lgkmcnt(0)
	v_perm_b32 v35, v34, v33, s62
	v_perm_b32 v34, v14, v12, s62
	v_cvt_f32_f16_e32 v8, v0
	v_cvt_f32_f16_e32 v9, v9
	v_cvt_f32_f16_e32 v10, v10
	v_cvt_f32_f16_e32 v11, v11
	s_nop 1
	v_mfma_f32_16x16x16_f16 v[8:11], v[34:35], v[20:21], v[8:11]
	ds_read_u16 v12, v183 offset:7776
	ds_read_u16 v14, v183 offset:8016
	ds_read_u16 v33, v184 offset:7776
	ds_read_u16 v34, v185 offset:7776
	s_nop 3
	v_cvt_f16_f32_e32 v0, v8
	v_cvt_f16_f32_e32 v9, v9
	v_cvt_f16_f32_e32 v10, v10
	v_cvt_f16_f32_e32 v11, v11
	s_waitcnt lgkmcnt(0)
	v_perm_b32 v35, v34, v33, s62
	v_perm_b32 v34, v14, v12, s62
	v_cvt_f32_f16_e32 v8, v0
	v_cvt_f32_f16_e32 v9, v9
	v_cvt_f32_f16_e32 v10, v10
	v_cvt_f32_f16_e32 v11, v11
	;; [unrolled: 18-line block ×3, first 2 shown]
	v_cvt_f32_f16_e32 v12, v13
	v_cvt_f32_f16_sdwa v13, v13 dst_sel:DWORD dst_unused:UNUSED_PAD src0_sel:WORD_1
	v_mfma_f32_16x16x16_f16 v[8:11], v[34:35], v[16:17], v[8:11]
	s_nop 7
	v_cvt_f16_f32_e32 v0, v10
	v_cvt_f16_f32_e32 v10, v11
	v_cvt_f32_f16_sdwa v11, v29 dst_sel:DWORD dst_unused:UNUSED_PAD src0_sel:WORD_1
	v_perm_b32 v33, v10, v0, s62
	ds_read_u16 v0, v183 offset:128
	ds_read_u16 v14, v183 offset:368
	ds_read_u16 v34, v184 offset:128
	ds_read_u16 v35, v185 offset:128
	v_cvt_f32_f16_e32 v10, v29
	s_waitcnt lgkmcnt(0)
	v_perm_b32 v35, v35, v34, s62
	v_perm_b32 v34, v14, v0, s62
	s_nop 1
	v_mfma_f32_16x16x16_f16 v[10:13], v[34:35], v[18:19], v[10:13]
	ds_read_u16 v14, v183 offset:3968
	ds_read_u16 v29, v183 offset:4208
	ds_read_u16 v34, v184 offset:3968
	ds_read_u16 v35, v185 offset:3968
	s_nop 3
	v_cvt_f16_f32_e32 v0, v10
	v_cvt_f16_f32_e32 v11, v11
	v_cvt_f16_f32_e32 v12, v12
	v_cvt_f16_f32_e32 v13, v13
	s_waitcnt lgkmcnt(0)
	v_perm_b32 v35, v35, v34, s62
	v_perm_b32 v34, v29, v14, s62
	v_cvt_f32_f16_e32 v10, v0
	v_cvt_f32_f16_e32 v11, v11
	v_cvt_f32_f16_e32 v12, v12
	v_cvt_f32_f16_e32 v13, v13
	s_nop 1
	v_mfma_f32_16x16x16_f16 v[10:13], v[34:35], v[20:21], v[10:13]
	ds_read_u16 v14, v183 offset:7808
	ds_read_u16 v29, v183 offset:8048
	ds_read_u16 v34, v184 offset:7808
	ds_read_u16 v35, v185 offset:7808
	s_nop 3
	v_cvt_f16_f32_e32 v0, v10
	v_cvt_f16_f32_e32 v11, v11
	v_cvt_f16_f32_e32 v12, v12
	v_cvt_f16_f32_e32 v13, v13
	s_waitcnt lgkmcnt(0)
	v_perm_b32 v35, v35, v34, s62
	v_perm_b32 v34, v29, v14, s62
	v_cvt_f32_f16_e32 v10, v0
	v_cvt_f32_f16_e32 v11, v11
	v_cvt_f32_f16_e32 v12, v12
	v_cvt_f32_f16_e32 v13, v13
	;; [unrolled: 18-line block ×3, first 2 shown]
	v_cvt_f32_f16_e32 v14, v15
	v_cvt_f32_f16_sdwa v15, v15 dst_sel:DWORD dst_unused:UNUSED_PAD src0_sel:WORD_1
	v_mfma_f32_16x16x16_f16 v[10:13], v[34:35], v[16:17], v[10:13]
	s_nop 7
	v_cvt_f16_f32_e32 v0, v12
	v_cvt_f16_f32_e32 v12, v13
	v_cvt_f32_f16_sdwa v13, v28 dst_sel:DWORD dst_unused:UNUSED_PAD src0_sel:WORD_1
	v_perm_b32 v29, v12, v0, s62
	ds_read_u16 v0, v183 offset:160
	ds_read_u16 v34, v183 offset:400
	;; [unrolled: 1-line block ×4, first 2 shown]
	v_cvt_f32_f16_e32 v12, v28
	s_waitcnt lgkmcnt(2)
	v_perm_b32 v34, v34, v0, s62
	s_waitcnt lgkmcnt(0)
	v_perm_b32 v35, v37, v35, s62
	s_nop 1
	v_mfma_f32_16x16x16_f16 v[12:15], v[34:35], v[18:19], v[12:15]
	ds_read_u16 v28, v183 offset:4000
	ds_read_u16 v34, v183 offset:4240
	ds_read_u16 v35, v184 offset:4000
	ds_read_u16 v37, v185 offset:4000
	s_nop 3
	v_cvt_f16_f32_e32 v0, v12
	v_cvt_f16_f32_e32 v13, v13
	v_cvt_f16_f32_e32 v14, v14
	v_cvt_f16_f32_e32 v15, v15
	s_waitcnt lgkmcnt(0)
	v_perm_b32 v35, v37, v35, s62
	v_perm_b32 v34, v34, v28, s62
	v_cvt_f32_f16_e32 v12, v0
	v_cvt_f32_f16_e32 v13, v13
	v_cvt_f32_f16_e32 v14, v14
	v_cvt_f32_f16_e32 v15, v15
	s_nop 1
	v_mfma_f32_16x16x16_f16 v[12:15], v[34:35], v[20:21], v[12:15]
	ds_read_u16 v28, v183 offset:7840
	ds_read_u16 v34, v183 offset:8080
	ds_read_u16 v35, v184 offset:7840
	ds_read_u16 v37, v185 offset:7840
	s_nop 3
	v_cvt_f16_f32_e32 v0, v12
	v_cvt_f16_f32_e32 v13, v13
	v_cvt_f16_f32_e32 v14, v14
	v_cvt_f16_f32_e32 v15, v15
	s_waitcnt lgkmcnt(0)
	v_perm_b32 v35, v37, v35, s62
	v_perm_b32 v34, v34, v28, s62
	v_cvt_f32_f16_e32 v12, v0
	v_cvt_f32_f16_e32 v13, v13
	v_cvt_f32_f16_e32 v14, v14
	v_cvt_f32_f16_e32 v15, v15
	s_nop 1
	v_mfma_f32_16x16x16_f16 v[12:15], v[34:35], v[22:23], v[12:15]
	ds_read_u16 v28, v183 offset:11680
	ds_read_u16 v34, v183 offset:11920
	ds_read_u16 v35, v184 offset:11680
	ds_read_u16 v37, v185 offset:11680
	s_nop 3
	v_cvt_f16_f32_e32 v0, v12
	v_cvt_f16_f32_e32 v13, v13
	v_cvt_f16_f32_e32 v14, v14
	v_cvt_f16_f32_e32 v15, v15
	s_waitcnt lgkmcnt(0)
	v_perm_b32 v35, v37, v35, s62
	v_perm_b32 v34, v34, v28, s62
	v_cvt_f32_f16_e32 v12, v0
	v_cvt_f32_f16_e32 v13, v13
	v_cvt_f32_f16_e32 v14, v14
	v_cvt_f32_f16_e32 v15, v15
	s_nop 1
	v_mfma_f32_16x16x16_f16 v[12:15], v[34:35], v[16:17], v[12:15]
	s_nop 7
	v_cvt_f16_f32_e32 v0, v14
	v_cvt_f16_f32_e32 v14, v15
	v_perm_b32 v28, v14, v0, s62
	ds_read_u16 v0, v183 offset:192
	ds_read_u16 v14, v183 offset:432
	ds_read_u16 v15, v184 offset:192
	ds_read_u16 v34, v185 offset:192
	s_waitcnt lgkmcnt(2)
	v_perm_b32 v14, v14, v0, s62
	s_waitcnt lgkmcnt(0)
	v_perm_b32 v15, v34, v15, s62
	s_nop 1
	v_mfma_f32_16x16x16_f16 v[112:115], v[14:15], v[18:19], v[112:115]
	ds_read_u16 v19, v183 offset:4032
	ds_read_u16 v25, v183 offset:4272
	;; [unrolled: 1-line block ×4, first 2 shown]
	s_nop 3
	v_cvt_f16_f32_e32 v14, v113
	v_cvt_f16_f32_e32 v15, v114
	;; [unrolled: 1-line block ×4, first 2 shown]
	v_cvt_f32_f16_e32 v113, v14
	v_cvt_f32_f16_e32 v114, v15
	s_waitcnt lgkmcnt(0)
	v_perm_b32 v15, v34, v26, s62
	v_perm_b32 v14, v25, v19, s62
	v_cvt_f32_f16_e32 v112, v0
	v_cvt_f32_f16_e32 v115, v18
	ds_read_u16 v25, v183 offset:7872
	ds_read_u16 v26, v183 offset:8112
	;; [unrolled: 1-line block ×4, first 2 shown]
	v_mfma_f32_16x16x16_f16 v[18:21], v[14:15], v[20:21], v[112:115]
	s_nop 7
	v_cvt_f16_f32_e32 v14, v19
	v_cvt_f16_f32_e32 v15, v20
	;; [unrolled: 1-line block ×4, first 2 shown]
	v_cvt_f32_f16_e32 v19, v14
	v_cvt_f32_f16_e32 v20, v15
	s_waitcnt lgkmcnt(0)
	v_perm_b32 v15, v35, v34, s62
	v_perm_b32 v14, v26, v25, s62
	v_cvt_f32_f16_e32 v18, v0
	v_cvt_f32_f16_e32 v21, v21
	s_nop 1
	v_mfma_f32_16x16x16_f16 v[18:21], v[14:15], v[22:23], v[18:21]
	ds_read_u16 v14, v183 offset:11712
	ds_read_u16 v15, v183 offset:11952
	;; [unrolled: 1-line block ×4, first 2 shown]
	s_waitcnt lgkmcnt(0)
	s_barrier
	s_nop 1
	v_cvt_f16_f32_e32 v18, v18
	v_cvt_f16_f32_e32 v19, v19
	;; [unrolled: 1-line block ×4, first 2 shown]
	v_perm_b32 v23, v23, v22, s62
	v_perm_b32 v22, v15, v14, s62
	v_cvt_f32_f16_e32 v18, v18
	v_cvt_f32_f16_e32 v19, v19
	;; [unrolled: 1-line block ×4, first 2 shown]
	s_nop 1
	v_mfma_f32_16x16x16_f16 v[14:17], v[22:23], v[16:17], v[18:21]
	s_nop 7
	v_cvt_f16_f32_e32 v0, v16
	v_cvt_f16_f32_e32 v16, v17
	v_perm_b32 v16, v16, v0, s62
	ds_bpermute_b32 v0, v36, v24
	s_waitcnt lgkmcnt(0)
	v_add_f32_e32 v0, v24, v0
	ds_bpermute_b32 v17, v31, v0
	s_waitcnt lgkmcnt(0)
	v_add_f32_e32 v31, v0, v17
	s_cbranch_vccnz .LBB19_126
; %bb.125:                              ;   in Loop: Header=BB19_13 Depth=1
	v_cvt_pk_f16_f32 v0, v2, v3
	v_cvt_pk_f16_f32 v3, v4, v5
	;; [unrolled: 1-line block ×3, first 2 shown]
	global_load_dword v6, v[92:93], off
	v_max_f32_e32 v7, v30, v30
	v_cvt_pk_f16_f32 v5, v8, v9
	v_cvt_pk_f16_f32 v10, v10, v11
	v_cvt_pk_f16_f32 v11, v12, v13
	v_cvt_pk_f16_f32 v12, v14, v15
	s_waitcnt vmcnt(0)
	v_max_f32_e32 v2, v6, v6
	v_max_f32_e32 v2, v7, v2
	v_sub_f32_e32 v7, v30, v2
	v_mul_f32_e32 v8, 0x3fb8aa3b, v7
	v_fma_f32 v9, v7, s44, -v8
	v_rndne_f32_e32 v13, v8
	v_fmac_f32_e32 v9, 0x32a5705f, v7
	v_sub_f32_e32 v8, v8, v13
	v_add_f32_e32 v8, v8, v9
	v_exp_f32_e32 v8, v8
	v_cvt_i32_f32_e32 v9, v13
	v_cmp_ngt_f32_e32 vcc, s33, v7
	v_sub_f32_e32 v14, v6, v2
	v_ldexp_f32 v8, v8, v9
	v_cndmask_b32_e32 v8, 0, v8, vcc
	v_cmp_nlt_f32_e32 vcc, s61, v7
	s_nop 1
	v_cndmask_b32_e32 v8, v81, v8, vcc
	v_cmp_le_f32_e32 vcc, s58, v7
	s_nop 1
	v_cndmask_b32_e32 v13, 0, v8, vcc
	v_cvt_f16_f32_e32 v6, v13
	v_cmp_ngt_f32_e32 vcc, s33, v14
	v_mul_u32_u24_e32 v15, 0x10001, v6
	v_pk_mul_f16 v9, v0, v15
	v_mul_f32_e32 v0, 0x3fb8aa3b, v14
	v_pk_mul_f16 v8, v3, v15
	v_pk_mul_f16 v7, v4, v15
	;; [unrolled: 1-line block ×3, first 2 shown]
	v_fma_f32 v3, v14, s44, -v0
	v_rndne_f32_e32 v11, v0
	v_fmac_f32_e32 v3, 0x32a5705f, v14
	v_sub_f32_e32 v0, v0, v11
	v_add_f32_e32 v0, v0, v3
	v_exp_f32_e32 v0, v0
	v_cvt_i32_f32_e32 v3, v11
	v_pk_mul_f16 v1, v1, v15
	v_pk_mul_f16 v27, v27, v15
	;; [unrolled: 1-line block ×3, first 2 shown]
	v_ldexp_f32 v0, v0, v3
	v_cndmask_b32_e32 v0, 0, v0, vcc
	v_cmp_nlt_f32_e32 vcc, s61, v14
	v_pk_mul_f16 v6, v5, v15
	v_pk_mul_f16 v33, v33, v15
	v_cndmask_b32_e32 v3, v81, v0, vcc
	v_fmac_f32_e32 v3, v31, v13
	v_pk_mul_f16 v5, v10, v15
	v_pk_mul_f16 v29, v29, v15
	;; [unrolled: 1-line block ×5, first 2 shown]
	v_mov_b64_e32 v[30:31], v[2:3]
	s_branch .LBB19_127
.LBB19_126:                             ;   in Loop: Header=BB19_13 Depth=1
	v_cvt_f16_f32_e32 v0, v2
	v_cvt_f16_f32_e32 v2, v3
	;; [unrolled: 1-line block ×14, first 2 shown]
	v_perm_b32 v4, v9, v4, s62
	v_perm_b32 v5, v10, v5, s62
	;; [unrolled: 1-line block ×7, first 2 shown]
.LBB19_127:                             ;   in Loop: Header=BB19_13 Depth=1
	v_readlane_b32 s56, v255, 3
	v_readlane_b32 s57, v255, 15
	s_barrier
	s_mov_b64 s[2:3], exec
	v_readlane_b32 s38, v255, 11
	v_readlane_b32 s39, v255, 12
	s_and_b64 s[38:39], s[2:3], s[38:39]
	s_mov_b64 exec, s[38:39]
	s_cbranch_execz .LBB19_129
; %bb.128:                              ;   in Loop: Header=BB19_13 Depth=1
	scratch_load_dwordx2 v[2:3], off, off offset:16 ; 8-byte Folded Reload
	s_waitcnt vmcnt(0)
	global_store_dwordx2 v[2:3], v[30:31], off
.LBB19_129:                             ;   in Loop: Header=BB19_13 Depth=1
	s_or_b64 exec, exec, s[2:3]
	ds_write2_b32 v186, v9, v1 offset1:1
	ds_write2_b32 v186, v8, v27 offset0:8 offset1:9
	ds_write2_b32 v186, v7, v32 offset0:16 offset1:17
	ds_write2_b32 v186, v6, v33 offset0:24 offset1:25
	ds_write2_b32 v186, v5, v29 offset0:32 offset1:33
	ds_write2_b32 v186, v4, v28 offset0:40 offset1:41
	ds_write2_b32 v186, v10, v16 offset0:48 offset1:49
	v_mov_b32_e32 v1, 50
	s_waitcnt lgkmcnt(0)
	s_barrier
	s_and_saveexec_b64 s[2:3], s[40:41]
	s_cbranch_execz .LBB19_131
; %bb.130:                              ;   in Loop: Header=BB19_13 Depth=1
	v_add_u32_e32 v0, v210, v166
	ds_read_b32 v1, v0
	v_mad_u64_u32 v[2:3], s[38:39], v86, s57, v[38:39]
	v_ashrrev_i32_e32 v3, 31, v2
	v_lshl_add_u64 v[2:3], v[2:3], 3, v[90:91]
	s_waitcnt lgkmcnt(0)
	v_cvt_f32_f16_e32 v0, v1
	v_cvt_f32_f16_sdwa v1, v1 dst_sel:DWORD dst_unused:UNUSED_PAD src0_sel:WORD_1
	v_pk_add_f32 v[0:1], v[0:1], 0 op_sel_hi:[1,0]
	global_store_dwordx2 v[2:3], v[0:1], off
	v_mov_b32_e32 v1, 0
.LBB19_131:                             ;   in Loop: Header=BB19_13 Depth=1
	s_or_b64 exec, exec, s[2:3]
	v_cmp_gt_i32_e32 vcc, 50, v1
	s_mov_b64 s[38:39], -1
	s_and_saveexec_b64 s[2:3], vcc
; %bb.132:                              ;   in Loop: Header=BB19_13 Depth=1
	v_cmp_eq_u32_e32 vcc, 0, v1
	s_orn2_b64 s[38:39], vcc, exec
; %bb.133:                              ;   in Loop: Header=BB19_13 Depth=1
	s_or_b64 exec, exec, s[2:3]
	s_and_saveexec_b64 s[2:3], s[38:39]
	s_cbranch_execz .LBB19_166
; %bb.134:                              ;   in Loop: Header=BB19_13 Depth=1
	v_mov_b32_e32 v1, 50
	s_mov_b64 s[38:39], exec
	v_readlane_b32 s40, v255, 32
	v_readlane_b32 s41, v255, 33
	s_and_b64 s[40:41], s[38:39], s[40:41]
	s_mov_b64 exec, s[40:41]
	s_cbranch_execz .LBB19_136
; %bb.135:                              ;   in Loop: Header=BB19_13 Depth=1
	v_add_u32_e32 v0, v210, v166
	ds_read_b32 v1, v0 offset:1920
	v_mad_u64_u32 v[2:3], s[40:41], v162, s57, v[38:39]
	v_ashrrev_i32_e32 v3, 31, v2
	v_lshl_add_u64 v[2:3], v[2:3], 3, v[90:91]
	s_waitcnt lgkmcnt(0)
	v_cvt_f32_f16_e32 v0, v1
	v_cvt_f32_f16_sdwa v1, v1 dst_sel:DWORD dst_unused:UNUSED_PAD src0_sel:WORD_1
	v_pk_add_f32 v[0:1], v[0:1], 0 op_sel_hi:[1,0]
	global_store_dwordx2 v[2:3], v[0:1], off
	v_mov_b32_e32 v1, 0
.LBB19_136:                             ;   in Loop: Header=BB19_13 Depth=1
	s_or_b64 exec, exec, s[38:39]
	v_cmp_gt_i32_e32 vcc, 50, v1
	s_mov_b64 s[38:39], -1
	s_and_saveexec_b64 s[40:41], vcc
; %bb.137:                              ;   in Loop: Header=BB19_13 Depth=1
	v_cmp_eq_u32_e32 vcc, 0, v1
	s_orn2_b64 s[38:39], vcc, exec
; %bb.138:                              ;   in Loop: Header=BB19_13 Depth=1
	s_or_b64 exec, exec, s[40:41]
	s_and_b64 exec, exec, s[38:39]
	s_cbranch_execz .LBB19_166
; %bb.139:                              ;   in Loop: Header=BB19_13 Depth=1
	v_mov_b32_e32 v1, 50
	s_mov_b64 s[38:39], exec
	v_readlane_b32 s40, v255, 34
	v_readlane_b32 s41, v255, 35
	s_and_b64 s[40:41], s[38:39], s[40:41]
	s_mov_b64 exec, s[40:41]
	s_cbranch_execz .LBB19_141
; %bb.140:                              ;   in Loop: Header=BB19_13 Depth=1
	scratch_load_dword v0, off, off offset:132 ; 4-byte Folded Reload
	v_mad_u64_u32 v[2:3], s[40:41], v161, s57, v[38:39]
	v_ashrrev_i32_e32 v3, 31, v2
	v_lshl_add_u64 v[2:3], v[2:3], 3, v[90:91]
	s_waitcnt vmcnt(0)
	ds_read_b32 v1, v0
	s_waitcnt lgkmcnt(0)
	v_cvt_f32_f16_e32 v0, v1
	v_cvt_f32_f16_sdwa v1, v1 dst_sel:DWORD dst_unused:UNUSED_PAD src0_sel:WORD_1
	v_pk_add_f32 v[0:1], v[0:1], 0 op_sel_hi:[1,0]
	global_store_dwordx2 v[2:3], v[0:1], off
	v_mov_b32_e32 v1, 0
.LBB19_141:                             ;   in Loop: Header=BB19_13 Depth=1
	s_or_b64 exec, exec, s[38:39]
	v_cmp_gt_i32_e32 vcc, 50, v1
	s_mov_b64 s[38:39], -1
	s_and_saveexec_b64 s[40:41], vcc
; %bb.142:                              ;   in Loop: Header=BB19_13 Depth=1
	v_cmp_eq_u32_e32 vcc, 0, v1
	s_orn2_b64 s[38:39], vcc, exec
; %bb.143:                              ;   in Loop: Header=BB19_13 Depth=1
	s_or_b64 exec, exec, s[40:41]
	s_and_b64 exec, exec, s[38:39]
	s_cbranch_execz .LBB19_166
; %bb.144:                              ;   in Loop: Header=BB19_13 Depth=1
	v_mov_b32_e32 v1, 50
	s_mov_b64 s[38:39], exec
	v_readlane_b32 s40, v255, 36
	v_readlane_b32 s41, v255, 37
	s_and_b64 s[40:41], s[38:39], s[40:41]
	s_mov_b64 exec, s[40:41]
	s_cbranch_execz .LBB19_146
; %bb.145:                              ;   in Loop: Header=BB19_13 Depth=1
	v_add_u32_e32 v0, v210, v166
	ds_read_b32 v1, v0 offset:5760
	v_mad_u64_u32 v[2:3], s[40:41], v160, s57, v[38:39]
	v_ashrrev_i32_e32 v3, 31, v2
	v_lshl_add_u64 v[2:3], v[2:3], 3, v[90:91]
	s_waitcnt lgkmcnt(0)
	v_cvt_f32_f16_e32 v0, v1
	v_cvt_f32_f16_sdwa v1, v1 dst_sel:DWORD dst_unused:UNUSED_PAD src0_sel:WORD_1
	v_pk_add_f32 v[0:1], v[0:1], 0 op_sel_hi:[1,0]
	global_store_dwordx2 v[2:3], v[0:1], off
	v_mov_b32_e32 v1, 0
.LBB19_146:                             ;   in Loop: Header=BB19_13 Depth=1
	s_or_b64 exec, exec, s[38:39]
	v_cmp_gt_i32_e32 vcc, 50, v1
	s_mov_b64 s[38:39], -1
	s_and_saveexec_b64 s[40:41], vcc
; %bb.147:                              ;   in Loop: Header=BB19_13 Depth=1
	v_cmp_eq_u32_e32 vcc, 0, v1
	s_orn2_b64 s[38:39], vcc, exec
; %bb.148:                              ;   in Loop: Header=BB19_13 Depth=1
	s_or_b64 exec, exec, s[40:41]
	s_and_b64 exec, exec, s[38:39]
	s_cbranch_execz .LBB19_166
; %bb.149:                              ;   in Loop: Header=BB19_13 Depth=1
	v_mov_b32_e32 v1, 50
	s_mov_b64 s[38:39], exec
	v_readlane_b32 s40, v255, 20
	v_readlane_b32 s41, v255, 21
	s_and_b64 s[40:41], s[38:39], s[40:41]
	s_mov_b64 exec, s[40:41]
	s_cbranch_execz .LBB19_151
; %bb.150:                              ;   in Loop: Header=BB19_13 Depth=1
	scratch_load_dword v0, off, off offset:188 ; 4-byte Folded Reload
	v_mad_u64_u32 v[2:3], s[40:41], v159, s57, v[38:39]
	v_ashrrev_i32_e32 v3, 31, v2
	v_lshl_add_u64 v[2:3], v[2:3], 3, v[90:91]
	s_waitcnt vmcnt(0)
	ds_read_b32 v1, v0
	s_waitcnt lgkmcnt(0)
	v_cvt_f32_f16_e32 v0, v1
	v_cvt_f32_f16_sdwa v1, v1 dst_sel:DWORD dst_unused:UNUSED_PAD src0_sel:WORD_1
	v_pk_add_f32 v[0:1], v[0:1], 0 op_sel_hi:[1,0]
	global_store_dwordx2 v[2:3], v[0:1], off
	v_mov_b32_e32 v1, 0
.LBB19_151:                             ;   in Loop: Header=BB19_13 Depth=1
	s_or_b64 exec, exec, s[38:39]
	v_cmp_gt_i32_e32 vcc, 50, v1
	s_mov_b64 s[38:39], -1
	s_and_saveexec_b64 s[40:41], vcc
; %bb.152:                              ;   in Loop: Header=BB19_13 Depth=1
	v_cmp_eq_u32_e32 vcc, 0, v1
	s_orn2_b64 s[38:39], vcc, exec
; %bb.153:                              ;   in Loop: Header=BB19_13 Depth=1
	s_or_b64 exec, exec, s[40:41]
	s_and_b64 exec, exec, s[38:39]
	s_cbranch_execz .LBB19_166
; %bb.154:                              ;   in Loop: Header=BB19_13 Depth=1
	v_mov_b32_e32 v1, 50
	s_mov_b64 s[38:39], exec
	v_readlane_b32 s40, v255, 22
	v_readlane_b32 s41, v255, 23
	s_and_b64 s[40:41], s[38:39], s[40:41]
	s_mov_b64 exec, s[40:41]
	s_cbranch_execz .LBB19_156
; %bb.155:                              ;   in Loop: Header=BB19_13 Depth=1
	v_add_u32_e32 v0, v210, v166
	ds_read_b32 v1, v0 offset:9600
	v_mad_u64_u32 v[2:3], s[40:41], v158, s57, v[38:39]
	v_ashrrev_i32_e32 v3, 31, v2
	v_lshl_add_u64 v[2:3], v[2:3], 3, v[90:91]
	s_waitcnt lgkmcnt(0)
	v_cvt_f32_f16_e32 v0, v1
	v_cvt_f32_f16_sdwa v1, v1 dst_sel:DWORD dst_unused:UNUSED_PAD src0_sel:WORD_1
	v_pk_add_f32 v[0:1], v[0:1], 0 op_sel_hi:[1,0]
	global_store_dwordx2 v[2:3], v[0:1], off
	v_mov_b32_e32 v1, 0
.LBB19_156:                             ;   in Loop: Header=BB19_13 Depth=1
	s_or_b64 exec, exec, s[38:39]
	v_cmp_gt_i32_e32 vcc, 50, v1
	s_mov_b64 s[38:39], -1
	s_and_saveexec_b64 s[40:41], vcc
; %bb.157:                              ;   in Loop: Header=BB19_13 Depth=1
	v_cmp_eq_u32_e32 vcc, 0, v1
	s_orn2_b64 s[38:39], vcc, exec
; %bb.158:                              ;   in Loop: Header=BB19_13 Depth=1
	s_or_b64 exec, exec, s[40:41]
	s_and_b64 exec, exec, s[38:39]
	s_cbranch_execz .LBB19_166
; %bb.159:                              ;   in Loop: Header=BB19_13 Depth=1
	v_mov_b32_e32 v1, 50
	s_mov_b64 s[38:39], exec
	v_readlane_b32 s40, v255, 24
	v_readlane_b32 s41, v255, 25
	s_and_b64 s[40:41], s[38:39], s[40:41]
	s_mov_b64 exec, s[40:41]
	s_cbranch_execz .LBB19_161
; %bb.160:                              ;   in Loop: Header=BB19_13 Depth=1
	scratch_load_dword v0, off, off offset:208 ; 4-byte Folded Reload
	v_mad_u64_u32 v[2:3], s[40:41], v89, s57, v[38:39]
	v_ashrrev_i32_e32 v3, 31, v2
	v_lshl_add_u64 v[2:3], v[2:3], 3, v[90:91]
	s_waitcnt vmcnt(0)
	ds_read_b32 v1, v0
	s_waitcnt lgkmcnt(0)
	v_cvt_f32_f16_e32 v0, v1
	v_cvt_f32_f16_sdwa v1, v1 dst_sel:DWORD dst_unused:UNUSED_PAD src0_sel:WORD_1
	v_pk_add_f32 v[0:1], v[0:1], 0 op_sel_hi:[1,0]
	global_store_dwordx2 v[2:3], v[0:1], off
	v_mov_b32_e32 v1, 0
.LBB19_161:                             ;   in Loop: Header=BB19_13 Depth=1
	s_or_b64 exec, exec, s[38:39]
	v_cmp_gt_i32_e32 vcc, 50, v1
	s_mov_b64 s[38:39], -1
	s_and_saveexec_b64 s[40:41], vcc
; %bb.162:                              ;   in Loop: Header=BB19_13 Depth=1
	v_cmp_eq_u32_e32 vcc, 0, v1
	s_orn2_b64 s[38:39], vcc, exec
; %bb.163:                              ;   in Loop: Header=BB19_13 Depth=1
	s_or_b64 exec, exec, s[40:41]
	s_and_b64 exec, exec, s[38:39]
	s_cbranch_execz .LBB19_166
; %bb.164:                              ;   in Loop: Header=BB19_13 Depth=1
	v_readlane_b32 s38, v255, 26
	v_readlane_b32 s39, v255, 27
	s_and_b64 exec, exec, s[38:39]
	s_cbranch_execz .LBB19_166
; %bb.165:                              ;   in Loop: Header=BB19_13 Depth=1
	v_add_u32_e32 v0, v210, v166
	ds_read_b32 v1, v0 offset:13440
	v_mad_u64_u32 v[2:3], s[38:39], v80, s57, v[38:39]
	v_ashrrev_i32_e32 v3, 31, v2
	v_lshl_add_u64 v[2:3], v[2:3], 3, v[90:91]
	s_waitcnt lgkmcnt(0)
	v_cvt_f32_f16_e32 v0, v1
	v_cvt_f32_f16_sdwa v1, v1 dst_sel:DWORD dst_unused:UNUSED_PAD src0_sel:WORD_1
	v_pk_add_f32 v[0:1], v[0:1], 0 op_sel_hi:[1,0]
	global_store_dwordx2 v[2:3], v[0:1], off
.LBB19_166:                             ;   in Loop: Header=BB19_13 Depth=1
	s_or_b64 exec, exec, s[2:3]
	v_mov_b32_e32 v1, 50
	s_and_saveexec_b64 s[2:3], s[52:53]
	s_cbranch_execz .LBB19_168
; %bb.167:                              ;   in Loop: Header=BB19_13 Depth=1
	v_add_u32_e32 v0, v227, v77
	ds_read_b32 v1, v0 offset:128
	v_mul_lo_u32 v0, v88, s57
	s_waitcnt lgkmcnt(0)
	v_cvt_f32_f16_e32 v2, v1
	v_cvt_f32_f16_sdwa v3, v1 dst_sel:DWORD dst_unused:UNUSED_PAD src0_sel:WORD_1
	v_ashrrev_i32_e32 v1, 31, v0
	v_lshl_add_u64 v[0:1], v[0:1], 0, v[40:41]
	v_lshl_add_u64 v[0:1], v[0:1], 3, v[90:91]
	v_pk_add_f32 v[2:3], v[2:3], 0 op_sel_hi:[1,0]
	global_store_dwordx2 v[0:1], v[2:3], off offset:256
	v_mov_b32_e32 v1, 0
.LBB19_168:                             ;   in Loop: Header=BB19_13 Depth=1
	s_or_b64 exec, exec, s[2:3]
	v_cmp_gt_i32_e32 vcc, 50, v1
	s_mov_b64 s[38:39], -1
	s_and_saveexec_b64 s[2:3], vcc
; %bb.169:                              ;   in Loop: Header=BB19_13 Depth=1
	v_cmp_eq_u32_e32 vcc, 0, v1
	s_orn2_b64 s[38:39], vcc, exec
; %bb.170:                              ;   in Loop: Header=BB19_13 Depth=1
	s_or_b64 exec, exec, s[2:3]
	s_and_saveexec_b64 s[2:3], s[38:39]
	s_cbranch_execz .LBB19_183
; %bb.171:                              ;   in Loop: Header=BB19_13 Depth=1
	v_mov_b32_e32 v1, 50
	s_mov_b64 s[38:39], exec
	v_readlane_b32 s40, v255, 40
	v_readlane_b32 s41, v255, 41
	s_and_b64 s[40:41], s[38:39], s[40:41]
	s_mov_b64 exec, s[40:41]
	s_cbranch_execz .LBB19_173
; %bb.172:                              ;   in Loop: Header=BB19_13 Depth=1
	scratch_load_dword v0, off, off offset:108 ; 4-byte Folded Reload
	s_waitcnt vmcnt(0)
	ds_read_b32 v1, v0 offset:128
	v_mul_lo_u32 v0, v79, s57
	s_waitcnt lgkmcnt(0)
	v_cvt_f32_f16_e32 v2, v1
	v_cvt_f32_f16_sdwa v3, v1 dst_sel:DWORD dst_unused:UNUSED_PAD src0_sel:WORD_1
	v_ashrrev_i32_e32 v1, 31, v0
	v_lshl_add_u64 v[0:1], v[0:1], 0, v[40:41]
	v_lshl_add_u64 v[0:1], v[0:1], 3, v[90:91]
	v_pk_add_f32 v[2:3], v[2:3], 0 op_sel_hi:[1,0]
	global_store_dwordx2 v[0:1], v[2:3], off offset:256
	v_mov_b32_e32 v1, 0
.LBB19_173:                             ;   in Loop: Header=BB19_13 Depth=1
	s_or_b64 exec, exec, s[38:39]
	v_cmp_gt_i32_e32 vcc, 50, v1
	s_mov_b64 s[38:39], -1
	s_and_saveexec_b64 s[40:41], vcc
; %bb.174:                              ;   in Loop: Header=BB19_13 Depth=1
	v_cmp_eq_u32_e32 vcc, 0, v1
	s_orn2_b64 s[38:39], vcc, exec
; %bb.175:                              ;   in Loop: Header=BB19_13 Depth=1
	s_or_b64 exec, exec, s[40:41]
	s_and_b64 exec, exec, s[38:39]
	s_cbranch_execz .LBB19_183
; %bb.176:                              ;   in Loop: Header=BB19_13 Depth=1
	v_mov_b32_e32 v1, 50
	s_mov_b64 s[38:39], exec
	v_readlane_b32 s40, v255, 16
	v_readlane_b32 s41, v255, 17
	s_and_b64 s[40:41], s[38:39], s[40:41]
	s_mov_b64 exec, s[40:41]
	s_cbranch_execz .LBB19_178
; %bb.177:                              ;   in Loop: Header=BB19_13 Depth=1
	scratch_load_dword v0, off, off offset:136 ; 4-byte Folded Reload
	s_waitcnt vmcnt(0)
	ds_read_b32 v1, v0 offset:128
	v_mul_lo_u32 v0, v78, s57
	s_waitcnt lgkmcnt(0)
	v_cvt_f32_f16_e32 v2, v1
	v_cvt_f32_f16_sdwa v3, v1 dst_sel:DWORD dst_unused:UNUSED_PAD src0_sel:WORD_1
	v_ashrrev_i32_e32 v1, 31, v0
	v_lshl_add_u64 v[0:1], v[0:1], 0, v[40:41]
	v_lshl_add_u64 v[0:1], v[0:1], 3, v[90:91]
	v_pk_add_f32 v[2:3], v[2:3], 0 op_sel_hi:[1,0]
	global_store_dwordx2 v[0:1], v[2:3], off offset:256
	v_mov_b32_e32 v1, 0
.LBB19_178:                             ;   in Loop: Header=BB19_13 Depth=1
	s_or_b64 exec, exec, s[38:39]
	v_cmp_gt_i32_e32 vcc, 50, v1
	s_mov_b64 s[38:39], -1
	s_and_saveexec_b64 s[40:41], vcc
; %bb.179:                              ;   in Loop: Header=BB19_13 Depth=1
	v_cmp_eq_u32_e32 vcc, 0, v1
	s_orn2_b64 s[38:39], vcc, exec
; %bb.180:                              ;   in Loop: Header=BB19_13 Depth=1
	s_or_b64 exec, exec, s[40:41]
	s_and_b64 exec, exec, s[38:39]
	s_cbranch_execz .LBB19_183
; %bb.181:                              ;   in Loop: Header=BB19_13 Depth=1
	v_readlane_b32 s38, v255, 18
	v_readlane_b32 s39, v255, 19
	s_and_b64 exec, exec, s[38:39]
	s_cbranch_execz .LBB19_183
; %bb.182:                              ;   in Loop: Header=BB19_13 Depth=1
	scratch_load_dword v0, off, off offset:168 ; 4-byte Folded Reload
	s_waitcnt vmcnt(0)
	ds_read_b32 v1, v0 offset:128
	v_mul_lo_u32 v0, v62, s57
	s_waitcnt lgkmcnt(0)
	v_cvt_f32_f16_e32 v2, v1
	v_cvt_f32_f16_sdwa v3, v1 dst_sel:DWORD dst_unused:UNUSED_PAD src0_sel:WORD_1
	v_ashrrev_i32_e32 v1, 31, v0
	v_lshl_add_u64 v[0:1], v[0:1], 0, v[40:41]
	v_lshl_add_u64 v[0:1], v[0:1], 3, v[90:91]
	v_pk_add_f32 v[2:3], v[2:3], 0 op_sel_hi:[1,0]
	global_store_dwordx2 v[0:1], v[2:3], off offset:256
.LBB19_183:                             ;   in Loop: Header=BB19_13 Depth=1
	s_or_b64 exec, exec, s[2:3]
	v_mov_b32_e32 v1, 50
	s_mov_b64 s[2:3], exec
	v_readlane_b32 s38, v255, 38
	v_readlane_b32 s39, v255, 39
	s_and_b64 s[38:39], s[2:3], s[38:39]
	s_mov_b64 exec, s[38:39]
	s_cbranch_execz .LBB19_185
; %bb.184:                              ;   in Loop: Header=BB19_13 Depth=1
	v_add_u32_e32 v0, v198, v226
	ds_read_b32 v1, v0 offset:192
	v_mul_lo_u32 v0, v63, s57
	s_waitcnt lgkmcnt(0)
	v_cvt_f32_f16_e32 v2, v1
	v_cvt_f32_f16_sdwa v3, v1 dst_sel:DWORD dst_unused:UNUSED_PAD src0_sel:WORD_1
	v_ashrrev_i32_e32 v1, 31, v0
	v_lshl_add_u64 v[0:1], v[0:1], 0, v[72:73]
	v_lshl_add_u64 v[0:1], v[0:1], 3, v[90:91]
	v_pk_add_f32 v[2:3], v[2:3], 0 op_sel_hi:[1,0]
	global_store_dwordx2 v[0:1], v[2:3], off offset:384
	v_mov_b32_e32 v1, 0
.LBB19_185:                             ;   in Loop: Header=BB19_13 Depth=1
	s_or_b64 exec, exec, s[2:3]
	v_cmp_gt_i32_e32 vcc, 50, v1
	s_mov_b64 s[50:51], -1
	s_and_saveexec_b64 s[2:3], vcc
; %bb.186:                              ;   in Loop: Header=BB19_13 Depth=1
	v_cmp_eq_u32_e32 vcc, 0, v1
	s_orn2_b64 s[50:51], vcc, exec
; %bb.187:                              ;   in Loop: Header=BB19_13 Depth=1
	s_or_b64 exec, exec, s[2:3]
	s_mov_b64 s[38:39], 0
	s_mov_b64 s[2:3], 0
                                        ; implicit-def: $vgpr2_vgpr3
	s_and_saveexec_b64 s[40:41], s[50:51]
	s_cbranch_execz .LBB19_191
; %bb.188:                              ;   in Loop: Header=BB19_13 Depth=1
                                        ; implicit-def: $vgpr2_vgpr3
	s_mov_b64 s[50:51], exec
	v_readlane_b32 s52, v255, 30
	v_readlane_b32 s53, v255, 31
	s_and_b64 s[52:53], s[50:51], s[52:53]
	s_xor_b64 s[50:51], s[52:53], s[50:51]
	s_mov_b64 exec, s[52:53]
	s_cbranch_execz .LBB19_190
; %bb.189:                              ;   in Loop: Header=BB19_13 Depth=1
	v_add_u32_e32 v0, v198, v226
	ds_read_b32 v1, v0 offset:7872
	s_mov_b64 s[2:3], exec
	s_waitcnt lgkmcnt(0)
	v_cvt_f32_f16_e32 v0, v1
	v_cvt_f32_f16_sdwa v1, v1 dst_sel:DWORD dst_unused:UNUSED_PAD src0_sel:WORD_1
	v_pk_add_f32 v[2:3], v[0:1], 0 op_sel_hi:[1,0]
.LBB19_190:                             ;   in Loop: Header=BB19_13 Depth=1
	s_or_b64 exec, exec, s[50:51]
	s_and_b64 s[2:3], s[2:3], exec
.LBB19_191:                             ;   in Loop: Header=BB19_13 Depth=1
	s_or_b64 exec, exec, s[40:41]
	s_and_b64 vcc, exec, s[38:39]
	s_cbranch_vccz .LBB19_361
.LBB19_192:                             ;   in Loop: Header=BB19_13 Depth=1
	v_cmp_gt_i32_e64 s[40:41], s60, v86
	v_cmp_le_i32_e32 vcc, s60, v86
	s_and_saveexec_b64 s[38:39], vcc
	s_xor_b64 s[38:39], exec, s[38:39]
; %bb.193:                              ;   in Loop: Header=BB19_13 Depth=1
	v_add_u32_e32 v0, v210, v166
	ds_write_b32 v0, v45
; %bb.194:                              ;   in Loop: Header=BB19_13 Depth=1
	s_andn2_saveexec_b64 s[38:39], s[38:39]
	s_cbranch_execz .LBB19_196
; %bb.195:                              ;   in Loop: Header=BB19_13 Depth=1
	v_mad_u64_u32 v[2:3], s[50:51], v86, s56, v[38:39]
	v_ashrrev_i32_e32 v3, 31, v2
	v_lshl_add_u64 v[2:3], v[2:3], 3, v[110:111]
	global_load_dwordx2 v[2:3], v[2:3], off
	v_add_u32_e32 v1, v210, v166
	s_waitcnt vmcnt(0)
	v_cvt_pk_f16_f32 v0, v2, v3
	v_pk_mul_f16 v0, v0, v240
	ds_write_b32 v1, v0
.LBB19_196:                             ;   in Loop: Header=BB19_13 Depth=1
	s_or_b64 exec, exec, s[38:39]
	v_add_u32_e32 v241, v212, v87
	v_cmp_gt_i32_e64 s[38:39], s60, v241
	v_cmp_le_i32_e32 vcc, s60, v241
	s_nop 0
	v_writelane_b32 v255, s38, 16
	s_nop 1
	v_writelane_b32 v255, s39, 17
	s_and_saveexec_b64 s[38:39], vcc
	s_xor_b64 s[38:39], exec, s[38:39]
; %bb.197:                              ;   in Loop: Header=BB19_13 Depth=1
	v_add_u32_e32 v0, v210, v166
	ds_write_b32 v0, v45 offset:1920
; %bb.198:                              ;   in Loop: Header=BB19_13 Depth=1
	s_andn2_saveexec_b64 s[38:39], s[38:39]
	s_cbranch_execz .LBB19_200
; %bb.199:                              ;   in Loop: Header=BB19_13 Depth=1
	v_mad_u64_u32 v[2:3], s[50:51], v241, s56, v[38:39]
	v_ashrrev_i32_e32 v3, 31, v2
	v_lshl_add_u64 v[2:3], v[2:3], 3, v[110:111]
	global_load_dwordx2 v[2:3], v[2:3], off
	v_add_u32_e32 v1, v210, v166
	s_waitcnt vmcnt(0)
	v_cvt_pk_f16_f32 v0, v2, v3
	v_pk_mul_f16 v0, v0, v240
	ds_write_b32 v1, v0 offset:1920
.LBB19_200:                             ;   in Loop: Header=BB19_13 Depth=1
	s_or_b64 exec, exec, s[38:39]
	v_add_u32_e32 v211, v201, v87
	v_cmp_gt_i32_e64 s[38:39], s60, v211
	v_cmp_le_i32_e32 vcc, s60, v211
	s_nop 0
	v_writelane_b32 v255, s38, 18
	s_nop 1
	v_writelane_b32 v255, s39, 19
	s_and_saveexec_b64 s[38:39], vcc
	s_xor_b64 s[38:39], exec, s[38:39]
; %bb.201:                              ;   in Loop: Header=BB19_13 Depth=1
	v_add_u32_e32 v0, v210, v166
	ds_write_b32 v0, v45 offset:3840
; %bb.202:                              ;   in Loop: Header=BB19_13 Depth=1
	s_andn2_saveexec_b64 s[38:39], s[38:39]
	s_cbranch_execz .LBB19_204
; %bb.203:                              ;   in Loop: Header=BB19_13 Depth=1
	v_mad_u64_u32 v[2:3], s[50:51], v211, s56, v[38:39]
	v_ashrrev_i32_e32 v3, 31, v2
	v_lshl_add_u64 v[2:3], v[2:3], 3, v[110:111]
	global_load_dwordx2 v[2:3], v[2:3], off
	v_add_u32_e32 v1, v210, v166
	s_waitcnt vmcnt(0)
	v_cvt_pk_f16_f32 v0, v2, v3
	v_pk_mul_f16 v0, v0, v240
	ds_write_b32 v1, v0 offset:3840
.LBB19_204:                             ;   in Loop: Header=BB19_13 Depth=1
	;; [unrolled: 27-line block ×7, first 2 shown]
	s_or_b64 exec, exec, s[38:39]
	v_add_u32_e32 v79, v51, v87
	v_cmp_gt_i32_e64 s[38:39], s60, v79
	v_cmp_le_i32_e32 vcc, s60, v79
	s_nop 0
	v_writelane_b32 v255, s38, 30
	s_nop 1
	v_writelane_b32 v255, s39, 31
	s_and_saveexec_b64 s[38:39], vcc
	s_xor_b64 s[38:39], exec, s[38:39]
; %bb.225:                              ;   in Loop: Header=BB19_13 Depth=1
	ds_write_b32 v229, v45 offset:128
; %bb.226:                              ;   in Loop: Header=BB19_13 Depth=1
	s_andn2_saveexec_b64 s[38:39], s[38:39]
	s_cbranch_execz .LBB19_228
; %bb.227:                              ;   in Loop: Header=BB19_13 Depth=1
	v_mul_lo_u32 v2, v79, s56
	v_ashrrev_i32_e32 v3, 31, v2
	v_lshl_add_u64 v[2:3], v[2:3], 0, v[40:41]
	v_lshl_add_u64 v[2:3], v[2:3], 3, v[110:111]
	global_load_dwordx2 v[2:3], v[2:3], off offset:256
	v_add_u32_e32 v1, v227, v77
	s_waitcnt vmcnt(0)
	v_cvt_pk_f16_f32 v0, v2, v3
	v_pk_mul_f16 v0, v0, v240
	ds_write_b32 v1, v0 offset:128
.LBB19_228:                             ;   in Loop: Header=BB19_13 Depth=1
	s_or_b64 exec, exec, s[38:39]
	v_add_u32_e32 v78, v82, v87
	v_cmp_gt_i32_e64 s[38:39], s60, v78
	v_cmp_le_i32_e32 vcc, s60, v78
	s_nop 0
	v_writelane_b32 v255, s38, 32
	s_nop 1
	v_writelane_b32 v255, s39, 33
	s_and_saveexec_b64 s[38:39], vcc
	s_xor_b64 s[38:39], exec, s[38:39]
; %bb.229:                              ;   in Loop: Header=BB19_13 Depth=1
	v_add_u32_e32 v0, 0xf00, v229
	ds_write_b32 v0, v45 offset:128
; %bb.230:                              ;   in Loop: Header=BB19_13 Depth=1
	s_andn2_saveexec_b64 s[38:39], s[38:39]
	s_cbranch_execz .LBB19_232
; %bb.231:                              ;   in Loop: Header=BB19_13 Depth=1
	v_mul_lo_u32 v2, v78, s56
	v_ashrrev_i32_e32 v3, 31, v2
	v_lshl_add_u64 v[2:3], v[2:3], 0, v[40:41]
	v_lshl_add_u64 v[2:3], v[2:3], 3, v[110:111]
	global_load_dwordx2 v[2:3], v[2:3], off offset:256
	v_add_u32_e32 v1, v227, v77
	s_waitcnt vmcnt(0)
	v_cvt_pk_f16_f32 v0, v2, v3
	v_pk_mul_f16 v0, v0, v240
	ds_write_b32 v1, v0 offset:3968
.LBB19_232:                             ;   in Loop: Header=BB19_13 Depth=1
	s_or_b64 exec, exec, s[38:39]
	v_add_u32_e32 v239, v218, v87
	v_cmp_gt_i32_e64 s[38:39], s60, v239
	v_cmp_le_i32_e32 vcc, s60, v239
	s_nop 0
	v_writelane_b32 v255, s38, 34
	s_nop 1
	v_writelane_b32 v255, s39, 35
	s_and_saveexec_b64 s[38:39], vcc
	s_xor_b64 s[38:39], exec, s[38:39]
; %bb.233:                              ;   in Loop: Header=BB19_13 Depth=1
	v_add_u32_e32 v0, 0x1e00, v229
	;; [unrolled: 28-line block ×3, first 2 shown]
	ds_write_b32 v0, v45 offset:128
; %bb.238:                              ;   in Loop: Header=BB19_13 Depth=1
	s_andn2_saveexec_b64 s[38:39], s[38:39]
	s_cbranch_execz .LBB19_240
; %bb.239:                              ;   in Loop: Header=BB19_13 Depth=1
	v_mul_lo_u32 v2, v89, s56
	v_ashrrev_i32_e32 v3, 31, v2
	v_lshl_add_u64 v[2:3], v[2:3], 0, v[40:41]
	v_lshl_add_u64 v[2:3], v[2:3], 3, v[110:111]
	global_load_dwordx2 v[2:3], v[2:3], off offset:256
	v_add_u32_e32 v1, v227, v77
	s_waitcnt vmcnt(0)
	v_cvt_pk_f16_f32 v0, v2, v3
	v_pk_mul_f16 v0, v0, v240
	ds_write_b32 v1, v0 offset:11648
.LBB19_240:                             ;   in Loop: Header=BB19_13 Depth=1
	s_or_b64 exec, exec, s[38:39]
	v_add_u32_e32 v88, v53, v87
	v_cmp_gt_i32_e64 s[38:39], s60, v88
	v_cmp_le_i32_e32 vcc, s60, v88
	s_nop 0
	v_writelane_b32 v255, s38, 38
	s_nop 1
	v_writelane_b32 v255, s39, 39
	s_and_saveexec_b64 s[38:39], vcc
	s_xor_b64 s[38:39], exec, s[38:39]
; %bb.241:                              ;   in Loop: Header=BB19_13 Depth=1
	ds_write_b32 v199, v45 offset:192
; %bb.242:                              ;   in Loop: Header=BB19_13 Depth=1
	s_andn2_saveexec_b64 s[38:39], s[38:39]
	s_cbranch_execz .LBB19_244
; %bb.243:                              ;   in Loop: Header=BB19_13 Depth=1
	v_mul_lo_u32 v2, v88, s56
	v_ashrrev_i32_e32 v3, 31, v2
	v_lshl_add_u64 v[2:3], v[2:3], 0, v[72:73]
	v_lshl_add_u64 v[2:3], v[2:3], 3, v[110:111]
	global_load_dwordx2 v[2:3], v[2:3], off offset:384
	v_add_u32_e32 v1, v198, v226
	s_waitcnt vmcnt(0)
	v_cvt_pk_f16_f32 v0, v2, v3
	v_pk_mul_f16 v0, v0, v240
	ds_write_b32 v1, v0 offset:192
.LBB19_244:                             ;   in Loop: Header=BB19_13 Depth=1
	s_or_b64 exec, exec, s[38:39]
	v_add_u32_e32 v85, v196, v87
	v_cmp_gt_i32_e64 s[38:39], s60, v85
	v_cmp_le_i32_e32 vcc, s60, v85
	s_nop 0
	v_writelane_b32 v255, s38, 40
	s_nop 1
	v_writelane_b32 v255, s39, 41
	s_and_saveexec_b64 s[38:39], vcc
	s_xor_b64 s[38:39], exec, s[38:39]
; %bb.245:                              ;   in Loop: Header=BB19_13 Depth=1
	ds_write_b32 v200, v45 offset:192
                                        ; implicit-def: $vgpr110_vgpr111
; %bb.246:                              ;   in Loop: Header=BB19_13 Depth=1
	s_andn2_saveexec_b64 s[38:39], s[38:39]
	s_cbranch_execz .LBB19_248
; %bb.247:                              ;   in Loop: Header=BB19_13 Depth=1
	v_mul_lo_u32 v2, v85, s56
	v_ashrrev_i32_e32 v3, 31, v2
	v_lshl_add_u64 v[2:3], v[2:3], 0, v[72:73]
	v_lshl_add_u64 v[2:3], v[2:3], 3, v[110:111]
	global_load_dwordx2 v[2:3], v[2:3], off offset:384
	v_add_u32_e32 v1, v198, v226
	s_waitcnt vmcnt(0)
	v_cvt_pk_f16_f32 v0, v2, v3
	v_pk_mul_f16 v0, v0, v240
	ds_write_b32 v1, v0 offset:7872
.LBB19_248:                             ;   in Loop: Header=BB19_13 Depth=1
	s_or_b64 exec, exec, s[38:39]
	s_waitcnt lgkmcnt(0)
	s_barrier
	ds_read2_b64 v[10:13], v61 offset1:4
	ds_read2_b64 v[6:9], v61 offset0:8 offset1:12
	ds_read2_b64 v[2:5], v61 offset0:16 offset1:20
	ds_read_b64 v[110:111], v61 offset:192
	s_cmp_lt_i32 s63, 2
	v_cmp_ne_u64_e64 s[68:69], 0, v[98:99]
	s_waitcnt lgkmcnt(0)
	s_barrier
	s_cbranch_scc1 .LBB19_267
; %bb.249:                              ;   in Loop: Header=BB19_13 Depth=1
	v_add_u32_e32 v0, v87, v168
	v_mul_hi_u32 v1, s48, v0
	v_add_u32_e32 v1, v0, v1
	v_lshrrev_b32_e32 v1, s49, v1
	v_mul_lo_u32 v1, v1, s60
	v_sub_u32_e32 v0, v0, v1
	v_add_u32_e32 v1, 4, v168
	v_add_u32_e32 v1, v87, v1
	v_mul_hi_u32 v14, s48, v1
	v_add_u32_e32 v14, v1, v14
	v_lshrrev_b32_e32 v14, s49, v14
	v_mul_lo_u32 v14, v14, s60
	v_readlane_b32 s38, v255, 13
	v_sub_u32_e32 v1, v1, v14
	v_readlane_b32 s39, v255, 14
	s_mov_b32 s52, s38
	v_mad_i64_i32 v[114:115], s[38:39], s52, v0, v[98:99]
	v_mad_i64_i32 v[116:117], s[38:39], s52, v1, v[98:99]
	scratch_load_dwordx2 v[0:1], off, off offset:40 ; 8-byte Folded Reload
	v_add_u32_e32 v14, 8, v168
	v_add_u32_e32 v14, v87, v14
	v_mul_hi_u32 v15, s48, v14
	v_add_u32_e32 v15, v14, v15
	v_lshrrev_b32_e32 v15, s49, v15
	v_mul_lo_u32 v15, v15, s60
	v_sub_u32_e32 v14, v14, v15
	v_add_u32_e32 v15, 12, v168
	v_add_u32_e32 v15, v87, v15
	v_mul_hi_u32 v16, s48, v15
	v_add_u32_e32 v16, v15, v16
	v_lshrrev_b32_e32 v16, s49, v16
	v_mul_lo_u32 v16, v16, s60
	v_sub_u32_e32 v15, v15, v16
	v_add_u32_e32 v16, 16, v168
	v_add_u32_e32 v16, v87, v16
	v_mul_hi_u32 v17, s48, v16
	v_add_u32_e32 v17, v16, v17
	v_lshrrev_b32_e32 v17, s49, v17
	v_mul_lo_u32 v17, v17, s60
	v_sub_u32_e32 v16, v16, v17
	v_add_u32_e32 v17, 20, v168
	v_add_u32_e32 v17, v87, v17
	v_mul_hi_u32 v18, s48, v17
	v_add_u32_e32 v18, v17, v18
	v_lshrrev_b32_e32 v18, s49, v18
	v_mul_lo_u32 v18, v18, s60
	v_sub_u32_e32 v17, v17, v18
	v_add_u32_e32 v18, 24, v168
	v_add_u32_e32 v18, v87, v18
	v_mul_hi_u32 v19, s48, v18
	v_add_u32_e32 v19, v18, v19
	v_lshrrev_b32_e32 v19, s49, v19
	v_mul_lo_u32 v19, v19, s60
	v_sub_u32_e32 v18, v18, v19
	v_add_u32_e32 v19, 28, v168
	v_add_u32_e32 v19, v87, v19
	v_mul_hi_u32 v20, s48, v19
	v_add_u32_e32 v20, v19, v20
	v_lshrrev_b32_e32 v20, s49, v20
	v_mul_lo_u32 v20, v20, s60
	v_sub_u32_e32 v19, v19, v20
	v_add_u32_e32 v20, 32, v168
	v_add_u32_e32 v20, v87, v20
	v_mul_hi_u32 v21, s48, v20
	v_add_u32_e32 v21, v20, v21
	v_lshrrev_b32_e32 v21, s49, v21
	v_mul_lo_u32 v21, v21, s60
	v_sub_u32_e32 v20, v20, v21
	v_add_u32_e32 v21, 36, v168
	v_add_u32_e32 v21, v87, v21
	v_mul_hi_u32 v22, s48, v21
	v_add_u32_e32 v22, v21, v22
	v_lshrrev_b32_e32 v22, s49, v22
	v_mul_lo_u32 v22, v22, s60
	v_sub_u32_e32 v21, v21, v22
	v_add_u32_e32 v22, 40, v168
	v_add_u32_e32 v22, v87, v22
	v_mul_hi_u32 v23, s48, v22
	v_add_u32_e32 v23, v22, v23
	v_lshrrev_b32_e32 v23, s49, v23
	v_mul_lo_u32 v23, v23, s60
	v_sub_u32_e32 v22, v22, v23
	v_add_u32_e32 v23, 44, v168
	v_add_u32_e32 v23, v87, v23
	v_mul_hi_u32 v24, s48, v23
	v_add_u32_e32 v24, v23, v24
	v_lshrrev_b32_e32 v24, s49, v24
	v_mul_lo_u32 v24, v24, s60
	v_sub_u32_e32 v23, v23, v24
	v_add_u32_e32 v24, 48, v168
	v_add_u32_e32 v24, v87, v24
	v_mul_hi_u32 v25, s48, v24
	v_add_u32_e32 v25, v24, v25
	v_lshrrev_b32_e32 v25, s49, v25
	v_mul_lo_u32 v25, v25, s60
	v_sub_u32_e32 v24, v24, v25
	v_add_u32_e32 v25, 52, v168
	v_add_u32_e32 v25, v87, v25
	s_waitcnt vmcnt(0)
	v_lshl_add_u64 v[146:147], v[0:1], 0, v[106:107]
	scratch_load_dwordx2 v[0:1], off, off offset:48 ; 8-byte Folded Reload
	v_mul_hi_u32 v26, s48, v25
	v_add_u32_e32 v26, v25, v26
	v_lshrrev_b32_e32 v26, s49, v26
	v_mul_lo_u32 v26, v26, s60
	v_sub_u32_e32 v25, v25, v26
	v_add_u32_e32 v26, 56, v168
	v_add_u32_e32 v26, v87, v26
	v_mul_hi_u32 v27, s48, v26
	v_add_u32_e32 v27, v26, v27
	v_lshrrev_b32_e32 v27, s49, v27
	v_mul_lo_u32 v27, v27, s60
	v_sub_u32_e32 v26, v26, v27
	v_add_u32_e32 v27, 60, v168
	v_add_u32_e32 v27, v87, v27
	v_mul_hi_u32 v28, s48, v27
	v_add_u32_e32 v28, v27, v28
	v_lshrrev_b32_e32 v28, s49, v28
	v_mul_lo_u32 v28, v28, s60
	v_sub_u32_e32 v27, v27, v28
	v_and_b32_e32 v28, 64, v83
	v_add_u32_e32 v28, 64, v28
	v_xor_b32_e32 v29, 32, v83
	v_cmp_lt_i32_e32 vcc, v29, v28
	s_add_i32 s50, s63, -1
	v_mov_b32_e32 v112, v96
	v_cndmask_b32_e32 v29, v83, v29, vcc
	v_lshlrev_b32_e32 v44, 2, v29
	v_xor_b32_e32 v29, 16, v83
	v_cmp_lt_i32_e32 vcc, v29, v28
	v_mov_b32_e32 v113, v96
	v_mad_i64_i32 v[118:119], s[38:39], s52, v14, v[98:99]
	v_cndmask_b32_e32 v28, v83, v29, vcc
	v_lshlrev_b32_e32 v245, 2, v28
	v_mad_i64_i32 v[120:121], s[38:39], s52, v15, v[98:99]
	v_mad_i64_i32 v[122:123], s[38:39], s52, v16, v[98:99]
	;; [unrolled: 1-line block ×13, first 2 shown]
	v_mov_b32_e32 v158, 0
	v_mov_b32_e32 v34, 0xfeffffff
	;; [unrolled: 1-line block ×3, first 2 shown]
	s_mov_b32 s51, s50
	v_mov_b32_e32 v159, 0
	v_mov_b32_e32 v37, 0
	;; [unrolled: 1-line block ×13, first 2 shown]
	s_waitcnt vmcnt(0)
	v_lshl_add_u64 v[148:149], v[0:1], 0, v[106:107]
	scratch_load_dwordx2 v[0:1], off, off offset:56 ; 8-byte Folded Reload
	s_waitcnt vmcnt(0)
	v_lshl_add_u64 v[150:151], v[0:1], 0, v[106:107]
	scratch_load_dwordx2 v[0:1], off, off offset:64 ; 8-byte Folded Reload
	;; [unrolled: 3-line block ×6, first 2 shown]
	s_waitcnt vmcnt(0)
	v_lshl_add_u64 v[108:109], v[0:1], 0, v[108:109]
	v_cndmask_b32_e64 v0, 0, 1, s[68:69]
	v_cmp_ne_u32_e64 s[70:71], 1, v0
	s_andn2_b64 vcc, exec, s[68:69]
	s_cbranch_vccnz .LBB19_259
.LBB19_250:                             ;   in Loop: Header=BB19_13 Depth=1
	s_and_saveexec_b64 s[38:39], s[54:55]
	s_xor_b64 s[38:39], exec, s[38:39]
	s_cbranch_execz .LBB19_252
; %bb.251:                              ;   in Loop: Header=BB19_13 Depth=1
	ds_write_b16 v169, v45 offset:15360
	ds_write_b16 v242, v45 offset:15360
	;; [unrolled: 1-line block ×4, first 2 shown]
.LBB19_252:                             ;   in Loop: Header=BB19_13 Depth=1
	s_or_saveexec_b64 s[38:39], s[38:39]
	v_mov_b32_e32 v1, 0
	v_mov_b32_e32 v14, 0
	;; [unrolled: 1-line block ×4, first 2 shown]
	s_xor_b64 exec, exec, s[38:39]
	s_cbranch_execz .LBB19_254
; %bb.253:                              ;   in Loop: Header=BB19_13 Depth=1
	v_lshl_add_u64 v[14:15], v[114:115], 0, v[46:47]
	global_load_ushort v0, v[14:15], off
	v_lshl_add_u64 v[14:15], v[116:117], 0, v[46:47]
	global_load_ushort v1, v[14:15], off
	;; [unrolled: 2-line block ×4, first 2 shown]
	s_waitcnt vmcnt(3)
	ds_write_b16 v169, v0 offset:15360
	s_waitcnt vmcnt(2)
	ds_write_b16 v242, v1 offset:15360
	;; [unrolled: 2-line block ×4, first 2 shown]
	v_lshl_add_u64 v[14:15], v[122:123], 0, v[46:47]
	global_load_ushort v1, v[14:15], off
	v_lshl_add_u64 v[14:15], v[124:125], 0, v[46:47]
	v_lshl_add_u64 v[16:17], v[126:127], 0, v[46:47]
	global_load_ushort v14, v[14:15], off
	s_nop 0
	global_load_ushort v15, v[16:17], off
	v_lshl_add_u64 v[16:17], v[128:129], 0, v[46:47]
	global_load_ushort v16, v[16:17], off
.LBB19_254:                             ;   in Loop: Header=BB19_13 Depth=1
	s_or_b64 exec, exec, s[38:39]
	s_waitcnt vmcnt(3)
	ds_write_b16 v248, v1 offset:15360
	s_waitcnt vmcnt(2)
	ds_write_b16 v250, v14 offset:15360
	;; [unrolled: 2-line block ×4, first 2 shown]
	s_and_saveexec_b64 s[38:39], s[54:55]
	s_xor_b64 s[38:39], exec, s[38:39]
	s_cbranch_execz .LBB19_256
; %bb.255:                              ;   in Loop: Header=BB19_13 Depth=1
	ds_write_b16 v219, v45 offset:15360
	ds_write_b16 v235, v45 offset:15360
	;; [unrolled: 1-line block ×4, first 2 shown]
.LBB19_256:                             ;   in Loop: Header=BB19_13 Depth=1
	s_or_saveexec_b64 s[38:39], s[38:39]
	v_mov_b32_e32 v1, 0
	v_mov_b32_e32 v14, 0
	;; [unrolled: 1-line block ×4, first 2 shown]
	s_xor_b64 exec, exec, s[38:39]
	s_cbranch_execz .LBB19_258
; %bb.257:                              ;   in Loop: Header=BB19_13 Depth=1
	v_lshl_add_u64 v[14:15], v[130:131], 0, v[46:47]
	global_load_ushort v0, v[14:15], off
	v_lshl_add_u64 v[14:15], v[132:133], 0, v[46:47]
	global_load_ushort v1, v[14:15], off
	;; [unrolled: 2-line block ×4, first 2 shown]
	s_waitcnt vmcnt(3)
	ds_write_b16 v219, v0 offset:15360
	s_waitcnt vmcnt(2)
	ds_write_b16 v235, v1 offset:15360
	;; [unrolled: 2-line block ×4, first 2 shown]
	v_lshl_add_u64 v[14:15], v[138:139], 0, v[46:47]
	global_load_ushort v1, v[14:15], off
	v_lshl_add_u64 v[14:15], v[140:141], 0, v[46:47]
	v_lshl_add_u64 v[16:17], v[142:143], 0, v[46:47]
	global_load_ushort v14, v[14:15], off
	s_nop 0
	global_load_ushort v15, v[16:17], off
	v_lshl_add_u64 v[16:17], v[144:145], 0, v[46:47]
	global_load_ushort v16, v[16:17], off
.LBB19_258:                             ;   in Loop: Header=BB19_13 Depth=1
	s_or_b64 exec, exec, s[38:39]
	s_waitcnt vmcnt(3)
	ds_write_b16 v217, v1 offset:15360
	s_waitcnt vmcnt(2)
	ds_write_b16 v209, v14 offset:15360
	;; [unrolled: 2-line block ×4, first 2 shown]
.LBB19_259:                             ;   Parent Loop BB19_13 Depth=1
                                        ; =>  This Inner Loop Header: Depth=2
	scratch_store_dwordx4 off, v[230:233], off
	s_and_saveexec_b64 s[38:39], s[4:5]
	s_cbranch_execz .LBB19_261
; %bb.260:                              ;   in Loop: Header=BB19_259 Depth=2
	v_lshl_add_u64 v[14:15], v[108:109], 0, v[104:105]
	global_load_dwordx4 v[14:17], v[14:15], off
	s_waitcnt vmcnt(0)
	ds_write_b128 v178, v[14:17]
.LBB19_261:                             ;   in Loop: Header=BB19_259 Depth=2
	s_or_b64 exec, exec, s[38:39]
	v_lshl_add_u64 v[14:15], v[152:153], 0, v[104:105]
	v_mov_b32_e32 v0, s45
	v_lshl_add_u64 v[16:17], v[154:155], 0, v[104:105]
	v_cndmask_b32_e64 v15, v0, v15, s[6:7]
	v_cndmask_b32_e64 v14, v84, v14, s[6:7]
	;; [unrolled: 1-line block ×4, first 2 shown]
	v_lshl_add_u64 v[16:17], v[156:157], 0, v[104:105]
	v_cndmask_b32_e64 v23, v0, v17, s[10:11]
	v_cndmask_b32_e64 v22, v84, v16, s[10:11]
	flat_load_dwordx4 v[14:17], v[14:15]
	v_add_u32_e32 v0, 0x800, v177
	s_and_b64 vcc, exec, s[70:71]
	s_waitcnt vmcnt(0) lgkmcnt(0)
	ds_write_b128 v172, v[14:17]
	flat_load_dwordx4 v[14:17], v[18:19]
	s_waitcnt vmcnt(0) lgkmcnt(0)
	ds_write_b128 v174, v[14:17]
	flat_load_dwordx4 v[14:17], v[22:23]
	s_waitcnt vmcnt(0) lgkmcnt(0)
	ds_write_b128 v176, v[14:17]
	s_waitcnt lgkmcnt(0)
	s_barrier
	ds_read2_b64 v[14:17], v177 offset1:4
	s_waitcnt lgkmcnt(0)
	v_mfma_f32_16x16x16_f16 v[22:25], v[14:15], v[10:11], 0
	ds_read_b64 v[18:19], v177 offset:192
	v_mfma_f32_16x16x16_f16 v[14:17], v[16:17], v[12:13], v[22:25]
	s_nop 5
	ds_read2_b64 v[22:25], v177 offset0:8 offset1:12
	s_waitcnt lgkmcnt(0)
	v_mfma_f32_16x16x16_f16 v[14:17], v[22:23], v[6:7], v[14:17]
	v_mfma_f32_16x16x16_f16 v[14:17], v[24:25], v[8:9], v[14:17]
	ds_read2_b64 v[22:25], v177 offset0:16 offset1:20
	s_waitcnt lgkmcnt(0)
	v_mfma_f32_16x16x16_f16 v[14:17], v[22:23], v[2:3], v[14:17]
	v_mfma_f32_16x16x16_f16 v[14:17], v[24:25], v[4:5], v[14:17]
	;; [unrolled: 1-line block ×3, first 2 shown]
	ds_read_b64 v[18:19], v177 offset:4032
	s_nop 5
	ds_read2_b64 v[14:17], v0 offset0:224 offset1:228
	s_waitcnt lgkmcnt(0)
	v_mfma_f32_16x16x16_f16 v[22:25], v[14:15], v[10:11], 0
	v_mfma_f32_16x16x16_f16 v[14:17], v[16:17], v[12:13], v[22:25]
	s_nop 6
	ds_read2_b64 v[22:25], v0 offset0:232 offset1:236
	s_waitcnt lgkmcnt(0)
	v_mfma_f32_16x16x16_f16 v[14:17], v[22:23], v[6:7], v[14:17]
	v_mfma_f32_16x16x16_f16 v[14:17], v[24:25], v[8:9], v[14:17]
	ds_read2_b64 v[22:25], v0 offset0:240 offset1:244
	v_add_u32_e32 v0, 0x1800, v177
	s_waitcnt lgkmcnt(0)
	v_mfma_f32_16x16x16_f16 v[14:17], v[22:23], v[2:3], v[14:17]
	v_mfma_f32_16x16x16_f16 v[14:17], v[24:25], v[4:5], v[14:17]
	ds_read2_b64 v[22:25], v0 offset0:192 offset1:196
	s_waitcnt lgkmcnt(0)
	v_mfma_f32_16x16x16_f16 v[30:33], v[22:23], v[10:11], 0
	v_mfma_f32_16x16x16_f16 v[22:25], v[24:25], v[12:13], v[30:33]
	s_nop 6
	ds_read2_b64 v[30:33], v0 offset0:200 offset1:204
	s_waitcnt lgkmcnt(0)
	v_mfma_f32_16x16x16_f16 v[22:25], v[30:31], v[6:7], v[22:25]
	v_mfma_f32_16x16x16_f16 v[22:25], v[32:33], v[8:9], v[22:25]
	ds_read2_b64 v[30:33], v0 offset0:208 offset1:212
	v_add_u32_e32 v0, 0x2800, v177
	s_waitcnt lgkmcnt(0)
	v_mfma_f32_16x16x16_f16 v[22:25], v[30:31], v[2:3], v[22:25]
	v_mfma_f32_16x16x16_f16 v[22:25], v[32:33], v[4:5], v[22:25]
	ds_read2_b64 v[30:33], v0 offset0:160 offset1:164
	s_waitcnt lgkmcnt(0)
	v_mfma_f32_16x16x16_f16 v[202:205], v[30:31], v[10:11], 0
	v_mfma_f32_16x16x16_f16 v[30:33], v[32:33], v[12:13], v[202:205]
	s_nop 6
	ds_read2_b64 v[202:205], v0 offset0:168 offset1:172
	s_waitcnt lgkmcnt(0)
	v_mfma_f32_16x16x16_f16 v[30:33], v[202:203], v[6:7], v[30:33]
	v_mfma_f32_16x16x16_f16 v[16:19], v[18:19], v[110:111], v[14:17]
	s_nop 2
	ds_read_b64 v[14:15], v177 offset:7872
	v_mfma_f32_16x16x16_f16 v[30:33], v[204:205], v[8:9], v[30:33]
	ds_read2_b64 v[202:205], v0 offset0:176 offset1:180
	s_waitcnt lgkmcnt(1)
	v_mfma_f32_16x16x16_f16 v[22:25], v[14:15], v[110:111], v[22:25]
	ds_read_b64 v[14:15], v177 offset:11712
	s_waitcnt lgkmcnt(0)
	s_barrier
	v_mfma_f32_16x16x16_f16 v[30:33], v[202:203], v[2:3], v[30:33]
	v_mfma_f32_16x16x16_f16 v[30:33], v[204:205], v[4:5], v[30:33]
	;; [unrolled: 1-line block ×3, first 2 shown]
	s_cbranch_vccnz .LBB19_263
; %bb.262:                              ;   in Loop: Header=BB19_259 Depth=2
	ds_read_b32 v0, v180 offset:15360
	v_mov_b32_e32 v97, v96
	s_waitcnt lgkmcnt(0)
	v_cvt_f32_f16_sdwa v15, v0 dst_sel:DWORD dst_unused:UNUSED_PAD src0_sel:WORD_1
	v_cvt_f32_f16_e32 v14, v0
	ds_read_b32 v0, v181 offset:15360
	v_pk_fma_f32 v[26:27], v[112:113], v[14:15], v[26:27]
	s_waitcnt lgkmcnt(0)
	v_cvt_f32_f16_sdwa v203, v0 dst_sel:DWORD dst_unused:UNUSED_PAD src0_sel:WORD_1
	v_cvt_f32_f16_e32 v202, v0
	v_add_u32_e32 v0, 0x3c00, v191
	ds_read2_b32 v[14:15], v0 offset1:1
	v_add_u32_e32 v0, 0x3c00, v193
	v_pk_fma_f32 v[28:29], v[96:97], v[202:203], v[28:29]
	s_waitcnt lgkmcnt(0)
	v_cvt_f32_f16_e32 v202, v14
	v_cvt_f32_f16_sdwa v203, v14 dst_sel:DWORD dst_unused:UNUSED_PAD src0_sel:WORD_1
	v_cvt_f32_f16_e32 v14, v15
	v_cvt_f32_f16_sdwa v15, v15 dst_sel:DWORD dst_unused:UNUSED_PAD src0_sel:WORD_1
	v_pk_fma_f32 v[16:17], v[112:113], v[202:203], v[16:17]
	v_pk_fma_f32 v[18:19], v[96:97], v[14:15], v[18:19]
	ds_read2_b32 v[14:15], v0 offset1:1
	v_add_u32_e32 v0, 0x3c00, v195
	s_waitcnt lgkmcnt(0)
	v_cvt_f32_f16_e32 v202, v14
	v_cvt_f32_f16_sdwa v203, v14 dst_sel:DWORD dst_unused:UNUSED_PAD src0_sel:WORD_1
	v_cvt_f32_f16_e32 v14, v15
	v_cvt_f32_f16_sdwa v15, v15 dst_sel:DWORD dst_unused:UNUSED_PAD src0_sel:WORD_1
	v_pk_fma_f32 v[22:23], v[112:113], v[202:203], v[22:23]
	v_pk_fma_f32 v[24:25], v[96:97], v[14:15], v[24:25]
	ds_read2_b32 v[14:15], v0 offset1:1
	s_waitcnt lgkmcnt(0)
	v_cvt_f32_f16_e32 v202, v14
	v_cvt_f32_f16_sdwa v203, v14 dst_sel:DWORD dst_unused:UNUSED_PAD src0_sel:WORD_1
	v_cvt_f32_f16_e32 v14, v15
	v_cvt_f32_f16_sdwa v15, v15 dst_sel:DWORD dst_unused:UNUSED_PAD src0_sel:WORD_1
	v_pk_fma_f32 v[30:31], v[112:113], v[202:203], v[30:31]
	v_pk_fma_f32 v[32:33], v[96:97], v[14:15], v[32:33]
.LBB19_263:                             ;   in Loop: Header=BB19_259 Depth=2
	v_add_f32_e32 v0, 0x40051340, v26
	v_max_f32_e32 v1, v34, v34
	v_max_f32_e32 v0, v1, v0
	v_cndmask_b32_e64 v0, v34, v0, s[12:13]
	v_add_f32_e32 v1, 0x40051340, v27
	v_max_f32_e32 v0, v0, v0
	v_max_f32_e32 v0, v0, v1
	v_cndmask_b32_e64 v0, v34, v0, s[12:13]
	v_add_f32_e32 v1, 0x40051340, v28
	v_max_f32_e32 v0, v0, v0
	v_max_f32_e32 v0, v0, v1
	v_cndmask_b32_e64 v0, v34, v0, s[12:13]
	v_add_f32_e32 v1, 0x40051340, v29
	v_max_f32_e32 v0, v0, v0
	v_max_f32_e32 v0, v0, v1
	v_cndmask_b32_e64 v0, v34, v0, s[12:13]
	v_add_f32_e32 v1, 0x40051340, v16
	v_max_f32_e32 v14, v0, v0
	v_max_f32_e32 v1, v14, v1
	v_cndmask_b32_e64 v0, v0, v1, s[14:15]
	v_add_f32_e32 v1, 0x40051340, v17
	v_max_f32_e32 v14, v0, v0
	v_max_f32_e32 v1, v14, v1
	v_cndmask_b32_e64 v0, v0, v1, s[16:17]
	v_add_f32_e32 v1, 0x40051340, v18
	v_max_f32_e32 v14, v0, v0
	v_max_f32_e32 v1, v14, v1
	v_cndmask_b32_e64 v0, v0, v1, s[18:19]
	v_add_f32_e32 v1, 0x40051340, v19
	v_max_f32_e32 v14, v0, v0
	v_max_f32_e32 v1, v14, v1
	v_cndmask_b32_e64 v0, v0, v1, s[20:21]
	v_add_f32_e32 v1, 0x40051340, v22
	v_max_f32_e32 v14, v0, v0
	v_max_f32_e32 v1, v14, v1
	v_cndmask_b32_e64 v0, v0, v1, s[22:23]
	v_add_f32_e32 v1, 0x40051340, v23
	v_max_f32_e32 v14, v0, v0
	v_max_f32_e32 v1, v14, v1
	v_cndmask_b32_e64 v0, v0, v1, s[24:25]
	v_add_f32_e32 v1, 0x40051340, v24
	v_max_f32_e32 v14, v0, v0
	v_max_f32_e32 v1, v14, v1
	v_cndmask_b32_e64 v0, v0, v1, s[26:27]
	v_add_f32_e32 v1, 0x40051340, v25
	v_max_f32_e32 v14, v0, v0
	v_max_f32_e32 v1, v14, v1
	v_cndmask_b32_e64 v0, v0, v1, s[28:29]
	v_add_f32_e32 v1, 0x40051340, v30
	v_max_f32_e32 v14, v0, v0
	v_max_f32_e32 v1, v14, v1
	v_cndmask_b32_e64 v0, v0, v1, s[0:1]
	v_add_f32_e32 v1, 0x40051340, v31
	v_max_f32_e32 v14, v0, v0
	v_max_f32_e32 v1, v14, v1
	v_cndmask_b32_e64 v0, v0, v1, s[30:31]
	v_add_f32_e32 v1, 0x40051340, v32
	v_max_f32_e32 v14, v0, v0
	v_max_f32_e32 v1, v14, v1
	v_cndmask_b32_e64 v0, v0, v1, s[34:35]
	v_add_f32_e32 v1, 0x40051340, v33
	v_max_f32_e32 v14, v0, v0
	v_max_f32_e32 v1, v14, v1
	v_cndmask_b32_e64 v0, v0, v1, s[36:37]
	ds_bpermute_b32 v1, v44, v0
	v_max_f32_e32 v0, v0, v0
	scratch_store_dwordx4 off, v[230:233], off
	s_waitcnt lgkmcnt(0)
	v_max_f32_e32 v1, v1, v1
	v_max_f32_e32 v1, v0, v1
	ds_bpermute_b32 v14, v245, v1
	s_and_saveexec_b64 s[38:39], s[4:5]
	s_cbranch_execz .LBB19_265
; %bb.264:                              ;   in Loop: Header=BB19_259 Depth=2
	v_lshl_add_u64 v[202:203], v[146:147], 0, v[102:103]
	global_load_dwordx4 v[202:205], v[202:203], off
	s_waitcnt vmcnt(0)
	ds_write_b128 v178, v[202:205]
.LBB19_265:                             ;   in Loop: Header=BB19_259 Depth=2
	s_or_b64 exec, exec, s[38:39]
	s_waitcnt lgkmcnt(0)
	v_max_f32_e32 v0, v14, v14
	v_max_f32_e32 v1, v1, v1
	;; [unrolled: 1-line block ×3, first 2 shown]
	v_sub_f32_e32 v0, v26, v97
	v_mul_f32_e32 v1, 0x3fb8aa3b, v0
	v_fma_f32 v14, v0, s44, -v1
	v_rndne_f32_e32 v15, v1
	v_fmac_f32_e32 v14, 0x32a5705f, v0
	v_sub_f32_e32 v1, v1, v15
	v_add_f32_e32 v1, v1, v14
	v_exp_f32_e32 v1, v1
	v_cvt_i32_f32_e32 v14, v15
	v_cmp_ngt_f32_e32 vcc, s33, v0
	s_add_i32 s51, s51, -1
	v_lshl_add_u64 v[114:115], v[114:115], 0, s[46:47]
	v_ldexp_f32 v1, v1, v14
	v_cndmask_b32_e32 v1, 0, v1, vcc
	v_cmp_nlt_f32_e32 vcc, s61, v0
	v_lshl_add_u64 v[116:117], v[116:117], 0, s[46:47]
	v_lshl_add_u64 v[118:119], v[118:119], 0, s[46:47]
	v_cndmask_b32_e32 v0, v81, v1, vcc
	v_sub_f32_e32 v1, v27, v97
	v_mul_f32_e32 v15, 0x3fb8aa3b, v1
	v_fma_f32 v20, v1, s44, -v15
	v_rndne_f32_e32 v26, v15
	v_fmac_f32_e32 v20, 0x32a5705f, v1
	v_sub_f32_e32 v15, v15, v26
	v_add_f32_e32 v15, v15, v20
	v_exp_f32_e32 v15, v15
	v_cvt_i32_f32_e32 v20, v26
	v_cmp_ngt_f32_e32 vcc, s33, v1
	v_cndmask_b32_e64 v14, 0, v0, s[12:13]
	v_lshl_add_u64 v[120:121], v[120:121], 0, s[46:47]
	v_ldexp_f32 v15, v15, v20
	v_cndmask_b32_e32 v15, 0, v15, vcc
	v_cmp_nlt_f32_e32 vcc, s61, v1
	v_mov_b32_e32 v1, s59
	v_lshl_add_u64 v[122:123], v[122:123], 0, s[46:47]
	v_cndmask_b32_e32 v15, v81, v15, vcc
	v_add_f32_e32 v0, v0, v15
	v_cndmask_b32_e64 v1, v1, v15, s[12:13]
	v_sub_f32_e32 v15, v28, v97
	v_mul_f32_e32 v20, 0x3fb8aa3b, v15
	v_fma_f32 v26, v15, s44, -v20
	v_rndne_f32_e32 v27, v20
	v_fmac_f32_e32 v26, 0x32a5705f, v15
	v_sub_f32_e32 v20, v20, v27
	v_add_f32_e32 v20, v20, v26
	v_exp_f32_e32 v20, v20
	v_cvt_i32_f32_e32 v26, v27
	v_cmp_ngt_f32_e32 vcc, s33, v15
	v_lshl_add_u64 v[124:125], v[124:125], 0, s[46:47]
	v_lshl_add_u64 v[126:127], v[126:127], 0, s[46:47]
	v_ldexp_f32 v20, v20, v26
	v_cndmask_b32_e32 v20, 0, v20, vcc
	v_cmp_nlt_f32_e32 vcc, s61, v15
	v_lshl_add_u64 v[128:129], v[128:129], 0, s[46:47]
	v_lshl_add_u64 v[130:131], v[130:131], 0, s[46:47]
	v_cndmask_b32_e32 v15, v81, v20, vcc
	v_mov_b32_e32 v20, s59
	v_add_f32_e32 v0, v0, v15
	v_cndmask_b32_e64 v20, v20, v15, s[12:13]
	v_sub_f32_e32 v15, v29, v97
	v_mul_f32_e32 v26, 0x3fb8aa3b, v15
	v_fma_f32 v27, v15, s44, -v26
	v_rndne_f32_e32 v28, v26
	v_fmac_f32_e32 v27, 0x32a5705f, v15
	v_sub_f32_e32 v26, v26, v28
	v_add_f32_e32 v26, v26, v27
	v_exp_f32_e32 v26, v26
	v_cvt_i32_f32_e32 v27, v28
	v_cmp_ngt_f32_e32 vcc, s33, v15
	v_lshl_add_u64 v[132:133], v[132:133], 0, s[46:47]
	v_lshl_add_u64 v[134:135], v[134:135], 0, s[46:47]
	v_ldexp_f32 v26, v26, v27
	v_cndmask_b32_e32 v26, 0, v26, vcc
	v_cmp_nlt_f32_e32 vcc, s61, v15
	v_sub_f32_e32 v15, v16, v97
	v_mul_f32_e32 v16, 0x3fb8aa3b, v15
	v_cndmask_b32_e32 v202, v81, v26, vcc
	v_fma_f32 v26, v15, s44, -v16
	v_rndne_f32_e32 v27, v16
	v_fmac_f32_e32 v26, 0x32a5705f, v15
	v_sub_f32_e32 v16, v16, v27
	v_add_f32_e32 v16, v16, v26
	v_exp_f32_e32 v16, v16
	v_cvt_i32_f32_e32 v26, v27
	v_cmp_ngt_f32_e32 vcc, s33, v15
	v_add_f32_e32 v0, v0, v202
	v_cndmask_b32_e64 v0, 0, v0, s[12:13]
	v_ldexp_f32 v16, v16, v26
	v_cndmask_b32_e32 v16, 0, v16, vcc
	v_cmp_nlt_f32_e32 vcc, s61, v15
	v_lshl_add_u64 v[136:137], v[136:137], 0, s[46:47]
	v_lshl_add_u64 v[138:139], v[138:139], 0, s[46:47]
	v_cndmask_b32_e32 v15, v81, v16, vcc
	v_mov_b32_e32 v16, s59
	v_add_f32_e32 v26, v15, v0
	v_cndmask_b32_e64 v16, v16, v15, s[14:15]
	v_sub_f32_e32 v15, v17, v97
	v_mul_f32_e32 v17, 0x3fb8aa3b, v15
	v_cndmask_b32_e64 v0, v0, v26, s[14:15]
	v_fma_f32 v26, v15, s44, -v17
	v_rndne_f32_e32 v27, v17
	v_fmac_f32_e32 v26, 0x32a5705f, v15
	v_sub_f32_e32 v17, v17, v27
	v_add_f32_e32 v17, v17, v26
	v_exp_f32_e32 v17, v17
	v_cvt_i32_f32_e32 v26, v27
	v_cmp_ngt_f32_e32 vcc, s33, v15
	v_lshl_add_u64 v[140:141], v[140:141], 0, s[46:47]
	v_lshl_add_u64 v[142:143], v[142:143], 0, s[46:47]
	v_ldexp_f32 v17, v17, v26
	v_cndmask_b32_e32 v17, 0, v17, vcc
	v_cmp_nlt_f32_e32 vcc, s61, v15
	v_mov_b32_e32 v15, s59
	v_lshl_add_u64 v[144:145], v[144:145], 0, s[46:47]
	v_cndmask_b32_e32 v17, v81, v17, vcc
	v_add_f32_e32 v26, v17, v0
	v_cndmask_b32_e64 v15, v15, v17, s[16:17]
	v_sub_f32_e32 v17, v18, v97
	v_mul_f32_e32 v18, 0x3fb8aa3b, v17
	v_cndmask_b32_e64 v0, v0, v26, s[16:17]
	v_fma_f32 v26, v17, s44, -v18
	v_rndne_f32_e32 v27, v18
	v_fmac_f32_e32 v26, 0x32a5705f, v17
	v_sub_f32_e32 v18, v18, v27
	v_add_f32_e32 v18, v18, v26
	v_exp_f32_e32 v18, v18
	v_cvt_i32_f32_e32 v26, v27
	v_cmp_ngt_f32_e32 vcc, s33, v17
	v_lshl_add_u64 v[146:147], v[146:147], 0, s[66:67]
	v_lshl_add_u64 v[152:153], v[152:153], 0, s[64:65]
	v_ldexp_f32 v18, v18, v26
	v_cndmask_b32_e32 v18, 0, v18, vcc
	v_cmp_nlt_f32_e32 vcc, s61, v17
	v_lshl_add_u64 v[154:155], v[154:155], 0, s[64:65]
	v_lshl_add_u64 v[156:157], v[156:157], 0, s[64:65]
	v_cndmask_b32_e32 v17, v81, v18, vcc
	v_mov_b32_e32 v18, s59
	v_add_f32_e32 v26, v17, v0
	v_cndmask_b32_e64 v18, v18, v17, s[18:19]
	v_sub_f32_e32 v17, v19, v97
	v_mul_f32_e32 v19, 0x3fb8aa3b, v17
	v_cndmask_b32_e64 v0, v0, v26, s[18:19]
	v_fma_f32 v26, v17, s44, -v19
	v_rndne_f32_e32 v27, v19
	v_fmac_f32_e32 v26, 0x32a5705f, v17
	v_sub_f32_e32 v19, v19, v27
	v_add_f32_e32 v19, v19, v26
	v_exp_f32_e32 v19, v19
	v_cvt_i32_f32_e32 v26, v27
	v_cmp_ngt_f32_e32 vcc, s33, v17
	v_lshl_add_u64 v[108:109], v[108:109], 0, s[64:65]
	s_cmp_lg_u32 s51, 0
	v_ldexp_f32 v19, v19, v26
	v_cndmask_b32_e32 v19, 0, v19, vcc
	v_cmp_nlt_f32_e32 vcc, s61, v17
	s_nop 1
	v_cndmask_b32_e32 v203, v81, v19, vcc
	v_add_f32_e32 v17, v203, v0
	v_cndmask_b32_e64 v0, v0, v17, s[20:21]
	v_sub_f32_e32 v17, v22, v97
	v_mul_f32_e32 v19, 0x3fb8aa3b, v17
	v_fma_f32 v22, v17, s44, -v19
	v_rndne_f32_e32 v26, v19
	v_fmac_f32_e32 v22, 0x32a5705f, v17
	v_sub_f32_e32 v19, v19, v26
	v_add_f32_e32 v19, v19, v22
	v_exp_f32_e32 v19, v19
	v_cvt_i32_f32_e32 v22, v26
	v_cmp_ngt_f32_e32 vcc, s33, v17
	v_ldexp_f32 v19, v19, v22
	s_nop 0
	v_cndmask_b32_e32 v19, 0, v19, vcc
	v_cmp_nlt_f32_e32 vcc, s61, v17
	v_mov_b32_e32 v22, s59
	s_nop 0
	v_cndmask_b32_e32 v17, v81, v19, vcc
	v_add_f32_e32 v19, v17, v0
	v_cndmask_b32_e64 v22, v22, v17, s[22:23]
	v_sub_f32_e32 v17, v23, v97
	v_cndmask_b32_e64 v0, v0, v19, s[22:23]
	v_mul_f32_e32 v19, 0x3fb8aa3b, v17
	v_fma_f32 v23, v17, s44, -v19
	v_rndne_f32_e32 v26, v19
	v_fmac_f32_e32 v23, 0x32a5705f, v17
	v_sub_f32_e32 v19, v19, v26
	v_add_f32_e32 v19, v19, v23
	v_exp_f32_e32 v19, v19
	v_cvt_i32_f32_e32 v23, v26
	v_cmp_ngt_f32_e32 vcc, s33, v17
	v_ldexp_f32 v19, v19, v23
	s_nop 0
	v_cndmask_b32_e32 v19, 0, v19, vcc
	v_cmp_nlt_f32_e32 vcc, s61, v17
	v_mov_b32_e32 v17, s59
	s_nop 0
	v_cndmask_b32_e32 v19, v81, v19, vcc
	v_add_f32_e32 v23, v19, v0
	v_cndmask_b32_e64 v17, v17, v19, s[24:25]
	v_sub_f32_e32 v19, v24, v97
	v_cndmask_b32_e64 v0, v0, v23, s[24:25]
	;; [unrolled: 20-line block ×3, first 2 shown]
	v_mul_f32_e32 v23, 0x3fb8aa3b, v19
	v_fma_f32 v25, v19, s44, -v23
	v_rndne_f32_e32 v26, v23
	v_fmac_f32_e32 v25, 0x32a5705f, v19
	v_sub_f32_e32 v23, v23, v26
	v_add_f32_e32 v23, v23, v25
	v_exp_f32_e32 v23, v23
	v_cvt_i32_f32_e32 v25, v26
	v_cmp_ngt_f32_e32 vcc, s33, v19
	v_ldexp_f32 v23, v23, v25
	s_nop 0
	v_cndmask_b32_e32 v23, 0, v23, vcc
	v_cmp_nlt_f32_e32 vcc, s61, v19
	s_nop 1
	v_cndmask_b32_e32 v204, v81, v23, vcc
	v_add_f32_e32 v19, v204, v0
	v_cndmask_b32_e64 v0, v0, v19, s[28:29]
	v_sub_f32_e32 v19, v30, v97
	v_mul_f32_e32 v23, 0x3fb8aa3b, v19
	v_fma_f32 v25, v19, s44, -v23
	v_rndne_f32_e32 v26, v23
	v_fmac_f32_e32 v25, 0x32a5705f, v19
	v_sub_f32_e32 v23, v23, v26
	v_add_f32_e32 v23, v23, v25
	v_exp_f32_e32 v23, v23
	v_cvt_i32_f32_e32 v25, v26
	v_cmp_ngt_f32_e32 vcc, s33, v19
	v_mov_b32_e32 v26, s59
	v_ldexp_f32 v23, v23, v25
	v_cndmask_b32_e32 v23, 0, v23, vcc
	v_cmp_nlt_f32_e32 vcc, s61, v19
	s_nop 1
	v_cndmask_b32_e32 v19, v81, v23, vcc
	v_add_f32_e32 v23, v19, v0
	v_cndmask_b32_e64 v26, v26, v19, s[0:1]
	v_sub_f32_e32 v19, v31, v97
	v_cndmask_b32_e64 v0, v0, v23, s[0:1]
	v_mul_f32_e32 v23, 0x3fb8aa3b, v19
	v_fma_f32 v25, v19, s44, -v23
	v_rndne_f32_e32 v27, v23
	v_fmac_f32_e32 v25, 0x32a5705f, v19
	v_sub_f32_e32 v23, v23, v27
	v_add_f32_e32 v23, v23, v25
	v_exp_f32_e32 v23, v23
	v_cvt_i32_f32_e32 v25, v27
	v_cmp_ngt_f32_e32 vcc, s33, v19
	v_mov_b32_e32 v31, s59
	v_ldexp_f32 v23, v23, v25
	v_cndmask_b32_e32 v23, 0, v23, vcc
	v_cmp_nlt_f32_e32 vcc, s61, v19
	v_mov_b32_e32 v19, s59
	s_nop 0
	v_cndmask_b32_e32 v23, v81, v23, vcc
	v_add_f32_e32 v25, v23, v0
	v_cndmask_b32_e64 v19, v19, v23, s[30:31]
	v_sub_f32_e32 v23, v32, v97
	v_cndmask_b32_e64 v0, v0, v25, s[30:31]
	v_mul_f32_e32 v25, 0x3fb8aa3b, v23
	v_fma_f32 v27, v23, s44, -v25
	v_rndne_f32_e32 v28, v25
	v_fmac_f32_e32 v27, 0x32a5705f, v23
	v_sub_f32_e32 v25, v25, v28
	v_add_f32_e32 v25, v25, v27
	v_exp_f32_e32 v25, v25
	v_cvt_i32_f32_e32 v27, v28
	v_cmp_ngt_f32_e32 vcc, s33, v23
	v_mov_b32_e32 v28, s59
	v_ldexp_f32 v25, v25, v27
	v_cndmask_b32_e32 v25, 0, v25, vcc
	v_cmp_nlt_f32_e32 vcc, s61, v23
	s_nop 1
	v_cndmask_b32_e32 v23, v81, v25, vcc
	v_add_f32_e32 v25, v23, v0
	v_cndmask_b32_e64 v28, v28, v23, s[34:35]
	v_sub_f32_e32 v23, v33, v97
	v_cndmask_b32_e64 v0, v0, v25, s[34:35]
	v_mul_f32_e32 v25, 0x3fb8aa3b, v23
	v_fma_f32 v27, v23, s44, -v25
	v_rndne_f32_e32 v29, v25
	v_fmac_f32_e32 v27, 0x32a5705f, v23
	v_sub_f32_e32 v25, v25, v29
	v_add_f32_e32 v25, v25, v27
	v_exp_f32_e32 v25, v25
	v_cvt_i32_f32_e32 v27, v29
	v_cmp_ngt_f32_e32 vcc, s33, v23
	v_ldexp_f32 v25, v25, v27
	s_nop 0
	v_cndmask_b32_e32 v25, 0, v25, vcc
	v_cmp_nlt_f32_e32 vcc, s61, v23
	s_nop 1
	v_cndmask_b32_e32 v30, v81, v25, vcc
	v_add_f32_e32 v23, v30, v0
	v_cndmask_b32_e64 v243, v0, v23, s[36:37]
	v_sub_f32_e32 v0, v34, v97
	v_mul_f32_e32 v23, 0x3fb8aa3b, v0
	v_fma_f32 v25, v0, s44, -v23
	v_rndne_f32_e32 v27, v23
	v_fmac_f32_e32 v25, 0x32a5705f, v0
	v_sub_f32_e32 v23, v23, v27
	v_add_f32_e32 v23, v23, v25
	v_exp_f32_e32 v23, v23
	v_cvt_i32_f32_e32 v25, v27
	v_cmp_ngt_f32_e32 vcc, s33, v0
	v_ldexp_f32 v23, v23, v25
	s_nop 0
	v_cndmask_b32_e32 v23, 0, v23, vcc
	v_cmp_nlt_f32_e32 vcc, s61, v0
	s_nop 1
	v_cndmask_b32_e32 v23, v81, v23, vcc
	v_cmp_le_f32_e32 vcc, s58, v0
	s_nop 1
	v_cndmask_b32_e32 v0, 0, v23, vcc
	v_fmac_f32_e32 v243, v21, v0
	v_cvt_f16_f32_e32 v0, v0
	v_mul_u32_u24_e32 v0, 0x10001, v0
	v_pk_mul_f16 v21, v249, v0
	v_pk_mul_f16 v25, v247, v0
	;; [unrolled: 1-line block ×7, first 2 shown]
	v_cndmask_b32_e64 v158, v31, v30, s[36:37]
	v_cndmask_b32_e64 v159, v31, v204, s[28:29]
	;; [unrolled: 1-line block ×4, first 2 shown]
	v_lshl_add_u64 v[30:31], v[148:149], 0, v[102:103]
	v_mov_b32_e32 v161, s45
	v_cndmask_b32_e64 v31, v161, v31, s[6:7]
	v_cndmask_b32_e64 v30, v84, v30, s[6:7]
	flat_load_dwordx4 v[30:33], v[30:31]
	v_pk_mul_f16 v221, v223, v0
	v_pk_mul_f16 v253, v253, v0
	;; [unrolled: 1-line block ×7, first 2 shown]
	v_lshl_add_u64 v[148:149], v[148:149], 0, s[66:67]
	s_waitcnt vmcnt(0) lgkmcnt(0)
	ds_write_b128 v172, v[30:33]
	v_lshl_add_u64 v[30:31], v[150:151], 0, v[102:103]
	v_cndmask_b32_e64 v31, v161, v31, s[8:9]
	v_cndmask_b32_e64 v30, v84, v30, s[8:9]
	flat_load_dwordx4 v[30:33], v[30:31]
	v_lshl_add_u64 v[150:151], v[150:151], 0, s[66:67]
	s_waitcnt vmcnt(0) lgkmcnt(0)
	ds_write_b128 v174, v[30:33]
	v_lshl_add_u64 v[30:31], v[106:107], 0, v[102:103]
	v_cndmask_b32_e64 v31, v161, v31, s[10:11]
	v_cndmask_b32_e64 v30, v84, v30, s[10:11]
	flat_load_dwordx4 v[30:33], v[30:31]
	v_lshl_add_u64 v[106:107], v[106:107], 0, s[66:67]
	s_waitcnt vmcnt(0) lgkmcnt(0)
	ds_write_b128 v176, v[30:33]
	s_waitcnt lgkmcnt(0)
	s_barrier
	ds_read_u16 v0, v183 offset:240
	ds_read_u16 v161, v184
	ds_read_u16 v202, v184 offset:32
	ds_read_u16 v163, v185
	ds_read_u16 v203, v185 offset:32
	v_cvt_f32_f16_e32 v30, v221
	v_cvt_f32_f16_sdwa v31, v221 dst_sel:DWORD dst_unused:UNUSED_PAD src0_sel:WORD_1
	v_cvt_f32_f16_e32 v32, v253
	s_waitcnt lgkmcnt(1)
	v_perm_b32 v165, v163, v161, s62
	ds_read_u16 v161, v183
	ds_read_u16 v204, v183 offset:32
	v_cvt_f32_f16_sdwa v33, v253 dst_sel:DWORD dst_unused:UNUSED_PAD src0_sel:WORD_1
	s_waitcnt lgkmcnt(1)
	v_perm_b32 v164, v0, v161, s62
	v_cvt_pk_f16_f32 v161, v20, v160
	v_cvt_pk_f16_f32 v160, v14, v1
	s_nop 1
	v_mfma_f32_16x16x16_f16 v[30:33], v[164:165], v[160:161], v[30:33]
	ds_read_u16 v163, v183 offset:3840
	ds_read_u16 v164, v183 offset:4080
	;; [unrolled: 1-line block ×4, first 2 shown]
	s_waitcnt lgkmcnt(2)
	v_perm_b32 v164, v164, v163, s62
	s_nop 1
	v_cvt_f16_f32_e32 v0, v30
	v_cvt_f16_f32_e32 v1, v31
	;; [unrolled: 1-line block ×4, first 2 shown]
	s_waitcnt lgkmcnt(0)
	v_perm_b32 v165, v205, v165, s62
	v_cvt_f32_f16_e32 v30, v0
	v_cvt_f32_f16_e32 v31, v1
	;; [unrolled: 1-line block ×4, first 2 shown]
	v_cvt_pk_f16_f32 v163, v18, v162
	v_cvt_pk_f16_f32 v162, v16, v15
	v_cvt_f32_f16_sdwa v205, v34 dst_sel:DWORD dst_unused:UNUSED_PAD src0_sel:WORD_1
	s_nop 0
	v_mfma_f32_16x16x16_f16 v[30:33], v[164:165], v[162:163], v[30:33]
	ds_read_u16 v16, v183 offset:7680
	ds_read_u16 v18, v183 offset:7920
	;; [unrolled: 1-line block ×4, first 2 shown]
	v_cvt_pk_f16_f32 v165, v24, v159
	v_cvt_pk_f16_f32 v159, v28, v158
	s_nop 1
	v_cvt_f16_f32_e32 v14, v32
	v_cvt_f16_f32_e32 v15, v33
	v_cvt_f16_f32_e32 v0, v30
	v_cvt_f16_f32_e32 v1, v31
	v_cvt_f32_f16_e32 v32, v14
	v_cvt_f32_f16_e32 v33, v15
	s_waitcnt lgkmcnt(0)
	v_perm_b32 v15, v164, v20, s62
	v_perm_b32 v14, v18, v16, s62
	v_cvt_f32_f16_e32 v30, v0
	v_cvt_f32_f16_e32 v31, v1
	v_cvt_pk_f16_f32 v164, v22, v17
	ds_read_u16 v18, v183 offset:11520
	ds_read_u16 v20, v183 offset:11760
	;; [unrolled: 1-line block ×4, first 2 shown]
	v_mfma_f32_16x16x16_f16 v[14:17], v[14:15], v[164:165], v[30:33]
	v_cvt_pk_f16_f32 v158, v26, v19
	v_cvt_f32_f16_sdwa v19, v223 dst_sel:DWORD dst_unused:UNUSED_PAD src0_sel:WORD_1
	s_waitcnt lgkmcnt(0)
	v_perm_b32 v31, v24, v22, s62
	v_perm_b32 v30, v20, v18, s62
	s_nop 2
	v_cvt_f16_f32_e32 v0, v14
	v_cvt_f16_f32_e32 v1, v15
	v_cvt_f16_f32_e32 v16, v16
	v_cvt_f16_f32_e32 v17, v17
	v_cvt_f32_f16_e32 v14, v0
	ds_read_u16 v0, v183 offset:272
	v_cvt_f32_f16_e32 v15, v1
	v_cvt_f32_f16_e32 v16, v16
	;; [unrolled: 1-line block ×5, first 2 shown]
	v_mfma_f32_16x16x16_f16 v[14:17], v[30:31], v[158:159], v[14:17]
	v_perm_b32 v31, v203, v202, s62
	s_waitcnt lgkmcnt(0)
	v_perm_b32 v30, v0, v204, s62
	v_cvt_f32_f16_sdwa v21, v21 dst_sel:DWORD dst_unused:UNUSED_PAD src0_sel:WORD_1
	ds_read_u16 v22, v183 offset:3872
	ds_read_u16 v24, v183 offset:4112
	;; [unrolled: 1-line block ×4, first 2 shown]
	v_mfma_f32_16x16x16_f16 v[18:21], v[30:31], v[160:161], v[18:21]
	s_waitcnt lgkmcnt(2)
	v_perm_b32 v30, v24, v22, s62
	s_waitcnt lgkmcnt(0)
	v_perm_b32 v31, v28, v26, s62
	ds_read_u16 v22, v183 offset:7712
	ds_read_u16 v24, v183 offset:7952
	;; [unrolled: 1-line block ×4, first 2 shown]
	v_cvt_f16_f32_e32 v0, v18
	v_cvt_f16_f32_e32 v1, v19
	;; [unrolled: 1-line block ×4, first 2 shown]
	v_cvt_f32_f16_e32 v18, v0
	v_cvt_f32_f16_e32 v19, v1
	;; [unrolled: 1-line block ×5, first 2 shown]
	v_cvt_f32_f16_sdwa v33, v23 dst_sel:DWORD dst_unused:UNUSED_PAD src0_sel:WORD_1
	v_mfma_f32_16x16x16_f16 v[18:21], v[30:31], v[162:163], v[18:21]
	s_waitcnt lgkmcnt(0)
	v_perm_b32 v31, v28, v26, s62
	v_perm_b32 v30, v24, v22, s62
	ds_read_u16 v22, v183 offset:11552
	ds_read_u16 v24, v183 offset:11792
	;; [unrolled: 1-line block ×4, first 2 shown]
	s_nop 0
	v_cvt_f16_f32_e32 v0, v18
	v_cvt_f16_f32_e32 v1, v19
	;; [unrolled: 1-line block ×4, first 2 shown]
	v_cvt_f32_f16_e32 v18, v0
	v_cvt_f32_f16_e32 v19, v1
	;; [unrolled: 1-line block ×5, first 2 shown]
	v_cvt_pk_f16_f32 v253, v16, v17
	v_mfma_f32_16x16x16_f16 v[18:21], v[30:31], v[164:165], v[18:21]
	s_waitcnt lgkmcnt(2)
	v_perm_b32 v30, v24, v22, s62
	s_waitcnt lgkmcnt(0)
	v_perm_b32 v31, v28, v26, s62
	s_nop 3
	v_cvt_f16_f32_e32 v0, v18
	v_cvt_f16_f32_e32 v1, v19
	;; [unrolled: 1-line block ×4, first 2 shown]
	v_cvt_f32_f16_e32 v18, v0
	v_cvt_f32_f16_e32 v19, v1
	ds_read_u16 v0, v183 offset:64
	ds_read_u16 v1, v183 offset:304
	;; [unrolled: 1-line block ×4, first 2 shown]
	v_cvt_f32_f16_e32 v20, v20
	v_cvt_f32_f16_e32 v21, v21
	s_waitcnt lgkmcnt(0)
	v_perm_b32 v23, v24, v22, s62
	v_perm_b32 v22, v1, v0, s62
	v_mfma_f32_16x16x16_f16 v[18:21], v[30:31], v[158:159], v[18:21]
	v_cvt_f32_f16_e32 v30, v25
	v_cvt_f32_f16_sdwa v31, v25 dst_sel:DWORD dst_unused:UNUSED_PAD src0_sel:WORD_1
	s_nop 1
	v_mfma_f32_16x16x16_f16 v[22:25], v[22:23], v[160:161], v[30:33]
	ds_read_u16 v26, v183 offset:3904
	ds_read_u16 v28, v183 offset:4144
	s_nop 0
	ds_read_u16 v30, v184 offset:3904
	ds_read_u16 v31, v185 offset:3904
	v_cvt_pk_f16_f32 v251, v18, v19
	s_nop 1
	v_cvt_f16_f32_e32 v0, v22
	v_cvt_f16_f32_e32 v1, v23
	;; [unrolled: 1-line block ×4, first 2 shown]
	s_waitcnt lgkmcnt(0)
	v_perm_b32 v31, v31, v30, s62
	v_perm_b32 v30, v28, v26, s62
	v_cvt_f32_f16_e32 v22, v0
	v_cvt_f32_f16_e32 v23, v1
	;; [unrolled: 1-line block ×4, first 2 shown]
	s_nop 1
	v_mfma_f32_16x16x16_f16 v[22:25], v[30:31], v[162:163], v[22:25]
	ds_read_u16 v26, v183 offset:7744
	ds_read_u16 v28, v183 offset:7984
	;; [unrolled: 1-line block ×4, first 2 shown]
	s_nop 3
	v_cvt_f16_f32_e32 v0, v22
	v_cvt_f16_f32_e32 v1, v23
	;; [unrolled: 1-line block ×4, first 2 shown]
	s_waitcnt lgkmcnt(0)
	v_perm_b32 v31, v31, v30, s62
	v_perm_b32 v30, v28, v26, s62
	v_cvt_f32_f16_e32 v22, v0
	v_cvt_f32_f16_e32 v23, v1
	;; [unrolled: 1-line block ×4, first 2 shown]
	s_nop 1
	v_mfma_f32_16x16x16_f16 v[22:25], v[30:31], v[164:165], v[22:25]
	ds_read_u16 v26, v183 offset:11584
	ds_read_u16 v28, v183 offset:11824
	;; [unrolled: 1-line block ×4, first 2 shown]
	s_nop 3
	v_cvt_f16_f32_e32 v0, v22
	v_cvt_f16_f32_e32 v1, v23
	;; [unrolled: 1-line block ×4, first 2 shown]
	v_cvt_f32_f16_e32 v22, v0
	v_cvt_f32_f16_e32 v23, v1
	s_waitcnt lgkmcnt(0)
	v_perm_b32 v31, v31, v30, s62
	v_perm_b32 v30, v28, v26, s62
	ds_read_u16 v0, v183 offset:96
	ds_read_u16 v1, v183 offset:336
	;; [unrolled: 1-line block ×4, first 2 shown]
	v_cvt_f32_f16_e32 v24, v24
	v_cvt_f32_f16_e32 v25, v25
	;; [unrolled: 1-line block ×3, first 2 shown]
	v_cvt_f32_f16_sdwa v29, v29 dst_sel:DWORD dst_unused:UNUSED_PAD src0_sel:WORD_1
	v_mfma_f32_16x16x16_f16 v[22:25], v[30:31], v[158:159], v[22:25]
	v_cvt_f32_f16_e32 v30, v27
	v_cvt_f32_f16_sdwa v31, v27 dst_sel:DWORD dst_unused:UNUSED_PAD src0_sel:WORD_1
	s_waitcnt lgkmcnt(0)
	v_perm_b32 v27, v32, v26, s62
	v_perm_b32 v26, v1, v0, s62
	s_nop 1
	v_mfma_f32_16x16x16_f16 v[26:29], v[26:27], v[160:161], v[28:31]
	s_nop 2
	ds_read_u16 v30, v183 offset:3936
	ds_read_u16 v32, v183 offset:4176
	;; [unrolled: 1-line block ×4, first 2 shown]
	s_nop 0
	v_cvt_f16_f32_e32 v0, v26
	v_cvt_f16_f32_e32 v1, v27
	;; [unrolled: 1-line block ×4, first 2 shown]
	s_waitcnt lgkmcnt(0)
	v_perm_b32 v31, v33, v31, s62
	v_perm_b32 v30, v32, v30, s62
	v_cvt_f32_f16_e32 v26, v0
	v_cvt_f32_f16_e32 v27, v1
	;; [unrolled: 1-line block ×4, first 2 shown]
	s_nop 1
	v_mfma_f32_16x16x16_f16 v[26:29], v[30:31], v[162:163], v[26:29]
	ds_read_u16 v30, v183 offset:7776
	ds_read_u16 v32, v183 offset:8016
	ds_read_u16 v31, v184 offset:7776
	ds_read_u16 v33, v185 offset:7776
	s_nop 3
	v_cvt_f16_f32_e32 v0, v26
	v_cvt_f16_f32_e32 v1, v27
	;; [unrolled: 1-line block ×4, first 2 shown]
	s_waitcnt lgkmcnt(0)
	v_perm_b32 v31, v33, v31, s62
	v_perm_b32 v30, v32, v30, s62
	v_cvt_f32_f16_e32 v26, v0
	v_cvt_f32_f16_e32 v27, v1
	;; [unrolled: 1-line block ×4, first 2 shown]
	s_nop 1
	v_mfma_f32_16x16x16_f16 v[26:29], v[30:31], v[164:165], v[26:29]
	ds_read_u16 v30, v183 offset:11616
	ds_read_u16 v32, v183 offset:11856
	;; [unrolled: 1-line block ×4, first 2 shown]
	s_nop 3
	v_cvt_f16_f32_e32 v0, v26
	v_cvt_f16_f32_e32 v1, v27
	;; [unrolled: 1-line block ×4, first 2 shown]
	v_cvt_f32_f16_e32 v26, v0
	v_cvt_f32_f16_e32 v27, v1
	s_waitcnt lgkmcnt(0)
	v_perm_b32 v31, v33, v31, s62
	v_perm_b32 v30, v32, v30, s62
	ds_read_u16 v0, v183 offset:128
	ds_read_u16 v1, v183 offset:368
	;; [unrolled: 1-line block ×4, first 2 shown]
	v_cvt_f32_f16_e32 v28, v28
	v_cvt_f32_f16_e32 v29, v29
	;; [unrolled: 1-line block ×3, first 2 shown]
	v_cvt_f32_f16_sdwa v33, v36 dst_sel:DWORD dst_unused:UNUSED_PAD src0_sel:WORD_1
	v_mfma_f32_16x16x16_f16 v[26:29], v[30:31], v[158:159], v[26:29]
	v_cvt_f32_f16_e32 v30, v37
	v_cvt_f32_f16_sdwa v31, v37 dst_sel:DWORD dst_unused:UNUSED_PAD src0_sel:WORD_1
	s_waitcnt lgkmcnt(0)
	v_perm_b32 v37, v203, v202, s62
	v_perm_b32 v36, v1, v0, s62
	s_nop 1
	v_mfma_f32_16x16x16_f16 v[30:33], v[36:37], v[160:161], v[30:33]
	ds_read_u16 v36, v183 offset:3968
	ds_read_u16 v202, v183 offset:4208
	ds_read_u16 v37, v184 offset:3968
	ds_read_u16 v203, v185 offset:3968
	s_nop 3
	v_cvt_f16_f32_e32 v0, v30
	v_cvt_f16_f32_e32 v1, v31
	v_cvt_f16_f32_e32 v32, v32
	v_cvt_f16_f32_e32 v33, v33
	s_waitcnt lgkmcnt(0)
	v_perm_b32 v37, v203, v37, s62
	v_perm_b32 v36, v202, v36, s62
	v_cvt_f32_f16_e32 v30, v0
	v_cvt_f32_f16_e32 v31, v1
	v_cvt_f32_f16_e32 v32, v32
	v_cvt_f32_f16_e32 v33, v33
	s_nop 1
	v_mfma_f32_16x16x16_f16 v[30:33], v[36:37], v[162:163], v[30:33]
	ds_read_u16 v36, v183 offset:7808
	ds_read_u16 v202, v183 offset:8048
	ds_read_u16 v37, v184 offset:7808
	ds_read_u16 v203, v185 offset:7808
	s_nop 3
	v_cvt_f16_f32_e32 v0, v30
	v_cvt_f16_f32_e32 v1, v31
	v_cvt_f16_f32_e32 v32, v32
	v_cvt_f16_f32_e32 v33, v33
	s_waitcnt lgkmcnt(0)
	v_perm_b32 v37, v203, v37, s62
	v_perm_b32 v36, v202, v36, s62
	v_cvt_f32_f16_e32 v30, v0
	v_cvt_f32_f16_e32 v31, v1
	v_cvt_f32_f16_e32 v32, v32
	v_cvt_f32_f16_e32 v33, v33
	;; [unrolled: 18-line block ×3, first 2 shown]
	v_cvt_f32_f16_e32 v202, v35
	v_cvt_f32_f16_sdwa v203, v35 dst_sel:DWORD dst_unused:UNUSED_PAD src0_sel:WORD_1
	v_mfma_f32_16x16x16_f16 v[30:33], v[36:37], v[158:159], v[30:33]
	ds_read_u16 v0, v183 offset:160
	ds_read_u16 v1, v183 offset:400
	;; [unrolled: 1-line block ×4, first 2 shown]
	s_waitcnt lgkmcnt(2)
	v_perm_b32 v34, v1, v0, s62
	s_waitcnt lgkmcnt(0)
	v_perm_b32 v35, v37, v36, s62
	s_nop 1
	v_mfma_f32_16x16x16_f16 v[34:37], v[34:35], v[160:161], v[202:205]
	s_nop 2
	ds_read_u16 v202, v183 offset:4000
	ds_read_u16 v204, v183 offset:4240
	;; [unrolled: 1-line block ×4, first 2 shown]
	s_nop 0
	v_cvt_f16_f32_e32 v0, v34
	v_cvt_f16_f32_e32 v1, v35
	;; [unrolled: 1-line block ×4, first 2 shown]
	s_waitcnt lgkmcnt(0)
	v_perm_b32 v203, v205, v203, s62
	v_perm_b32 v202, v204, v202, s62
	v_cvt_f32_f16_e32 v34, v0
	v_cvt_f32_f16_e32 v35, v1
	;; [unrolled: 1-line block ×4, first 2 shown]
	s_nop 1
	v_mfma_f32_16x16x16_f16 v[34:37], v[202:203], v[162:163], v[34:37]
	ds_read_u16 v202, v183 offset:7840
	ds_read_u16 v204, v183 offset:8080
	;; [unrolled: 1-line block ×4, first 2 shown]
	s_nop 3
	v_cvt_f16_f32_e32 v0, v34
	v_cvt_f16_f32_e32 v1, v35
	;; [unrolled: 1-line block ×4, first 2 shown]
	s_waitcnt lgkmcnt(0)
	v_perm_b32 v203, v205, v203, s62
	v_perm_b32 v202, v204, v202, s62
	v_cvt_f32_f16_e32 v34, v0
	v_cvt_f32_f16_e32 v35, v1
	;; [unrolled: 1-line block ×4, first 2 shown]
	s_nop 1
	v_mfma_f32_16x16x16_f16 v[34:37], v[202:203], v[164:165], v[34:37]
	ds_read_u16 v202, v183 offset:11680
	ds_read_u16 v204, v183 offset:11920
	;; [unrolled: 1-line block ×4, first 2 shown]
	s_nop 3
	v_cvt_f16_f32_e32 v0, v34
	v_cvt_f16_f32_e32 v1, v35
	;; [unrolled: 1-line block ×4, first 2 shown]
	v_cvt_f32_f16_e32 v34, v0
	v_cvt_f32_f16_e32 v35, v1
	ds_read_u16 v0, v183 offset:192
	ds_read_u16 v221, v183 offset:432
	;; [unrolled: 1-line block ×4, first 2 shown]
	s_waitcnt lgkmcnt(4)
	v_perm_b32 v203, v205, v203, s62
	v_perm_b32 v202, v204, v202, s62
	v_cvt_f32_f16_e32 v36, v36
	v_cvt_f32_f16_e32 v37, v37
	s_waitcnt lgkmcnt(0)
	v_perm_b32 v1, v223, v1, s62
	v_perm_b32 v0, v221, v0, s62
	v_mfma_f32_16x16x16_f16 v[34:37], v[202:203], v[158:159], v[34:37]
	v_cvt_f32_f16_e32 v202, v249
	v_cvt_f32_f16_sdwa v203, v249 dst_sel:DWORD dst_unused:UNUSED_PAD src0_sel:WORD_1
	v_cvt_f32_f16_e32 v204, v247
	v_cvt_f32_f16_sdwa v205, v247 dst_sel:DWORD dst_unused:UNUSED_PAD src0_sel:WORD_1
	ds_read_u16 v221, v183 offset:4032
	ds_read_u16 v223, v183 offset:4272
	;; [unrolled: 1-line block ×4, first 2 shown]
	v_mfma_f32_16x16x16_f16 v[202:205], v[0:1], v[160:161], v[202:205]
	s_nop 7
	v_cvt_f16_f32_e32 v0, v202
	v_cvt_f16_f32_e32 v1, v203
	;; [unrolled: 1-line block ×4, first 2 shown]
	v_cvt_f32_f16_e32 v202, v0
	v_cvt_f32_f16_e32 v203, v1
	s_waitcnt lgkmcnt(0)
	v_perm_b32 v1, v249, v247, s62
	v_perm_b32 v0, v223, v221, s62
	v_cvt_f32_f16_e32 v204, v160
	v_cvt_f32_f16_e32 v205, v161
	v_cvt_pk_f16_f32 v247, v22, v23
	v_cvt_pk_f16_f32 v249, v20, v21
	v_mfma_f32_16x16x16_f16 v[160:163], v[0:1], v[162:163], v[202:205]
	s_nop 2
	ds_read_u16 v202, v183 offset:7872
	ds_read_u16 v203, v183 offset:8112
	;; [unrolled: 1-line block ×4, first 2 shown]
	v_cvt_pk_f16_f32 v223, v14, v15
	v_cvt_f16_f32_e32 v0, v160
	v_cvt_f16_f32_e32 v1, v161
	;; [unrolled: 1-line block ×4, first 2 shown]
	v_cvt_f32_f16_e32 v160, v0
	v_cvt_f32_f16_e32 v161, v1
	s_waitcnt lgkmcnt(0)
	v_perm_b32 v1, v205, v204, s62
	v_perm_b32 v0, v203, v202, s62
	v_cvt_f32_f16_e32 v162, v162
	v_cvt_f32_f16_e32 v163, v163
	s_nop 1
	v_mfma_f32_16x16x16_f16 v[162:165], v[0:1], v[164:165], v[160:163]
	s_nop 7
	v_cvt_f16_f32_e32 v161, v162
	v_cvt_f16_f32_e32 v162, v163
	;; [unrolled: 1-line block ×4, first 2 shown]
	ds_read_u16 v1, v183 offset:11712
	ds_read_u16 v160, v183 offset:11952
	;; [unrolled: 1-line block ×4, first 2 shown]
	v_cvt_f32_f16_e32 v202, v161
	v_cvt_f32_f16_e32 v203, v162
	s_waitcnt lgkmcnt(2)
	v_perm_b32 v160, v160, v1, s62
	v_cvt_f32_f16_e32 v204, v163
	s_waitcnt lgkmcnt(0)
	v_perm_b32 v161, v221, v165, s62
	v_cvt_f32_f16_e32 v205, v164
	v_cvt_pk_f16_f32 v164, v26, v27
	v_cvt_pk_f16_f32 v163, v28, v29
	v_mfma_f32_16x16x16_f16 v[202:205], v[160:161], v[158:159], v[202:205]
	v_cvt_pk_f16_f32 v158, v34, v35
	v_cvt_pk_f16_f32 v159, v36, v37
	v_cvt_pk_f16_f32 v37, v30, v31
	v_cvt_pk_f16_f32 v160, v32, v33
	v_cvt_pk_f16_f32 v165, v24, v25
	s_nop 2
	v_cvt_pk_f16_f32 v162, v202, v203
	v_cvt_pk_f16_f32 v161, v204, v205
	s_barrier
	s_cbranch_scc0 .LBB19_268
; %bb.266:                              ;   in Loop: Header=BB19_259 Depth=2
	v_mov_b32_e32 v21, v243
	v_mov_b32_e32 v34, v97
	v_cndmask_b32_e64 v0, 0, 1, s[68:69]
	v_cmp_ne_u32_e64 s[70:71], 1, v0
	s_andn2_b64 vcc, exec, s[68:69]
	s_cbranch_vccz .LBB19_250
	s_branch .LBB19_259
.LBB19_267:                             ;   in Loop: Header=BB19_13 Depth=1
	v_mov_b32_e32 v97, 0xfeffffff
	s_mov_b32 s58, 0
	v_mov_b32_e32 v243, 0
	v_mov_b32_e32 v161, 0
	;; [unrolled: 1-line block ×15, first 2 shown]
	s_branch .LBB19_269
.LBB19_268:                             ;   in Loop: Header=BB19_13 Depth=1
	s_lshl_b32 s58, s50, 6
.LBB19_269:                             ;   in Loop: Header=BB19_13 Depth=1
	v_readlane_b32 s38, v254, 4
	v_cmp_eq_u64_e32 vcc, 0, v[98:99]
	s_sub_i32 s63, s38, s58
	v_cmp_ne_u64_e64 s[74:75], 0, v[98:99]
	v_readlane_b32 s39, v254, 5
	s_cbranch_vccnz .LBB19_287
; %bb.270:                              ;   in Loop: Header=BB19_13 Depth=1
	v_cmp_le_i32_e32 vcc, s63, v42
	s_and_saveexec_b64 s[38:39], vcc
	s_xor_b64 s[38:39], exec, s[38:39]
	s_cbranch_execz .LBB19_272
; %bb.271:                              ;   in Loop: Header=BB19_13 Depth=1
	ds_write_b16 v169, v45 offset:15360
	ds_write_b16 v242, v45 offset:15360
.LBB19_272:                             ;   in Loop: Header=BB19_13 Depth=1
	s_or_saveexec_b64 s[38:39], s[38:39]
	s_lshl_b64 s[50:51], s[58:59], 1
	v_lshl_add_u64 v[0:1], v[98:99], 0, s[50:51]
	v_lshlrev_b32_e32 v44, 1, v42
	v_lshl_add_u64 v[14:15], v[0:1], 0, v[44:45]
	v_mov_b32_e32 v1, 0
	v_mov_b32_e32 v16, 0
	s_xor_b64 exec, exec, s[38:39]
	s_cbranch_execz .LBB19_274
; %bb.273:                              ;   in Loop: Header=BB19_13 Depth=1
	v_add_u32_e32 v0, v87, v168
	v_mul_hi_u32 v1, s48, v0
	v_add_u32_e32 v1, v0, v1
	v_lshrrev_b32_e32 v1, s49, v1
	v_mul_lo_u32 v1, v1, s60
	v_readlane_b32 s50, v254, 54
	v_sub_u32_e32 v0, v0, v1
	v_readlane_b32 s51, v254, 55
	s_mov_b32 s52, s50
	v_mad_i64_i32 v[0:1], s[50:51], v0, s52, 0
	v_lshl_add_u64 v[0:1], v[0:1], 1, v[14:15]
	global_load_ushort v16, v[0:1], off
	v_add_u32_e32 v0, 4, v168
	v_add_u32_e32 v0, v87, v0
	v_mul_hi_u32 v1, s48, v0
	v_add_u32_e32 v1, v0, v1
	v_lshrrev_b32_e32 v1, s49, v1
	v_mul_lo_u32 v1, v1, s60
	v_sub_u32_e32 v0, v0, v1
	v_mad_i64_i32 v[0:1], s[50:51], v0, s52, 0
	v_lshl_add_u64 v[0:1], v[0:1], 1, v[14:15]
	global_load_ushort v0, v[0:1], off
	s_waitcnt vmcnt(1)
	ds_write_b16 v169, v16 offset:15360
	s_waitcnt vmcnt(0)
	ds_write_b16 v242, v0 offset:15360
	v_add_u32_e32 v0, 8, v168
	v_add_u32_e32 v0, v87, v0
	v_mul_hi_u32 v1, s48, v0
	v_add_u32_e32 v1, v0, v1
	v_lshrrev_b32_e32 v1, s49, v1
	v_mul_lo_u32 v1, v1, s60
	v_sub_u32_e32 v0, v0, v1
	v_mad_i64_i32 v[0:1], s[50:51], v0, s52, 0
	v_lshl_add_u64 v[0:1], v[0:1], 1, v[14:15]
	global_load_ushort v1, v[0:1], off
	v_add_u32_e32 v0, 12, v168
	v_add_u32_e32 v0, v87, v0
	v_mul_hi_u32 v16, s48, v0
	v_add_u32_e32 v16, v0, v16
	v_lshrrev_b32_e32 v16, s49, v16
	v_mul_lo_u32 v16, v16, s60
	v_sub_u32_e32 v0, v0, v16
	v_mad_i64_i32 v[16:17], s[50:51], v0, s52, 0
	v_lshl_add_u64 v[16:17], v[16:17], 1, v[14:15]
	global_load_ushort v16, v[16:17], off
.LBB19_274:                             ;   in Loop: Header=BB19_13 Depth=1
	s_or_b64 exec, exec, s[38:39]
	s_waitcnt vmcnt(1)
	ds_write_b16 v244, v1 offset:15360
	s_waitcnt vmcnt(0)
	ds_write_b16 v246, v16 offset:15360
	s_and_saveexec_b64 s[38:39], vcc
	s_xor_b64 s[38:39], exec, s[38:39]
	s_cbranch_execz .LBB19_276
; %bb.275:                              ;   in Loop: Header=BB19_13 Depth=1
	ds_write_b16 v248, v45 offset:15360
	ds_write_b16 v250, v45 offset:15360
.LBB19_276:                             ;   in Loop: Header=BB19_13 Depth=1
	s_or_saveexec_b64 s[38:39], s[38:39]
	v_mov_b32_e32 v1, 0
	v_mov_b32_e32 v16, 0
	s_xor_b64 exec, exec, s[38:39]
	s_cbranch_execz .LBB19_278
; %bb.277:                              ;   in Loop: Header=BB19_13 Depth=1
	v_add_u32_e32 v0, 16, v168
	v_add_u32_e32 v0, v87, v0
	v_mul_hi_u32 v1, s48, v0
	v_add_u32_e32 v1, v0, v1
	v_lshrrev_b32_e32 v1, s49, v1
	v_mul_lo_u32 v1, v1, s60
	v_readlane_b32 s50, v254, 54
	v_sub_u32_e32 v0, v0, v1
	v_readlane_b32 s51, v254, 55
	s_mov_b32 s52, s50
	v_mad_i64_i32 v[0:1], s[50:51], v0, s52, 0
	v_lshl_add_u64 v[0:1], v[0:1], 1, v[14:15]
	global_load_ushort v16, v[0:1], off
	v_add_u32_e32 v0, 20, v168
	v_add_u32_e32 v0, v87, v0
	v_mul_hi_u32 v1, s48, v0
	v_add_u32_e32 v1, v0, v1
	v_lshrrev_b32_e32 v1, s49, v1
	v_mul_lo_u32 v1, v1, s60
	v_sub_u32_e32 v0, v0, v1
	v_mad_i64_i32 v[0:1], s[50:51], v0, s52, 0
	v_lshl_add_u64 v[0:1], v[0:1], 1, v[14:15]
	global_load_ushort v0, v[0:1], off
	s_waitcnt vmcnt(1)
	ds_write_b16 v248, v16 offset:15360
	s_waitcnt vmcnt(0)
	ds_write_b16 v250, v0 offset:15360
	v_add_u32_e32 v0, 24, v168
	v_add_u32_e32 v0, v87, v0
	v_mul_hi_u32 v1, s48, v0
	v_add_u32_e32 v1, v0, v1
	v_lshrrev_b32_e32 v1, s49, v1
	v_mul_lo_u32 v1, v1, s60
	v_sub_u32_e32 v0, v0, v1
	v_mad_i64_i32 v[0:1], s[50:51], v0, s52, 0
	v_lshl_add_u64 v[0:1], v[0:1], 1, v[14:15]
	global_load_ushort v1, v[0:1], off
	v_add_u32_e32 v0, 28, v168
	v_add_u32_e32 v0, v87, v0
	v_mul_hi_u32 v16, s48, v0
	v_add_u32_e32 v16, v0, v16
	v_lshrrev_b32_e32 v16, s49, v16
	v_mul_lo_u32 v16, v16, s60
	v_sub_u32_e32 v0, v0, v16
	v_mad_i64_i32 v[16:17], s[50:51], v0, s52, 0
	v_lshl_add_u64 v[16:17], v[16:17], 1, v[14:15]
	global_load_ushort v16, v[16:17], off
.LBB19_278:                             ;   in Loop: Header=BB19_13 Depth=1
	s_or_b64 exec, exec, s[38:39]
	s_waitcnt vmcnt(1)
	ds_write_b16 v252, v1 offset:15360
	s_waitcnt vmcnt(0)
	ds_write_b16 v222, v16 offset:15360
	s_and_saveexec_b64 s[38:39], vcc
	s_xor_b64 s[38:39], exec, s[38:39]
	s_cbranch_execz .LBB19_280
; %bb.279:                              ;   in Loop: Header=BB19_13 Depth=1
	ds_write_b16 v219, v45 offset:15360
	ds_write_b16 v235, v45 offset:15360
.LBB19_280:                             ;   in Loop: Header=BB19_13 Depth=1
	s_or_saveexec_b64 s[38:39], s[38:39]
	v_mov_b32_e32 v1, 0
	v_mov_b32_e32 v16, 0
	s_xor_b64 exec, exec, s[38:39]
	s_cbranch_execz .LBB19_282
; %bb.281:                              ;   in Loop: Header=BB19_13 Depth=1
	v_add_u32_e32 v0, 32, v168
	v_add_u32_e32 v0, v87, v0
	v_mul_hi_u32 v1, s48, v0
	v_add_u32_e32 v1, v0, v1
	v_lshrrev_b32_e32 v1, s49, v1
	v_mul_lo_u32 v1, v1, s60
	v_readlane_b32 s50, v254, 54
	v_sub_u32_e32 v0, v0, v1
	v_readlane_b32 s51, v254, 55
	s_mov_b32 s52, s50
	v_mad_i64_i32 v[0:1], s[50:51], v0, s52, 0
	v_lshl_add_u64 v[0:1], v[0:1], 1, v[14:15]
	global_load_ushort v16, v[0:1], off
	v_add_u32_e32 v0, 36, v168
	v_add_u32_e32 v0, v87, v0
	v_mul_hi_u32 v1, s48, v0
	v_add_u32_e32 v1, v0, v1
	v_lshrrev_b32_e32 v1, s49, v1
	v_mul_lo_u32 v1, v1, s60
	v_sub_u32_e32 v0, v0, v1
	v_mad_i64_i32 v[0:1], s[50:51], v0, s52, 0
	v_lshl_add_u64 v[0:1], v[0:1], 1, v[14:15]
	global_load_ushort v0, v[0:1], off
	s_waitcnt vmcnt(1)
	ds_write_b16 v219, v16 offset:15360
	s_waitcnt vmcnt(0)
	ds_write_b16 v235, v0 offset:15360
	v_add_u32_e32 v0, 40, v168
	v_add_u32_e32 v0, v87, v0
	v_mul_hi_u32 v1, s48, v0
	v_add_u32_e32 v1, v0, v1
	v_lshrrev_b32_e32 v1, s49, v1
	v_mul_lo_u32 v1, v1, s60
	v_sub_u32_e32 v0, v0, v1
	v_mad_i64_i32 v[0:1], s[50:51], v0, s52, 0
	v_lshl_add_u64 v[0:1], v[0:1], 1, v[14:15]
	global_load_ushort v1, v[0:1], off
	v_add_u32_e32 v0, 44, v168
	v_add_u32_e32 v0, v87, v0
	v_mul_hi_u32 v16, s48, v0
	v_add_u32_e32 v16, v0, v16
	v_lshrrev_b32_e32 v16, s49, v16
	v_mul_lo_u32 v16, v16, s60
	v_sub_u32_e32 v0, v0, v16
	v_mad_i64_i32 v[16:17], s[50:51], v0, s52, 0
	v_lshl_add_u64 v[16:17], v[16:17], 1, v[14:15]
	global_load_ushort v16, v[16:17], off
.LBB19_282:                             ;   in Loop: Header=BB19_13 Depth=1
	s_or_b64 exec, exec, s[38:39]
	s_waitcnt vmcnt(1)
	ds_write_b16 v216, v1 offset:15360
	s_waitcnt vmcnt(0)
	ds_write_b16 v234, v16 offset:15360
	s_and_saveexec_b64 s[38:39], vcc
	s_xor_b64 s[38:39], exec, s[38:39]
	s_cbranch_execz .LBB19_284
; %bb.283:                              ;   in Loop: Header=BB19_13 Depth=1
	ds_write_b16 v217, v45 offset:15360
	ds_write_b16 v209, v45 offset:15360
                                        ; implicit-def: $vgpr87
                                        ; implicit-def: $vgpr14_vgpr15
.LBB19_284:                             ;   in Loop: Header=BB19_13 Depth=1
	s_or_saveexec_b64 s[38:39], s[38:39]
	v_mov_b32_e32 v1, 0
	v_mov_b32_e32 v16, 0
	s_xor_b64 exec, exec, s[38:39]
	s_cbranch_execz .LBB19_286
; %bb.285:                              ;   in Loop: Header=BB19_13 Depth=1
	v_add_u32_e32 v0, 48, v168
	v_add_u32_e32 v0, v87, v0
	v_mul_hi_u32 v1, s48, v0
	v_add_u32_e32 v1, v0, v1
	v_lshrrev_b32_e32 v1, s49, v1
	v_mul_lo_u32 v1, v1, s60
	v_readlane_b32 s50, v254, 54
	v_sub_u32_e32 v0, v0, v1
	v_readlane_b32 s51, v254, 55
	s_mov_b32 s52, s50
	v_mad_i64_i32 v[0:1], s[50:51], v0, s52, 0
	v_lshl_add_u64 v[0:1], v[0:1], 1, v[14:15]
	global_load_ushort v16, v[0:1], off
	v_add_u32_e32 v0, 52, v168
	v_add_u32_e32 v0, v87, v0
	v_mul_hi_u32 v1, s48, v0
	v_add_u32_e32 v1, v0, v1
	v_lshrrev_b32_e32 v1, s49, v1
	v_mul_lo_u32 v1, v1, s60
	v_sub_u32_e32 v0, v0, v1
	v_mad_i64_i32 v[0:1], s[50:51], v0, s52, 0
	v_lshl_add_u64 v[0:1], v[0:1], 1, v[14:15]
	global_load_ushort v0, v[0:1], off
	s_waitcnt vmcnt(1)
	ds_write_b16 v217, v16 offset:15360
	s_waitcnt vmcnt(0)
	ds_write_b16 v209, v0 offset:15360
	v_add_u32_e32 v0, 56, v168
	v_add_u32_e32 v0, v87, v0
	v_mul_hi_u32 v1, s48, v0
	v_add_u32_e32 v1, v0, v1
	v_lshrrev_b32_e32 v1, s49, v1
	v_mul_lo_u32 v1, v1, s60
	v_sub_u32_e32 v0, v0, v1
	v_mad_i64_i32 v[0:1], s[50:51], v0, s52, 0
	v_lshl_add_u64 v[0:1], v[0:1], 1, v[14:15]
	global_load_ushort v1, v[0:1], off
	v_add_u32_e32 v0, 60, v168
	v_add_u32_e32 v0, v87, v0
	v_mul_hi_u32 v16, s48, v0
	v_add_u32_e32 v16, v0, v16
	v_lshrrev_b32_e32 v16, s49, v16
	v_mul_lo_u32 v16, v16, s60
	v_sub_u32_e32 v0, v0, v16
	v_mad_i64_i32 v[16:17], s[50:51], v0, s52, 0
	v_lshl_add_u64 v[14:15], v[16:17], 1, v[14:15]
	global_load_ushort v16, v[14:15], off
.LBB19_286:                             ;   in Loop: Header=BB19_13 Depth=1
	s_or_b64 exec, exec, s[38:39]
	s_waitcnt vmcnt(1)
	ds_write_b16 v208, v1 offset:15360
	s_waitcnt vmcnt(0)
	ds_write_b16 v215, v16 offset:15360
.LBB19_287:                             ;   in Loop: Header=BB19_13 Depth=1
	s_mul_i32 s38, s58, s43
	s_mul_hi_u32 s39, s58, s42
	s_add_i32 s39, s39, s38
	s_mul_i32 s38, s58, s42
	s_lshl_b64 s[38:39], s[38:39], 2
	v_lshl_add_u64 v[14:15], v[100:101], 0, s[38:39]
	scratch_store_dwordx4 off, v[230:233], off
	s_and_saveexec_b64 s[38:39], s[4:5]
	s_cbranch_execz .LBB19_289
; %bb.288:                              ;   in Loop: Header=BB19_13 Depth=1
	v_lshl_add_u64 v[0:1], v[58:59], 2, v[14:15]
	v_lshlrev_b32_e32 v44, 2, v60
	v_lshl_add_u64 v[0:1], v[0:1], 0, v[44:45]
	s_mov_b64 s[50:51], 0xc0
	v_lshl_add_u64 v[0:1], v[0:1], 0, s[50:51]
	v_mov_b32_e32 v16, s45
	v_cmp_gt_i32_e32 vcc, s63, v170
	s_nop 1
	v_cndmask_b32_e32 v1, v16, v1, vcc
	v_cndmask_b32_e32 v0, v84, v0, vcc
	flat_load_dwordx4 v[16:19], v[0:1]
	s_waitcnt vmcnt(0) lgkmcnt(0)
	ds_write_b128 v178, v[16:19]
.LBB19_289:                             ;   in Loop: Header=BB19_13 Depth=1
	s_or_b64 exec, exec, s[38:39]
	v_lshl_add_u64 v[0:1], v[48:49], 2, v[14:15]
	v_lshlrev_b32_e32 v44, 2, v50
	v_lshl_add_u64 v[0:1], v[0:1], 0, v[44:45]
	v_cmp_gt_i32_e64 s[72:73], s63, v171
	v_lshl_add_u64 v[0:1], v[0:1], 0, s[46:47]
	v_mov_b32_e32 v20, s45
	v_lshl_add_u64 v[16:17], v[54:55], 2, v[14:15]
	v_lshlrev_b32_e32 v32, 2, v52
	v_mov_b32_e32 v33, v45
	v_lshl_add_u64 v[14:15], v[56:57], 2, v[14:15]
	v_cndmask_b32_e64 v1, v20, v1, s[72:73]
	v_cndmask_b32_e64 v0, v84, v0, s[72:73]
	v_cmp_gt_i32_e64 s[70:71], s63, v53
	v_lshl_add_u64 v[16:17], v[16:17], 0, v[32:33]
	v_cmp_gt_i32_e64 s[68:69], s63, v196
	v_lshl_add_u64 v[14:15], v[14:15], 0, v[32:33]
	v_cndmask_b32_e64 v19, v20, v17, s[70:71]
	v_cndmask_b32_e64 v18, v84, v16, s[70:71]
	;; [unrolled: 1-line block ×4, first 2 shown]
	flat_load_dwordx4 v[14:17], v[0:1]
	s_andn2_b64 vcc, exec, s[74:75]
	s_waitcnt vmcnt(0) lgkmcnt(0)
	ds_write_b128 v172, v[14:17]
	flat_load_dwordx4 v[14:17], v[18:19]
	s_waitcnt vmcnt(0) lgkmcnt(0)
	ds_write_b128 v174, v[14:17]
	flat_load_dwordx4 v[14:17], v[20:21]
	s_waitcnt vmcnt(0) lgkmcnt(0)
	ds_write_b128 v176, v[14:17]
	s_waitcnt lgkmcnt(0)
	s_barrier
	ds_read2_b64 v[14:17], v177 offset1:4
	s_waitcnt lgkmcnt(0)
	v_mfma_f32_16x16x16_f16 v[18:21], v[14:15], v[10:11], 0
	ds_read_b64 v[0:1], v177 offset:192
	v_mfma_f32_16x16x16_f16 v[14:17], v[16:17], v[12:13], v[18:21]
	s_nop 5
	ds_read2_b64 v[18:21], v177 offset0:8 offset1:12
	s_waitcnt lgkmcnt(0)
	v_mfma_f32_16x16x16_f16 v[14:17], v[18:19], v[6:7], v[14:17]
	v_mfma_f32_16x16x16_f16 v[14:17], v[20:21], v[8:9], v[14:17]
	ds_read2_b64 v[18:21], v177 offset0:16 offset1:20
	s_waitcnt lgkmcnt(0)
	v_mfma_f32_16x16x16_f16 v[14:17], v[18:19], v[2:3], v[14:17]
	v_mfma_f32_16x16x16_f16 v[14:17], v[20:21], v[4:5], v[14:17]
	;; [unrolled: 1-line block ×3, first 2 shown]
	v_add_u32_e32 v0, 0x800, v177
	s_nop 5
	ds_read2_b64 v[14:17], v0 offset0:224 offset1:228
	s_waitcnt lgkmcnt(0)
	v_mfma_f32_16x16x16_f16 v[18:21], v[14:15], v[10:11], 0
	v_mfma_f32_16x16x16_f16 v[14:17], v[16:17], v[12:13], v[18:21]
	s_nop 6
	ds_read2_b64 v[18:21], v0 offset0:232 offset1:236
	s_waitcnt lgkmcnt(0)
	v_mfma_f32_16x16x16_f16 v[14:17], v[18:19], v[6:7], v[14:17]
	v_mfma_f32_16x16x16_f16 v[14:17], v[20:21], v[8:9], v[14:17]
	ds_read2_b64 v[18:21], v0 offset0:240 offset1:244
	ds_read_b64 v[0:1], v177 offset:4032
	s_waitcnt lgkmcnt(1)
	v_mfma_f32_16x16x16_f16 v[14:17], v[18:19], v[2:3], v[14:17]
	v_mfma_f32_16x16x16_f16 v[14:17], v[20:21], v[4:5], v[14:17]
	s_waitcnt lgkmcnt(0)
	v_mfma_f32_16x16x16_f16 v[18:21], v[0:1], v[110:111], v[14:17]
	v_add_u32_e32 v0, 0x1800, v177
	s_nop 4
	ds_read2_b64 v[14:17], v0 offset0:192 offset1:196
	s_waitcnt lgkmcnt(0)
	v_mfma_f32_16x16x16_f16 v[26:29], v[14:15], v[10:11], 0
	v_mfma_f32_16x16x16_f16 v[14:17], v[16:17], v[12:13], v[26:29]
	s_nop 6
	ds_read2_b64 v[26:29], v0 offset0:200 offset1:204
	s_waitcnt lgkmcnt(0)
	v_mfma_f32_16x16x16_f16 v[14:17], v[26:27], v[6:7], v[14:17]
	v_mfma_f32_16x16x16_f16 v[14:17], v[28:29], v[8:9], v[14:17]
	ds_read2_b64 v[26:29], v0 offset0:208 offset1:212
	ds_read_b64 v[0:1], v177 offset:7872
	s_waitcnt lgkmcnt(1)
	v_mfma_f32_16x16x16_f16 v[14:17], v[26:27], v[2:3], v[14:17]
	v_mfma_f32_16x16x16_f16 v[14:17], v[28:29], v[4:5], v[14:17]
	s_waitcnt lgkmcnt(0)
	v_mfma_f32_16x16x16_f16 v[14:17], v[0:1], v[110:111], v[14:17]
	v_add_u32_e32 v0, 0x2800, v177
	ds_read2_b64 v[26:29], v0 offset0:160 offset1:164
	s_waitcnt lgkmcnt(0)
	v_mfma_f32_16x16x16_f16 v[98:101], v[26:27], v[10:11], 0
	v_mfma_f32_16x16x16_f16 v[10:13], v[28:29], v[12:13], v[98:101]
	ds_read2_b64 v[26:29], v0 offset0:168 offset1:172
	s_waitcnt lgkmcnt(0)
	v_mfma_f32_16x16x16_f16 v[10:13], v[26:27], v[6:7], v[10:13]
	v_mfma_f32_16x16x16_f16 v[6:9], v[28:29], v[8:9], v[10:13]
	s_nop 6
	ds_read2_b64 v[10:13], v0 offset0:176 offset1:180
	ds_read_b64 v[0:1], v177 offset:11712
	s_waitcnt lgkmcnt(1)
	v_mfma_f32_16x16x16_f16 v[6:9], v[10:11], v[2:3], v[6:9]
	s_waitcnt lgkmcnt(0)
	s_barrier
	v_mfma_f32_16x16x16_f16 v[2:5], v[12:13], v[4:5], v[6:9]
	v_mfma_f32_16x16x16_f16 v[26:29], v[0:1], v[110:111], v[2:5]
	s_cbranch_vccnz .LBB19_291
; %bb.290:                              ;   in Loop: Header=BB19_13 Depth=1
	ds_read_b32 v0, v180 offset:15360
	s_nop 4
	ds_read_b32 v2, v181 offset:15360
	s_waitcnt lgkmcnt(1)
	v_cvt_f32_f16_sdwa v1, v0 dst_sel:DWORD dst_unused:UNUSED_PAD src0_sel:WORD_1
	v_cvt_f32_f16_e32 v0, v0
	v_pk_fma_f32 v[22:23], v[96:97], v[0:1], v[22:23] op_sel_hi:[0,1,1]
	v_add_u32_e32 v0, 0x3c00, v191
	ds_read2_b32 v[0:1], v0 offset1:1
	s_waitcnt lgkmcnt(1)
	v_cvt_f32_f16_sdwa v3, v2 dst_sel:DWORD dst_unused:UNUSED_PAD src0_sel:WORD_1
	v_cvt_f32_f16_e32 v2, v2
	v_pk_fma_f32 v[24:25], v[96:97], v[2:3], v[24:25] op_sel_hi:[0,1,1]
	s_waitcnt lgkmcnt(0)
	v_cvt_f32_f16_e32 v2, v0
	v_cvt_f32_f16_sdwa v3, v0 dst_sel:DWORD dst_unused:UNUSED_PAD src0_sel:WORD_1
	v_cvt_f32_f16_e32 v0, v1
	v_cvt_f32_f16_sdwa v1, v1 dst_sel:DWORD dst_unused:UNUSED_PAD src0_sel:WORD_1
	v_pk_fma_f32 v[18:19], v[96:97], v[2:3], v[18:19] op_sel_hi:[0,1,1]
	v_pk_fma_f32 v[20:21], v[96:97], v[0:1], v[20:21] op_sel_hi:[0,1,1]
	v_add_u32_e32 v0, 0x3c00, v193
	ds_read2_b32 v[0:1], v0 offset1:1
	s_waitcnt lgkmcnt(0)
	v_cvt_f32_f16_e32 v2, v0
	v_cvt_f32_f16_sdwa v3, v0 dst_sel:DWORD dst_unused:UNUSED_PAD src0_sel:WORD_1
	v_cvt_f32_f16_e32 v0, v1
	v_cvt_f32_f16_sdwa v1, v1 dst_sel:DWORD dst_unused:UNUSED_PAD src0_sel:WORD_1
	v_pk_fma_f32 v[14:15], v[96:97], v[2:3], v[14:15] op_sel_hi:[0,1,1]
	v_pk_fma_f32 v[16:17], v[96:97], v[0:1], v[16:17] op_sel_hi:[0,1,1]
	v_add_u32_e32 v0, 0x3c00, v195
	ds_read2_b32 v[0:1], v0 offset1:1
	s_waitcnt lgkmcnt(0)
	v_cvt_f32_f16_e32 v2, v0
	v_cvt_f32_f16_sdwa v3, v0 dst_sel:DWORD dst_unused:UNUSED_PAD src0_sel:WORD_1
	v_cvt_f32_f16_e32 v0, v1
	v_cvt_f32_f16_sdwa v1, v1 dst_sel:DWORD dst_unused:UNUSED_PAD src0_sel:WORD_1
	v_pk_fma_f32 v[26:27], v[96:97], v[2:3], v[26:27] op_sel_hi:[0,1,1]
	v_pk_fma_f32 v[28:29], v[96:97], v[0:1], v[28:29] op_sel_hi:[0,1,1]
.LBB19_291:                             ;   in Loop: Header=BB19_13 Depth=1
	v_add_f32_e32 v0, 0x40051340, v22
	v_max_f32_e32 v1, v97, v97
	v_max_f32_e32 v0, v1, v0
	v_cmp_gt_u32_e64 s[38:39], s63, v179
	v_add_f32_e32 v1, 0x40051340, v23
	v_cmp_gt_u32_e64 s[56:57], s63, v237
	v_cndmask_b32_e64 v0, v97, v0, s[38:39]
	v_max_f32_e32 v2, v0, v0
	v_max_f32_e32 v1, v2, v1
	v_cndmask_b32_e64 v0, v0, v1, s[56:57]
	v_add_f32_e32 v1, 0x40051340, v24
	v_max_f32_e32 v2, v0, v0
	v_max_f32_e32 v1, v2, v1
	v_cmp_gt_u32_e64 s[98:99], s63, v43
	v_cmp_gt_u32_e64 s[52:53], s63, v197
	;; [unrolled: 1-line block ×3, first 2 shown]
	v_cndmask_b32_e64 v0, v0, v1, s[98:99]
	v_add_f32_e32 v1, 0x40051340, v25
	v_max_f32_e32 v2, v0, v0
	v_max_f32_e32 v1, v2, v1
	v_cndmask_b32_e64 v0, v0, v1, s[52:53]
	v_add_f32_e32 v1, 0x40051340, v18
	v_max_f32_e32 v2, v0, v0
	v_max_f32_e32 v1, v2, v1
	;; [unrolled: 4-line block ×3, first 2 shown]
	v_cmp_gt_u32_e64 s[94:95], s63, v207
	v_cmp_gt_u32_e64 s[74:75], s63, v225
	;; [unrolled: 1-line block ×3, first 2 shown]
	v_cndmask_b32_e64 v0, v0, v1, s[94:95]
	v_add_f32_e32 v1, 0x40051340, v20
	v_max_f32_e32 v2, v0, v0
	v_max_f32_e32 v1, v2, v1
	v_add_u32_e32 v2, 18, v179
	v_cmp_gt_u32_e64 s[92:93], s63, v2
	v_cmp_gt_u32_e64 s[88:89], s63, v214
	;; [unrolled: 1-line block ×3, first 2 shown]
	v_cndmask_b32_e64 v0, v0, v1, s[92:93]
	v_add_f32_e32 v1, 0x40051340, v21
	v_max_f32_e32 v2, v0, v0
	v_max_f32_e32 v1, v2, v1
	v_cndmask_b32_e64 v0, v0, v1, s[74:75]
	v_add_f32_e32 v1, 0x40051340, v14
	v_max_f32_e32 v2, v0, v0
	v_max_f32_e32 v1, v2, v1
	;; [unrolled: 4-line block ×5, first 2 shown]
	v_cmp_gt_u32_e64 s[76:77], s63, v238
	v_cmp_gt_u32_e64 s[84:85], s63, v194
	;; [unrolled: 1-line block ×3, first 2 shown]
	v_cndmask_b32_e64 v0, v0, v1, s[76:77]
	v_add_f32_e32 v1, 0x40051340, v26
	v_max_f32_e32 v2, v0, v0
	v_max_f32_e32 v1, v2, v1
	v_cndmask_b32_e64 v0, v0, v1, s[84:85]
	v_add_f32_e32 v1, 0x40051340, v27
	v_max_f32_e32 v2, v0, v0
	v_max_f32_e32 v1, v2, v1
	;; [unrolled: 4-line block ×3, first 2 shown]
	v_cmp_gt_u32_e64 s[80:81], s63, v167
	v_cmp_gt_u32_e64 s[78:79], s63, v236
	scratch_store_dwordx4 off, v[230:233], off
	v_cndmask_b32_e64 v0, v0, v1, s[80:81]
	v_add_f32_e32 v1, 0x40051340, v29
	v_max_f32_e32 v2, v0, v0
	v_max_f32_e32 v1, v2, v1
	v_cndmask_b32_e64 v0, v0, v1, s[78:79]
	v_and_b32_e32 v1, 64, v83
	v_add_u32_e32 v2, 64, v1
	v_xor_b32_e32 v1, 32, v83
	v_cmp_lt_i32_e32 vcc, v1, v2
	s_nop 1
	v_cndmask_b32_e32 v1, v83, v1, vcc
	v_lshlrev_b32_e32 v36, 2, v1
	ds_bpermute_b32 v1, v36, v0
	v_max_f32_e32 v0, v0, v0
	s_waitcnt lgkmcnt(0)
	v_max_f32_e32 v1, v1, v1
	v_max_f32_e32 v1, v0, v1
	v_xor_b32_e32 v0, 16, v83
	v_cmp_lt_i32_e32 vcc, v0, v2
	s_nop 1
	v_cndmask_b32_e32 v0, v83, v0, vcc
	v_lshlrev_b32_e32 v31, 2, v0
	v_readlane_b32 vcc_lo, v254, 56
	ds_bpermute_b32 v2, v31, v1
	v_readlane_b32 vcc_hi, v254, 57
	s_mul_i32 s50, s58, vcc_hi
	s_mul_hi_u32 s51, s58, vcc_lo
	s_add_i32 s51, s51, s50
	s_mul_i32 s50, s58, vcc_lo
	s_lshl_b64 s[50:51], s[50:51], 2
	v_lshl_add_u64 v[34:35], v[94:95], 0, s[50:51]
	s_and_saveexec_b64 s[50:51], s[4:5]
	s_cbranch_execz .LBB19_293
; %bb.292:                              ;   in Loop: Header=BB19_13 Depth=1
	v_lshl_add_u64 v[4:5], v[64:65], 2, v[34:35]
	v_lshlrev_b32_e32 v6, 2, v60
	v_mov_b32_e32 v7, v45
	v_lshl_add_u64 v[4:5], v[4:5], 0, v[6:7]
	s_mov_b64 vcc, 0xc0
	v_lshl_add_u64 v[4:5], v[4:5], 0, vcc
	v_mov_b32_e32 v0, s45
	v_cmp_gt_i32_e32 vcc, s63, v170
	s_nop 1
	v_cndmask_b32_e32 v5, v0, v5, vcc
	v_cndmask_b32_e32 v4, v84, v4, vcc
	flat_load_dwordx4 v[4:7], v[4:5]
	s_waitcnt vmcnt(0) lgkmcnt(0)
	ds_write_b128 v178, v[4:7]
.LBB19_293:                             ;   in Loop: Header=BB19_13 Depth=1
	s_or_b64 exec, exec, s[50:51]
	s_waitcnt lgkmcnt(0)
	v_max_f32_e32 v0, v2, v2
	v_max_f32_e32 v1, v1, v1
	;; [unrolled: 1-line block ×3, first 2 shown]
	v_sub_f32_e32 v0, v22, v30
	v_mul_f32_e32 v1, 0x3fb8aa3b, v0
	v_fma_f32 v2, v0, s44, -v1
	v_rndne_f32_e32 v3, v1
	v_fmac_f32_e32 v2, 0x32a5705f, v0
	v_sub_f32_e32 v1, v1, v3
	v_add_f32_e32 v1, v1, v2
	v_exp_f32_e32 v1, v1
	v_cvt_i32_f32_e32 v2, v3
	v_cmp_ngt_f32_e32 vcc, s33, v0
	s_mov_b32 s58, 0xc1a00000
	v_ldexp_f32 v1, v1, v2
	v_cndmask_b32_e32 v1, 0, v1, vcc
	v_cmp_nlt_f32_e32 vcc, s61, v0
	s_nop 1
	v_cndmask_b32_e32 v0, v81, v1, vcc
	v_cndmask_b32_e64 v2, 0, v0, s[38:39]
	v_sub_f32_e32 v0, v23, v30
	v_mul_f32_e32 v1, 0x3fb8aa3b, v0
	v_fma_f32 v3, v0, s44, -v1
	v_rndne_f32_e32 v4, v1
	v_fmac_f32_e32 v3, 0x32a5705f, v0
	v_sub_f32_e32 v1, v1, v4
	v_add_f32_e32 v1, v1, v3
	v_exp_f32_e32 v1, v1
	v_cvt_i32_f32_e32 v3, v4
	v_cmp_ngt_f32_e32 vcc, s33, v0
	v_ldexp_f32 v1, v1, v3
	s_nop 0
	v_cndmask_b32_e32 v1, 0, v1, vcc
	v_cmp_nlt_f32_e32 vcc, s61, v0
	s_nop 1
	v_cndmask_b32_e32 v0, v81, v1, vcc
	v_add_f32_e32 v3, v0, v2
	v_mov_b32_e32 v1, s59
	v_cndmask_b32_e64 v1, v1, v0, s[56:57]
	v_cndmask_b32_e64 v0, v2, v3, s[56:57]
	v_sub_f32_e32 v3, v24, v30
	v_mul_f32_e32 v4, 0x3fb8aa3b, v3
	v_fma_f32 v5, v3, s44, -v4
	v_rndne_f32_e32 v6, v4
	v_fmac_f32_e32 v5, 0x32a5705f, v3
	v_sub_f32_e32 v4, v4, v6
	v_add_f32_e32 v4, v4, v5
	v_exp_f32_e32 v4, v4
	v_cvt_i32_f32_e32 v5, v6
	v_cmp_ngt_f32_e32 vcc, s33, v3
	v_readlane_b32 s56, v255, 3
	v_readlane_b32 s57, v255, 15
	v_ldexp_f32 v4, v4, v5
	v_cndmask_b32_e32 v4, 0, v4, vcc
	v_cmp_nlt_f32_e32 vcc, s61, v3
	s_nop 1
	v_cndmask_b32_e32 v3, v81, v4, vcc
	v_mov_b32_e32 v4, s59
	v_add_f32_e32 v5, v0, v3
	v_cndmask_b32_e64 v8, v4, v3, s[98:99]
	v_sub_f32_e32 v3, v25, v30
	v_mul_f32_e32 v4, 0x3fb8aa3b, v3
	v_cndmask_b32_e64 v0, v0, v5, s[98:99]
	v_fma_f32 v5, v3, s44, -v4
	v_rndne_f32_e32 v6, v4
	v_fmac_f32_e32 v5, 0x32a5705f, v3
	v_sub_f32_e32 v4, v4, v6
	v_add_f32_e32 v4, v4, v5
	v_exp_f32_e32 v4, v4
	v_cvt_i32_f32_e32 v5, v6
	v_cmp_ngt_f32_e32 vcc, s33, v3
	v_ldexp_f32 v4, v4, v5
	s_nop 0
	v_cndmask_b32_e32 v4, 0, v4, vcc
	v_cmp_nlt_f32_e32 vcc, s61, v3
	s_nop 1
	v_cndmask_b32_e32 v33, v81, v4, vcc
	v_add_f32_e32 v3, v0, v33
	v_cndmask_b32_e64 v0, v0, v3, s[52:53]
	v_sub_f32_e32 v3, v18, v30
	v_mul_f32_e32 v4, 0x3fb8aa3b, v3
	v_fma_f32 v5, v3, s44, -v4
	v_rndne_f32_e32 v6, v4
	v_fmac_f32_e32 v5, 0x32a5705f, v3
	v_sub_f32_e32 v4, v4, v6
	v_add_f32_e32 v4, v4, v5
	v_exp_f32_e32 v4, v4
	v_cvt_i32_f32_e32 v5, v6
	v_cmp_ngt_f32_e32 vcc, s33, v3
	v_ldexp_f32 v4, v4, v5
	s_nop 0
	v_cndmask_b32_e32 v4, 0, v4, vcc
	v_cmp_nlt_f32_e32 vcc, s61, v3
	s_nop 1
	v_cndmask_b32_e32 v3, v81, v4, vcc
	v_mov_b32_e32 v4, s59
	v_add_f32_e32 v5, v3, v0
	v_cndmask_b32_e64 v4, v4, v3, s[96:97]
	v_sub_f32_e32 v3, v19, v30
	v_cndmask_b32_e64 v0, v0, v5, s[96:97]
	v_mul_f32_e32 v5, 0x3fb8aa3b, v3
	v_fma_f32 v6, v3, s44, -v5
	v_rndne_f32_e32 v7, v5
	v_fmac_f32_e32 v6, 0x32a5705f, v3
	v_sub_f32_e32 v5, v5, v7
	v_add_f32_e32 v5, v5, v6
	v_exp_f32_e32 v5, v5
	v_cvt_i32_f32_e32 v6, v7
	v_cmp_ngt_f32_e32 vcc, s33, v3
	v_ldexp_f32 v5, v5, v6
	s_nop 0
	v_cndmask_b32_e32 v5, 0, v5, vcc
	v_cmp_nlt_f32_e32 vcc, s61, v3
	v_mov_b32_e32 v3, s59
	s_nop 0
	v_cndmask_b32_e32 v5, v81, v5, vcc
	v_add_f32_e32 v6, v5, v0
	v_cndmask_b32_e64 v3, v3, v5, s[94:95]
	v_sub_f32_e32 v5, v20, v30
	v_cndmask_b32_e64 v0, v0, v6, s[94:95]
	v_mul_f32_e32 v6, 0x3fb8aa3b, v5
	v_fma_f32 v7, v5, s44, -v6
	v_rndne_f32_e32 v9, v6
	v_fmac_f32_e32 v7, 0x32a5705f, v5
	v_sub_f32_e32 v6, v6, v9
	v_add_f32_e32 v6, v6, v7
	v_exp_f32_e32 v6, v6
	v_cvt_i32_f32_e32 v7, v9
	v_cmp_ngt_f32_e32 vcc, s33, v5
	v_ldexp_f32 v6, v6, v7
	s_nop 0
	v_cndmask_b32_e32 v6, 0, v6, vcc
	v_cmp_nlt_f32_e32 vcc, s61, v5
	s_nop 1
	v_cndmask_b32_e32 v5, v81, v6, vcc
	v_mov_b32_e32 v6, s59
	v_add_f32_e32 v7, v5, v0
	v_cndmask_b32_e64 v6, v6, v5, s[92:93]
	v_sub_f32_e32 v5, v21, v30
	v_cndmask_b32_e64 v0, v0, v7, s[92:93]
	v_mul_f32_e32 v7, 0x3fb8aa3b, v5
	v_fma_f32 v9, v5, s44, -v7
	v_rndne_f32_e32 v10, v7
	v_fmac_f32_e32 v9, 0x32a5705f, v5
	v_sub_f32_e32 v7, v7, v10
	v_add_f32_e32 v7, v7, v9
	v_exp_f32_e32 v7, v7
	v_cvt_i32_f32_e32 v9, v10
	v_cmp_ngt_f32_e32 vcc, s33, v5
	v_ldexp_f32 v7, v7, v9
	s_nop 0
	v_cndmask_b32_e32 v7, 0, v7, vcc
	v_cmp_nlt_f32_e32 vcc, s61, v5
	s_nop 1
	v_cndmask_b32_e32 v18, v81, v7, vcc
	v_add_f32_e32 v5, v18, v0
	v_cndmask_b32_e64 v0, v0, v5, s[74:75]
	v_sub_f32_e32 v5, v14, v30
	v_mul_f32_e32 v7, 0x3fb8aa3b, v5
	v_fma_f32 v9, v5, s44, -v7
	v_rndne_f32_e32 v10, v7
	v_fmac_f32_e32 v9, 0x32a5705f, v5
	v_sub_f32_e32 v7, v7, v10
	v_add_f32_e32 v7, v7, v9
	v_exp_f32_e32 v7, v7
	v_cvt_i32_f32_e32 v9, v10
	v_cmp_ngt_f32_e32 vcc, s33, v5
	v_mov_b32_e32 v10, s59
	v_mov_b32_e32 v14, s59
	v_ldexp_f32 v7, v7, v9
	v_cndmask_b32_e32 v7, 0, v7, vcc
	v_cmp_nlt_f32_e32 vcc, s61, v5
	s_nop 1
	v_cndmask_b32_e32 v5, v81, v7, vcc
	v_add_f32_e32 v7, v5, v0
	v_cndmask_b32_e64 v10, v10, v5, s[90:91]
	v_sub_f32_e32 v5, v15, v30
	v_cndmask_b32_e64 v0, v0, v7, s[90:91]
	v_mul_f32_e32 v7, 0x3fb8aa3b, v5
	v_fma_f32 v9, v5, s44, -v7
	v_rndne_f32_e32 v11, v7
	v_fmac_f32_e32 v9, 0x32a5705f, v5
	v_sub_f32_e32 v7, v7, v11
	v_add_f32_e32 v7, v7, v9
	v_exp_f32_e32 v7, v7
	v_cvt_i32_f32_e32 v9, v11
	v_cmp_ngt_f32_e32 vcc, s33, v5
	v_ldexp_f32 v7, v7, v9
	s_nop 0
	v_cndmask_b32_e32 v7, 0, v7, vcc
	v_cmp_nlt_f32_e32 vcc, s61, v5
	v_mov_b32_e32 v5, s59
	s_nop 0
	v_cndmask_b32_e32 v7, v81, v7, vcc
	v_add_f32_e32 v9, v7, v0
	v_cndmask_b32_e64 v5, v5, v7, s[88:89]
	v_sub_f32_e32 v7, v16, v30
	v_cndmask_b32_e64 v0, v0, v9, s[88:89]
	v_mul_f32_e32 v9, 0x3fb8aa3b, v7
	v_fma_f32 v11, v7, s44, -v9
	v_rndne_f32_e32 v12, v9
	v_fmac_f32_e32 v11, 0x32a5705f, v7
	v_sub_f32_e32 v9, v9, v12
	v_add_f32_e32 v9, v9, v11
	v_exp_f32_e32 v9, v9
	v_cvt_i32_f32_e32 v11, v12
	v_cmp_ngt_f32_e32 vcc, s33, v7
	v_mov_b32_e32 v12, s59
	v_mov_b32_e32 v16, s59
	v_ldexp_f32 v9, v9, v11
	v_cndmask_b32_e32 v9, 0, v9, vcc
	v_cmp_nlt_f32_e32 vcc, s61, v7
	s_nop 1
	v_cndmask_b32_e32 v7, v81, v9, vcc
	v_add_f32_e32 v9, v7, v0
	v_cndmask_b32_e64 v12, v12, v7, s[86:87]
	v_sub_f32_e32 v7, v17, v30
	v_cndmask_b32_e64 v0, v0, v9, s[86:87]
	v_mul_f32_e32 v9, 0x3fb8aa3b, v7
	v_fma_f32 v11, v7, s44, -v9
	v_rndne_f32_e32 v13, v9
	v_fmac_f32_e32 v11, 0x32a5705f, v7
	v_sub_f32_e32 v9, v9, v13
	v_add_f32_e32 v9, v9, v11
	v_exp_f32_e32 v9, v9
	v_cvt_i32_f32_e32 v11, v13
	v_cmp_ngt_f32_e32 vcc, s33, v7
	v_mov_b32_e32 v17, s59
	v_ldexp_f32 v9, v9, v11
	v_cndmask_b32_e32 v9, 0, v9, vcc
	v_cmp_nlt_f32_e32 vcc, s61, v7
	s_nop 1
	v_cndmask_b32_e32 v20, v81, v9, vcc
	v_add_f32_e32 v7, v20, v0
	v_cndmask_b32_e64 v0, v0, v7, s[76:77]
	v_sub_f32_e32 v7, v26, v30
	v_mul_f32_e32 v9, 0x3fb8aa3b, v7
	v_fma_f32 v11, v7, s44, -v9
	v_rndne_f32_e32 v13, v9
	v_fmac_f32_e32 v11, 0x32a5705f, v7
	v_sub_f32_e32 v9, v9, v13
	v_add_f32_e32 v9, v9, v11
	v_exp_f32_e32 v9, v9
	v_cvt_i32_f32_e32 v11, v13
	v_cmp_ngt_f32_e32 vcc, s33, v7
	v_ldexp_f32 v9, v9, v11
	s_nop 0
	v_cndmask_b32_e32 v9, 0, v9, vcc
	v_cmp_nlt_f32_e32 vcc, s61, v7
	s_nop 1
	v_cndmask_b32_e32 v7, v81, v9, vcc
	v_add_f32_e32 v9, v7, v0
	v_cndmask_b32_e64 v14, v14, v7, s[84:85]
	v_sub_f32_e32 v7, v27, v30
	v_cndmask_b32_e64 v0, v0, v9, s[84:85]
	v_mul_f32_e32 v9, 0x3fb8aa3b, v7
	v_fma_f32 v11, v7, s44, -v9
	v_rndne_f32_e32 v13, v9
	v_fmac_f32_e32 v11, 0x32a5705f, v7
	v_sub_f32_e32 v9, v9, v13
	v_add_f32_e32 v9, v9, v11
	v_exp_f32_e32 v9, v9
	v_cvt_i32_f32_e32 v11, v13
	v_cmp_ngt_f32_e32 vcc, s33, v7
	v_ldexp_f32 v9, v9, v11
	s_nop 0
	v_cndmask_b32_e32 v9, 0, v9, vcc
	v_cmp_nlt_f32_e32 vcc, s61, v7
	v_mov_b32_e32 v7, s59
	s_nop 0
	v_cndmask_b32_e32 v9, v81, v9, vcc
	v_add_f32_e32 v11, v9, v0
	v_cndmask_b32_e64 v7, v7, v9, s[82:83]
	v_sub_f32_e32 v9, v28, v30
	v_cndmask_b32_e64 v0, v0, v11, s[82:83]
	v_mul_f32_e32 v11, 0x3fb8aa3b, v9
	v_fma_f32 v13, v9, s44, -v11
	v_rndne_f32_e32 v15, v11
	v_fmac_f32_e32 v13, 0x32a5705f, v9
	v_sub_f32_e32 v11, v11, v15
	v_add_f32_e32 v11, v11, v13
	v_exp_f32_e32 v11, v11
	v_cvt_i32_f32_e32 v13, v15
	v_cmp_ngt_f32_e32 vcc, s33, v9
	v_ldexp_f32 v11, v11, v13
	s_nop 0
	v_cndmask_b32_e32 v11, 0, v11, vcc
	v_cmp_nlt_f32_e32 vcc, s61, v9
	s_nop 1
	v_cndmask_b32_e32 v9, v81, v11, vcc
	v_add_f32_e32 v11, v9, v0
	v_cndmask_b32_e64 v16, v16, v9, s[80:81]
	v_sub_f32_e32 v9, v29, v30
	v_cndmask_b32_e64 v0, v0, v11, s[80:81]
	v_mul_f32_e32 v11, 0x3fb8aa3b, v9
	v_fma_f32 v13, v9, s44, -v11
	v_rndne_f32_e32 v15, v11
	v_fmac_f32_e32 v13, 0x32a5705f, v9
	v_sub_f32_e32 v11, v11, v15
	v_add_f32_e32 v11, v11, v13
	v_exp_f32_e32 v11, v11
	v_cvt_i32_f32_e32 v13, v15
	v_cmp_ngt_f32_e32 vcc, s33, v9
	v_ldexp_f32 v11, v11, v13
	s_nop 0
	v_cndmask_b32_e32 v11, 0, v11, vcc
	v_cmp_nlt_f32_e32 vcc, s61, v9
	s_nop 1
	v_cndmask_b32_e32 v19, v81, v11, vcc
	v_add_f32_e32 v9, v19, v0
	v_cndmask_b32_e64 v24, v0, v9, s[78:79]
	v_sub_f32_e32 v0, v97, v30
	v_mul_f32_e32 v9, 0x3fb8aa3b, v0
	v_fma_f32 v11, v0, s44, -v9
	v_rndne_f32_e32 v13, v9
	v_fmac_f32_e32 v11, 0x32a5705f, v0
	v_sub_f32_e32 v9, v9, v13
	v_add_f32_e32 v9, v9, v11
	v_exp_f32_e32 v9, v9
	v_cvt_i32_f32_e32 v11, v13
	v_cmp_ngt_f32_e32 vcc, s33, v0
	v_cndmask_b32_e64 v17, v17, v19, s[78:79]
	v_mov_b32_e32 v19, s59
	v_ldexp_f32 v9, v9, v11
	v_cndmask_b32_e32 v9, 0, v9, vcc
	v_cmp_nlt_f32_e32 vcc, s61, v0
	v_cndmask_b32_e64 v22, v19, v20, s[76:77]
	v_cndmask_b32_e64 v23, v19, v18, s[74:75]
	v_cndmask_b32_e32 v9, v81, v9, vcc
	v_cmp_le_f32_e32 vcc, s58, v0
	v_cvt_pk_f16_f32 v17, v16, v17
	v_cvt_pk_f16_f32 v16, v14, v7
	v_cndmask_b32_e32 v0, 0, v9, vcc
	v_fmac_f32_e32 v24, v243, v0
	v_cvt_f16_f32_e32 v0, v0
	v_cmp_eq_u64_e32 vcc, 0, v[92:93]
	s_and_b64 vcc, exec, vcc
	v_mul_u32_u24_e32 v0, 0x10001, v0
	v_pk_mul_f16 v29, v37, v0
	v_cndmask_b32_e64 v37, v19, v33, s[52:53]
	v_lshl_add_u64 v[18:19], v[70:71], 2, v[34:35]
	v_lshl_add_u64 v[18:19], v[18:19], 0, v[44:45]
	;; [unrolled: 1-line block ×3, first 2 shown]
	v_mov_b32_e32 v44, s45
	v_cndmask_b32_e64 v19, v44, v19, s[72:73]
	v_cndmask_b32_e64 v18, v84, v18, s[72:73]
	flat_load_dwordx4 v[18:21], v[18:19]
	v_mov_b32_e32 v33, v45
	v_pk_mul_f16 v96, v253, v0
	v_pk_mul_f16 v97, v223, v0
	;; [unrolled: 1-line block ×13, first 2 shown]
	v_cvt_f32_f16_sdwa v7, v27 dst_sel:DWORD dst_unused:UNUSED_PAD src0_sel:WORD_1
	s_waitcnt vmcnt(0) lgkmcnt(0)
	ds_write_b128 v172, v[18:21]
	v_lshl_add_u64 v[18:19], v[68:69], 2, v[34:35]
	v_lshl_add_u64 v[18:19], v[18:19], 0, v[32:33]
	v_cndmask_b32_e64 v19, v44, v19, s[70:71]
	v_cndmask_b32_e64 v18, v84, v18, s[70:71]
	flat_load_dwordx4 v[18:21], v[18:19]
	s_waitcnt vmcnt(0) lgkmcnt(0)
	ds_write_b128 v174, v[18:21]
	v_lshl_add_u64 v[18:19], v[66:67], 2, v[34:35]
	v_lshl_add_u64 v[18:19], v[18:19], 0, v[32:33]
	v_cndmask_b32_e64 v19, v44, v19, s[68:69]
	v_cndmask_b32_e64 v18, v84, v18, s[68:69]
	flat_load_dwordx4 v[18:21], v[18:19]
	v_cvt_f32_f16_e32 v34, v96
	v_cvt_f32_f16_sdwa v35, v96 dst_sel:DWORD dst_unused:UNUSED_PAD src0_sel:WORD_1
	v_cvt_f32_f16_e32 v32, v97
	v_cvt_f32_f16_sdwa v33, v97 dst_sel:DWORD dst_unused:UNUSED_PAD src0_sel:WORD_1
	s_waitcnt vmcnt(0) lgkmcnt(0)
	ds_write_b128 v176, v[18:21]
	s_waitcnt lgkmcnt(0)
	s_barrier
	ds_read_u16 v0, v183 offset:240
	ds_read_u16 v18, v184
	ds_read_u16 v44, v184 offset:32
	ds_read_u16 v19, v185
	ds_read_u16 v96, v185 offset:32
	s_waitcnt lgkmcnt(1)
	v_perm_b32 v21, v19, v18, s62
	ds_read_u16 v18, v183
	ds_read_u16 v97, v183 offset:32
	v_cvt_pk_f16_f32 v19, v8, v37
	s_waitcnt lgkmcnt(1)
	v_perm_b32 v20, v0, v18, s62
	v_cvt_pk_f16_f32 v18, v2, v1
	s_nop 1
	v_mfma_f32_16x16x16_f16 v[32:35], v[20:21], v[18:19], v[32:35]
	ds_read_u16 v20, v183 offset:3840
	ds_read_u16 v21, v183 offset:4080
	;; [unrolled: 1-line block ×4, first 2 shown]
	s_nop 3
	v_cvt_f16_f32_e32 v0, v32
	v_cvt_f16_f32_e32 v1, v33
	;; [unrolled: 1-line block ×4, first 2 shown]
	v_cvt_f32_f16_e32 v32, v0
	v_cvt_f32_f16_e32 v33, v1
	s_waitcnt lgkmcnt(0)
	v_perm_b32 v1, v98, v37, s62
	v_perm_b32 v0, v21, v20, s62
	v_cvt_f32_f16_e32 v34, v2
	v_cvt_f32_f16_e32 v35, v8
	v_cvt_pk_f16_f32 v21, v6, v23
	v_cvt_pk_f16_f32 v20, v4, v3
	ds_read_u16 v4, v183 offset:7680
	ds_read_u16 v6, v183 offset:7920
	;; [unrolled: 1-line block ×4, first 2 shown]
	v_mfma_f32_16x16x16_f16 v[32:35], v[0:1], v[20:21], v[32:35]
	s_nop 7
	v_cvt_f16_f32_e32 v0, v32
	v_cvt_f16_f32_e32 v1, v33
	;; [unrolled: 1-line block ×4, first 2 shown]
	v_cvt_f32_f16_e32 v32, v0
	v_cvt_f32_f16_e32 v33, v1
	s_waitcnt lgkmcnt(0)
	v_perm_b32 v1, v23, v8, s62
	v_perm_b32 v0, v6, v4, s62
	v_cvt_f32_f16_e32 v34, v2
	v_cvt_f32_f16_e32 v35, v3
	v_cvt_pk_f16_f32 v23, v12, v22
	v_cvt_pk_f16_f32 v22, v10, v5
	ds_read_u16 v6, v183 offset:11520
	ds_read_u16 v8, v183 offset:11760
	ds_read_u16 v10, v184 offset:11520
	ds_read_u16 v12, v185 offset:11520
	v_mfma_f32_16x16x16_f16 v[2:5], v[0:1], v[22:23], v[32:35]
	s_nop 2
	v_perm_b32 v33, v96, v44, s62
	v_cvt_f32_f16_e32 v96, v25
	s_nop 2
	v_cvt_f16_f32_e32 v0, v2
	v_cvt_f16_f32_e32 v1, v3
	;; [unrolled: 1-line block ×4, first 2 shown]
	v_cvt_f32_f16_e32 v2, v0
	v_cvt_f32_f16_e32 v3, v1
	s_waitcnt lgkmcnt(0)
	v_perm_b32 v1, v12, v10, s62
	v_perm_b32 v0, v8, v6, s62
	v_cvt_f32_f16_e32 v4, v4
	v_cvt_f32_f16_e32 v5, v5
	;; [unrolled: 1-line block ×3, first 2 shown]
	s_nop 0
	v_mfma_f32_16x16x16_f16 v[2:5], v[0:1], v[16:17], v[2:5]
	s_nop 7
	v_cvt_f16_f32_e32 v0, v4
	v_cvt_f16_f32_e32 v1, v5
	v_cvt_f32_f16_e32 v4, v95
	v_cvt_f32_f16_sdwa v5, v95 dst_sel:DWORD dst_unused:UNUSED_PAD src0_sel:WORD_1
	v_cvt_f32_f16_sdwa v95, v26 dst_sel:DWORD dst_unused:UNUSED_PAD src0_sel:WORD_1
	v_perm_b32 v1, v1, v0, s62
	ds_read_u16 v0, v183 offset:272
	ds_read_u16 v8, v183 offset:3872
	;; [unrolled: 1-line block ×5, first 2 shown]
	s_waitcnt lgkmcnt(4)
	v_perm_b32 v32, v0, v97, s62
	s_nop 1
	v_mfma_f32_16x16x16_f16 v[4:7], v[32:33], v[18:19], v[4:7]
	s_waitcnt lgkmcnt(0)
	v_perm_b32 v33, v14, v12, s62
	v_perm_b32 v32, v10, v8, s62
	ds_read_u16 v8, v183 offset:7712
	ds_read_u16 v10, v183 offset:7952
	;; [unrolled: 1-line block ×4, first 2 shown]
	s_nop 0
	v_cvt_f16_f32_e32 v0, v4
	v_cvt_f16_f32_e32 v5, v5
	;; [unrolled: 1-line block ×4, first 2 shown]
	v_cvt_f32_f16_e32 v4, v0
	v_cvt_f32_f16_e32 v5, v5
	;; [unrolled: 1-line block ×4, first 2 shown]
	v_cvt_f32_f16_sdwa v97, v25 dst_sel:DWORD dst_unused:UNUSED_PAD src0_sel:WORD_1
	s_nop 0
	v_mfma_f32_16x16x16_f16 v[4:7], v[32:33], v[20:21], v[4:7]
	s_waitcnt lgkmcnt(0)
	v_perm_b32 v33, v14, v12, s62
	v_perm_b32 v32, v10, v8, s62
	ds_read_u16 v8, v183 offset:11552
	ds_read_u16 v10, v183 offset:11792
	;; [unrolled: 1-line block ×4, first 2 shown]
	s_nop 0
	v_cvt_f16_f32_e32 v0, v4
	v_cvt_f16_f32_e32 v5, v5
	;; [unrolled: 1-line block ×4, first 2 shown]
	v_cvt_f32_f16_e32 v4, v0
	v_cvt_f32_f16_e32 v5, v5
	;; [unrolled: 1-line block ×4, first 2 shown]
	s_nop 1
	v_mfma_f32_16x16x16_f16 v[4:7], v[32:33], v[22:23], v[4:7]
	s_waitcnt lgkmcnt(0)
	v_perm_b32 v33, v14, v12, s62
	v_perm_b32 v32, v10, v8, s62
	v_cvt_f32_f16_e32 v8, v9
	v_cvt_f32_f16_sdwa v9, v9 dst_sel:DWORD dst_unused:UNUSED_PAD src0_sel:WORD_1
	s_nop 2
	v_cvt_f16_f32_e32 v0, v4
	v_cvt_f16_f32_e32 v5, v5
	;; [unrolled: 1-line block ×4, first 2 shown]
	v_cvt_f32_f16_e32 v4, v0
	v_cvt_f32_f16_e32 v5, v5
	;; [unrolled: 1-line block ×4, first 2 shown]
	s_nop 1
	v_mfma_f32_16x16x16_f16 v[4:7], v[32:33], v[16:17], v[4:7]
	s_nop 7
	v_cvt_f16_f32_e32 v0, v6
	v_cvt_f16_f32_e32 v6, v7
	v_cvt_f32_f16_sdwa v7, v94 dst_sel:DWORD dst_unused:UNUSED_PAD src0_sel:WORD_1
	v_perm_b32 v27, v6, v0, s62
	ds_read_u16 v0, v183 offset:64
	ds_read_u16 v10, v183 offset:304
	;; [unrolled: 1-line block ×4, first 2 shown]
	v_cvt_f32_f16_e32 v6, v94
	v_cvt_f32_f16_e32 v94, v26
	s_waitcnt lgkmcnt(2)
	v_perm_b32 v32, v10, v0, s62
	s_waitcnt lgkmcnt(0)
	v_perm_b32 v33, v14, v12, s62
	s_nop 1
	v_mfma_f32_16x16x16_f16 v[6:9], v[32:33], v[18:19], v[6:9]
	ds_read_u16 v10, v183 offset:3904
	ds_read_u16 v12, v183 offset:4144
	ds_read_u16 v14, v184 offset:3904
	ds_read_u16 v32, v185 offset:3904
	s_nop 3
	v_cvt_f16_f32_e32 v0, v6
	v_cvt_f16_f32_e32 v7, v7
	v_cvt_f16_f32_e32 v8, v8
	v_cvt_f16_f32_e32 v9, v9
	s_waitcnt lgkmcnt(0)
	v_perm_b32 v33, v32, v14, s62
	v_perm_b32 v32, v12, v10, s62
	v_cvt_f32_f16_e32 v6, v0
	v_cvt_f32_f16_e32 v7, v7
	v_cvt_f32_f16_e32 v8, v8
	v_cvt_f32_f16_e32 v9, v9
	s_nop 1
	v_mfma_f32_16x16x16_f16 v[6:9], v[32:33], v[20:21], v[6:9]
	ds_read_u16 v10, v183 offset:7744
	ds_read_u16 v12, v183 offset:7984
	ds_read_u16 v14, v184 offset:7744
	ds_read_u16 v32, v185 offset:7744
	s_nop 3
	v_cvt_f16_f32_e32 v0, v6
	v_cvt_f16_f32_e32 v7, v7
	v_cvt_f16_f32_e32 v8, v8
	v_cvt_f16_f32_e32 v9, v9
	s_waitcnt lgkmcnt(0)
	v_perm_b32 v33, v32, v14, s62
	v_perm_b32 v32, v12, v10, s62
	v_cvt_f32_f16_e32 v6, v0
	v_cvt_f32_f16_e32 v7, v7
	v_cvt_f32_f16_e32 v8, v8
	v_cvt_f32_f16_e32 v9, v9
	;; [unrolled: 18-line block ×3, first 2 shown]
	v_cvt_f32_f16_e32 v10, v11
	v_cvt_f32_f16_sdwa v11, v11 dst_sel:DWORD dst_unused:UNUSED_PAD src0_sel:WORD_1
	v_mfma_f32_16x16x16_f16 v[6:9], v[32:33], v[16:17], v[6:9]
	s_nop 7
	v_cvt_f16_f32_e32 v0, v8
	v_cvt_f16_f32_e32 v8, v9
	v_cvt_f32_f16_sdwa v9, v87 dst_sel:DWORD dst_unused:UNUSED_PAD src0_sel:WORD_1
	v_perm_b32 v32, v8, v0, s62
	ds_read_u16 v0, v183 offset:96
	ds_read_u16 v12, v183 offset:336
	;; [unrolled: 1-line block ×4, first 2 shown]
	v_cvt_f32_f16_e32 v8, v87
	s_waitcnt lgkmcnt(2)
	v_perm_b32 v34, v12, v0, s62
	s_waitcnt lgkmcnt(0)
	v_perm_b32 v35, v33, v14, s62
	s_nop 1
	v_mfma_f32_16x16x16_f16 v[8:11], v[34:35], v[18:19], v[8:11]
	ds_read_u16 v12, v183 offset:3936
	ds_read_u16 v14, v183 offset:4176
	ds_read_u16 v33, v184 offset:3936
	ds_read_u16 v34, v185 offset:3936
	s_nop 3
	v_cvt_f16_f32_e32 v0, v8
	v_cvt_f16_f32_e32 v9, v9
	v_cvt_f16_f32_e32 v10, v10
	v_cvt_f16_f32_e32 v11, v11
	s_waitcnt lgkmcnt(0)
	v_perm_b32 v35, v34, v33, s62
	v_perm_b32 v34, v14, v12, s62
	v_cvt_f32_f16_e32 v8, v0
	v_cvt_f32_f16_e32 v9, v9
	v_cvt_f32_f16_e32 v10, v10
	v_cvt_f32_f16_e32 v11, v11
	s_nop 1
	v_mfma_f32_16x16x16_f16 v[8:11], v[34:35], v[20:21], v[8:11]
	ds_read_u16 v12, v183 offset:7776
	ds_read_u16 v14, v183 offset:8016
	ds_read_u16 v33, v184 offset:7776
	ds_read_u16 v34, v185 offset:7776
	s_nop 3
	v_cvt_f16_f32_e32 v0, v8
	v_cvt_f16_f32_e32 v9, v9
	v_cvt_f16_f32_e32 v10, v10
	v_cvt_f16_f32_e32 v11, v11
	s_waitcnt lgkmcnt(0)
	v_perm_b32 v35, v34, v33, s62
	v_perm_b32 v34, v14, v12, s62
	v_cvt_f32_f16_e32 v8, v0
	v_cvt_f32_f16_e32 v9, v9
	v_cvt_f32_f16_e32 v10, v10
	v_cvt_f32_f16_e32 v11, v11
	;; [unrolled: 18-line block ×3, first 2 shown]
	v_cvt_f32_f16_e32 v12, v13
	v_cvt_f32_f16_sdwa v13, v13 dst_sel:DWORD dst_unused:UNUSED_PAD src0_sel:WORD_1
	v_mfma_f32_16x16x16_f16 v[8:11], v[34:35], v[16:17], v[8:11]
	s_nop 7
	v_cvt_f16_f32_e32 v0, v10
	v_cvt_f16_f32_e32 v10, v11
	v_cvt_f32_f16_sdwa v11, v29 dst_sel:DWORD dst_unused:UNUSED_PAD src0_sel:WORD_1
	v_perm_b32 v33, v10, v0, s62
	ds_read_u16 v0, v183 offset:128
	ds_read_u16 v14, v183 offset:368
	;; [unrolled: 1-line block ×4, first 2 shown]
	v_cvt_f32_f16_e32 v10, v29
	s_waitcnt lgkmcnt(0)
	v_perm_b32 v35, v35, v34, s62
	v_perm_b32 v34, v14, v0, s62
	s_nop 1
	v_mfma_f32_16x16x16_f16 v[10:13], v[34:35], v[18:19], v[10:13]
	ds_read_u16 v14, v183 offset:3968
	ds_read_u16 v29, v183 offset:4208
	ds_read_u16 v34, v184 offset:3968
	ds_read_u16 v35, v185 offset:3968
	s_nop 3
	v_cvt_f16_f32_e32 v0, v10
	v_cvt_f16_f32_e32 v11, v11
	v_cvt_f16_f32_e32 v12, v12
	v_cvt_f16_f32_e32 v13, v13
	s_waitcnt lgkmcnt(0)
	v_perm_b32 v35, v35, v34, s62
	v_perm_b32 v34, v29, v14, s62
	v_cvt_f32_f16_e32 v10, v0
	v_cvt_f32_f16_e32 v11, v11
	v_cvt_f32_f16_e32 v12, v12
	v_cvt_f32_f16_e32 v13, v13
	s_nop 1
	v_mfma_f32_16x16x16_f16 v[10:13], v[34:35], v[20:21], v[10:13]
	ds_read_u16 v14, v183 offset:7808
	ds_read_u16 v29, v183 offset:8048
	ds_read_u16 v34, v184 offset:7808
	ds_read_u16 v35, v185 offset:7808
	s_nop 3
	v_cvt_f16_f32_e32 v0, v10
	v_cvt_f16_f32_e32 v11, v11
	v_cvt_f16_f32_e32 v12, v12
	v_cvt_f16_f32_e32 v13, v13
	s_waitcnt lgkmcnt(0)
	v_perm_b32 v35, v35, v34, s62
	v_perm_b32 v34, v29, v14, s62
	v_cvt_f32_f16_e32 v10, v0
	v_cvt_f32_f16_e32 v11, v11
	v_cvt_f32_f16_e32 v12, v12
	v_cvt_f32_f16_e32 v13, v13
	;; [unrolled: 18-line block ×3, first 2 shown]
	v_cvt_f32_f16_e32 v14, v15
	v_cvt_f32_f16_sdwa v15, v15 dst_sel:DWORD dst_unused:UNUSED_PAD src0_sel:WORD_1
	v_mfma_f32_16x16x16_f16 v[10:13], v[34:35], v[16:17], v[10:13]
	s_nop 7
	v_cvt_f16_f32_e32 v0, v12
	v_cvt_f16_f32_e32 v12, v13
	v_cvt_f32_f16_sdwa v13, v28 dst_sel:DWORD dst_unused:UNUSED_PAD src0_sel:WORD_1
	v_perm_b32 v29, v12, v0, s62
	ds_read_u16 v0, v183 offset:160
	ds_read_u16 v34, v183 offset:400
	;; [unrolled: 1-line block ×4, first 2 shown]
	v_cvt_f32_f16_e32 v12, v28
	s_waitcnt lgkmcnt(2)
	v_perm_b32 v34, v34, v0, s62
	s_waitcnt lgkmcnt(0)
	v_perm_b32 v35, v37, v35, s62
	s_nop 1
	v_mfma_f32_16x16x16_f16 v[12:15], v[34:35], v[18:19], v[12:15]
	ds_read_u16 v28, v183 offset:4000
	ds_read_u16 v34, v183 offset:4240
	ds_read_u16 v35, v184 offset:4000
	ds_read_u16 v37, v185 offset:4000
	s_nop 3
	v_cvt_f16_f32_e32 v0, v12
	v_cvt_f16_f32_e32 v13, v13
	v_cvt_f16_f32_e32 v14, v14
	v_cvt_f16_f32_e32 v15, v15
	s_waitcnt lgkmcnt(0)
	v_perm_b32 v35, v37, v35, s62
	v_perm_b32 v34, v34, v28, s62
	v_cvt_f32_f16_e32 v12, v0
	v_cvt_f32_f16_e32 v13, v13
	v_cvt_f32_f16_e32 v14, v14
	v_cvt_f32_f16_e32 v15, v15
	s_nop 1
	v_mfma_f32_16x16x16_f16 v[12:15], v[34:35], v[20:21], v[12:15]
	ds_read_u16 v28, v183 offset:7840
	ds_read_u16 v34, v183 offset:8080
	ds_read_u16 v35, v184 offset:7840
	ds_read_u16 v37, v185 offset:7840
	s_nop 3
	v_cvt_f16_f32_e32 v0, v12
	v_cvt_f16_f32_e32 v13, v13
	v_cvt_f16_f32_e32 v14, v14
	v_cvt_f16_f32_e32 v15, v15
	s_waitcnt lgkmcnt(0)
	v_perm_b32 v35, v37, v35, s62
	v_perm_b32 v34, v34, v28, s62
	v_cvt_f32_f16_e32 v12, v0
	v_cvt_f32_f16_e32 v13, v13
	v_cvt_f32_f16_e32 v14, v14
	v_cvt_f32_f16_e32 v15, v15
	;; [unrolled: 18-line block ×3, first 2 shown]
	s_nop 1
	v_mfma_f32_16x16x16_f16 v[12:15], v[34:35], v[16:17], v[12:15]
	s_nop 7
	v_cvt_f16_f32_e32 v0, v14
	v_cvt_f16_f32_e32 v14, v15
	v_perm_b32 v28, v14, v0, s62
	ds_read_u16 v0, v183 offset:192
	ds_read_u16 v14, v183 offset:432
	ds_read_u16 v15, v184 offset:192
	ds_read_u16 v34, v185 offset:192
	s_waitcnt lgkmcnt(2)
	v_perm_b32 v14, v14, v0, s62
	s_waitcnt lgkmcnt(0)
	v_perm_b32 v15, v34, v15, s62
	s_nop 1
	v_mfma_f32_16x16x16_f16 v[94:97], v[14:15], v[18:19], v[94:97]
	ds_read_u16 v19, v183 offset:4032
	ds_read_u16 v25, v183 offset:4272
	;; [unrolled: 1-line block ×4, first 2 shown]
	s_nop 3
	v_cvt_f16_f32_e32 v14, v95
	v_cvt_f16_f32_e32 v15, v96
	;; [unrolled: 1-line block ×4, first 2 shown]
	v_cvt_f32_f16_e32 v95, v14
	v_cvt_f32_f16_e32 v96, v15
	s_waitcnt lgkmcnt(0)
	v_perm_b32 v15, v34, v26, s62
	v_perm_b32 v14, v25, v19, s62
	v_cvt_f32_f16_e32 v94, v0
	v_cvt_f32_f16_e32 v97, v18
	ds_read_u16 v25, v183 offset:7872
	ds_read_u16 v26, v183 offset:8112
	;; [unrolled: 1-line block ×4, first 2 shown]
	v_mfma_f32_16x16x16_f16 v[18:21], v[14:15], v[20:21], v[94:97]
	s_nop 7
	v_cvt_f16_f32_e32 v14, v19
	v_cvt_f16_f32_e32 v15, v20
	v_cvt_f16_f32_e32 v0, v18
	v_cvt_f16_f32_e32 v21, v21
	v_cvt_f32_f16_e32 v19, v14
	v_cvt_f32_f16_e32 v20, v15
	s_waitcnt lgkmcnt(0)
	v_perm_b32 v15, v35, v34, s62
	v_perm_b32 v14, v26, v25, s62
	v_cvt_f32_f16_e32 v18, v0
	v_cvt_f32_f16_e32 v21, v21
	s_nop 1
	v_mfma_f32_16x16x16_f16 v[18:21], v[14:15], v[22:23], v[18:21]
	ds_read_u16 v14, v183 offset:11712
	ds_read_u16 v15, v183 offset:11952
	;; [unrolled: 1-line block ×4, first 2 shown]
	s_waitcnt lgkmcnt(0)
	s_barrier
	s_nop 1
	v_cvt_f16_f32_e32 v18, v18
	v_cvt_f16_f32_e32 v19, v19
	;; [unrolled: 1-line block ×4, first 2 shown]
	v_perm_b32 v23, v23, v22, s62
	v_perm_b32 v22, v15, v14, s62
	v_cvt_f32_f16_e32 v18, v18
	v_cvt_f32_f16_e32 v19, v19
	;; [unrolled: 1-line block ×4, first 2 shown]
	s_nop 1
	v_mfma_f32_16x16x16_f16 v[14:17], v[22:23], v[16:17], v[18:21]
	s_nop 7
	v_cvt_f16_f32_e32 v0, v16
	v_cvt_f16_f32_e32 v16, v17
	v_perm_b32 v16, v16, v0, s62
	ds_bpermute_b32 v0, v36, v24
	s_waitcnt lgkmcnt(0)
	v_add_f32_e32 v0, v24, v0
	ds_bpermute_b32 v17, v31, v0
	s_waitcnt lgkmcnt(0)
	v_add_f32_e32 v31, v0, v17
	s_cbranch_vccnz .LBB19_295
; %bb.294:                              ;   in Loop: Header=BB19_13 Depth=1
	v_cvt_pk_f16_f32 v0, v2, v3
	v_cvt_pk_f16_f32 v3, v4, v5
	;; [unrolled: 1-line block ×3, first 2 shown]
	global_load_dword v6, v[92:93], off
	v_max_f32_e32 v7, v30, v30
	v_cvt_pk_f16_f32 v5, v8, v9
	v_cvt_pk_f16_f32 v10, v10, v11
	;; [unrolled: 1-line block ×4, first 2 shown]
	s_waitcnt vmcnt(0)
	v_max_f32_e32 v2, v6, v6
	v_max_f32_e32 v2, v7, v2
	v_sub_f32_e32 v7, v30, v2
	v_mul_f32_e32 v8, 0x3fb8aa3b, v7
	v_fma_f32 v9, v7, s44, -v8
	v_rndne_f32_e32 v13, v8
	v_fmac_f32_e32 v9, 0x32a5705f, v7
	v_sub_f32_e32 v8, v8, v13
	v_add_f32_e32 v8, v8, v9
	v_exp_f32_e32 v8, v8
	v_cvt_i32_f32_e32 v9, v13
	v_cmp_ngt_f32_e32 vcc, s33, v7
	v_sub_f32_e32 v14, v6, v2
	v_ldexp_f32 v8, v8, v9
	v_cndmask_b32_e32 v8, 0, v8, vcc
	v_cmp_nlt_f32_e32 vcc, s61, v7
	s_nop 1
	v_cndmask_b32_e32 v8, v81, v8, vcc
	v_cmp_le_f32_e32 vcc, s58, v7
	s_nop 1
	v_cndmask_b32_e32 v13, 0, v8, vcc
	v_cvt_f16_f32_e32 v6, v13
	v_cmp_ngt_f32_e32 vcc, s33, v14
	v_mul_u32_u24_e32 v15, 0x10001, v6
	v_pk_mul_f16 v9, v0, v15
	v_mul_f32_e32 v0, 0x3fb8aa3b, v14
	v_pk_mul_f16 v8, v3, v15
	v_pk_mul_f16 v7, v4, v15
	;; [unrolled: 1-line block ×3, first 2 shown]
	v_fma_f32 v3, v14, s44, -v0
	v_rndne_f32_e32 v11, v0
	v_fmac_f32_e32 v3, 0x32a5705f, v14
	v_sub_f32_e32 v0, v0, v11
	v_add_f32_e32 v0, v0, v3
	v_exp_f32_e32 v0, v0
	v_cvt_i32_f32_e32 v3, v11
	v_pk_mul_f16 v1, v1, v15
	v_pk_mul_f16 v27, v27, v15
	v_pk_mul_f16 v32, v32, v15
	v_ldexp_f32 v0, v0, v3
	v_cndmask_b32_e32 v0, 0, v0, vcc
	v_cmp_nlt_f32_e32 vcc, s61, v14
	v_pk_mul_f16 v6, v5, v15
	v_pk_mul_f16 v33, v33, v15
	v_cndmask_b32_e32 v3, v81, v0, vcc
	v_fmac_f32_e32 v3, v31, v13
	v_pk_mul_f16 v5, v10, v15
	v_pk_mul_f16 v29, v29, v15
	;; [unrolled: 1-line block ×5, first 2 shown]
	v_mov_b64_e32 v[30:31], v[2:3]
	s_branch .LBB19_296
.LBB19_295:                             ;   in Loop: Header=BB19_13 Depth=1
	v_cvt_f16_f32_e32 v0, v2
	v_cvt_f16_f32_e32 v2, v3
	;; [unrolled: 1-line block ×14, first 2 shown]
	v_perm_b32 v4, v9, v4, s62
	v_perm_b32 v5, v10, v5, s62
	;; [unrolled: 1-line block ×7, first 2 shown]
.LBB19_296:                             ;   in Loop: Header=BB19_13 Depth=1
	s_mov_b64 s[38:39], exec
	v_readlane_b32 s50, v255, 11
	v_readlane_b32 s51, v255, 12
	s_and_b64 s[50:51], s[38:39], s[50:51]
	s_mov_b64 exec, s[50:51]
	s_cbranch_execz .LBB19_298
; %bb.297:                              ;   in Loop: Header=BB19_13 Depth=1
	scratch_load_dword v0, off, off offset:104 ; 4-byte Folded Reload
	s_waitcnt vmcnt(0)
	ds_write2_b32 v0, v30, v31 offset0:56 offset1:57
.LBB19_298:                             ;   in Loop: Header=BB19_13 Depth=1
	s_or_b64 exec, exec, s[38:39]
	s_waitcnt lgkmcnt(0)
	s_barrier
	ds_write2_b32 v186, v9, v1 offset1:1
	ds_write2_b32 v186, v8, v27 offset0:8 offset1:9
	ds_write2_b32 v186, v7, v32 offset0:16 offset1:17
	ds_write2_b32 v186, v6, v33 offset0:24 offset1:25
	ds_write2_b32 v186, v5, v29 offset0:32 offset1:33
	ds_write2_b32 v186, v4, v28 offset0:40 offset1:41
	ds_write2_b32 v186, v10, v16 offset0:48 offset1:49
	v_mov_b32_e32 v1, 50
	s_waitcnt lgkmcnt(0)
	s_barrier
	s_and_saveexec_b64 s[38:39], s[40:41]
	s_cbranch_execz .LBB19_300
; %bb.299:                              ;   in Loop: Header=BB19_13 Depth=1
	scratch_load_dword v0, off, off offset:28 ; 4-byte Folded Reload
	s_waitcnt vmcnt(0)
	ds_read_b32 v4, v0 offset:228
	scratch_load_dword v0, off, off offset:32 ; 4-byte Folded Reload
	s_waitcnt vmcnt(0)
	ds_read_b32 v2, v0
	v_mad_u64_u32 v[0:1], s[40:41], v86, s57, v[38:39]
	v_ashrrev_i32_e32 v1, 31, v0
	v_lshl_add_u64 v[0:1], v[0:1], 3, v[90:91]
	s_waitcnt lgkmcnt(0)
	v_cvt_f32_f16_sdwa v3, v2 dst_sel:DWORD dst_unused:UNUSED_PAD src0_sel:WORD_1
	v_cvt_f32_f16_e32 v2, v2
	v_pk_add_f32 v[2:3], v[2:3], 0 op_sel_hi:[1,0]
	s_nop 0
	v_div_scale_f32 v5, s[40:41], v4, v4, v3
	v_rcp_f32_e32 v6, v5
	s_nop 0
	v_fma_f32 v7, -v5, v6, 1.0
	v_fmac_f32_e32 v6, v7, v6
	v_div_scale_f32 v7, vcc, v3, v4, v3
	v_mul_f32_e32 v8, v7, v6
	v_fma_f32 v9, -v5, v8, v7
	v_fmac_f32_e32 v8, v9, v6
	v_fma_f32 v5, -v5, v8, v7
	v_div_fmas_f32 v5, v5, v6, v8
	v_div_fixup_f32 v3, v5, v4, v3
	v_div_scale_f32 v5, s[40:41], v4, v4, v2
	v_rcp_f32_e32 v6, v5
	s_nop 0
	v_fma_f32 v7, -v5, v6, 1.0
	v_fmac_f32_e32 v6, v7, v6
	v_div_scale_f32 v7, vcc, v2, v4, v2
	v_mul_f32_e32 v8, v7, v6
	v_fma_f32 v9, -v5, v8, v7
	v_fmac_f32_e32 v8, v9, v6
	v_fma_f32 v5, -v5, v8, v7
	v_div_fmas_f32 v5, v5, v6, v8
	v_div_fixup_f32 v2, v5, v4, v2
	global_store_dwordx2 v[0:1], v[2:3], off
	v_mov_b32_e32 v1, 0
.LBB19_300:                             ;   in Loop: Header=BB19_13 Depth=1
	s_or_b64 exec, exec, s[38:39]
	v_cmp_gt_i32_e32 vcc, 50, v1
	s_mov_b64 s[40:41], -1
	s_and_saveexec_b64 s[38:39], vcc
; %bb.301:                              ;   in Loop: Header=BB19_13 Depth=1
	v_cmp_eq_u32_e32 vcc, 0, v1
	s_orn2_b64 s[40:41], vcc, exec
; %bb.302:                              ;   in Loop: Header=BB19_13 Depth=1
	s_or_b64 exec, exec, s[38:39]
	s_and_saveexec_b64 s[38:39], s[40:41]
	s_cbranch_execz .LBB19_335
; %bb.303:                              ;   in Loop: Header=BB19_13 Depth=1
	v_mov_b32_e32 v1, 50
	s_mov_b64 s[40:41], exec
	v_readlane_b32 s50, v255, 16
	v_readlane_b32 s51, v255, 17
	s_and_b64 s[50:51], s[40:41], s[50:51]
	s_mov_b64 exec, s[50:51]
	s_cbranch_execz .LBB19_305
; %bb.304:                              ;   in Loop: Header=BB19_13 Depth=1
	scratch_load_dword v0, off, off offset:116 ; 4-byte Folded Reload
	s_waitcnt vmcnt(0)
	ds_read_b32 v4, v0 offset:228
	scratch_load_dword v0, off, off offset:120 ; 4-byte Folded Reload
	s_waitcnt vmcnt(0)
	ds_read_b32 v2, v0
	v_mad_u64_u32 v[0:1], s[50:51], v241, s57, v[38:39]
	v_ashrrev_i32_e32 v1, 31, v0
	v_lshl_add_u64 v[0:1], v[0:1], 3, v[90:91]
	s_waitcnt lgkmcnt(0)
	v_cvt_f32_f16_sdwa v3, v2 dst_sel:DWORD dst_unused:UNUSED_PAD src0_sel:WORD_1
	v_cvt_f32_f16_e32 v2, v2
	v_pk_add_f32 v[2:3], v[2:3], 0 op_sel_hi:[1,0]
	s_nop 0
	v_div_scale_f32 v5, s[50:51], v4, v4, v3
	v_rcp_f32_e32 v6, v5
	s_nop 0
	v_fma_f32 v7, -v5, v6, 1.0
	v_fmac_f32_e32 v6, v7, v6
	v_div_scale_f32 v7, vcc, v3, v4, v3
	v_mul_f32_e32 v8, v7, v6
	v_fma_f32 v9, -v5, v8, v7
	v_fmac_f32_e32 v8, v9, v6
	v_fma_f32 v5, -v5, v8, v7
	v_div_fmas_f32 v5, v5, v6, v8
	v_div_fixup_f32 v3, v5, v4, v3
	v_div_scale_f32 v5, s[50:51], v4, v4, v2
	v_rcp_f32_e32 v6, v5
	s_nop 0
	v_fma_f32 v7, -v5, v6, 1.0
	v_fmac_f32_e32 v6, v7, v6
	v_div_scale_f32 v7, vcc, v2, v4, v2
	v_mul_f32_e32 v8, v7, v6
	v_fma_f32 v9, -v5, v8, v7
	v_fmac_f32_e32 v8, v9, v6
	v_fma_f32 v5, -v5, v8, v7
	v_div_fmas_f32 v5, v5, v6, v8
	v_div_fixup_f32 v2, v5, v4, v2
	global_store_dwordx2 v[0:1], v[2:3], off
	v_mov_b32_e32 v1, 0
.LBB19_305:                             ;   in Loop: Header=BB19_13 Depth=1
	s_or_b64 exec, exec, s[40:41]
	v_cmp_gt_i32_e32 vcc, 50, v1
	s_mov_b64 s[40:41], -1
	s_and_saveexec_b64 s[50:51], vcc
; %bb.306:                              ;   in Loop: Header=BB19_13 Depth=1
	v_cmp_eq_u32_e32 vcc, 0, v1
	s_orn2_b64 s[40:41], vcc, exec
; %bb.307:                              ;   in Loop: Header=BB19_13 Depth=1
	s_or_b64 exec, exec, s[50:51]
	s_and_b64 exec, exec, s[40:41]
	s_cbranch_execz .LBB19_335
; %bb.308:                              ;   in Loop: Header=BB19_13 Depth=1
	v_mov_b32_e32 v1, 50
	s_mov_b64 s[40:41], exec
	v_readlane_b32 s50, v255, 18
	v_readlane_b32 s51, v255, 19
	s_and_b64 s[50:51], s[40:41], s[50:51]
	s_mov_b64 exec, s[50:51]
	s_cbranch_execz .LBB19_310
; %bb.309:                              ;   in Loop: Header=BB19_13 Depth=1
	scratch_load_dword v0, off, off offset:152 ; 4-byte Folded Reload
	s_waitcnt vmcnt(0)
	ds_read_b32 v4, v0 offset:228
	scratch_load_dword v0, off, off offset:156 ; 4-byte Folded Reload
	s_waitcnt vmcnt(0)
	ds_read_b32 v2, v0
	v_mad_u64_u32 v[0:1], s[50:51], v211, s57, v[38:39]
	v_ashrrev_i32_e32 v1, 31, v0
	v_lshl_add_u64 v[0:1], v[0:1], 3, v[90:91]
	s_waitcnt lgkmcnt(0)
	v_cvt_f32_f16_sdwa v3, v2 dst_sel:DWORD dst_unused:UNUSED_PAD src0_sel:WORD_1
	v_cvt_f32_f16_e32 v2, v2
	v_pk_add_f32 v[2:3], v[2:3], 0 op_sel_hi:[1,0]
	s_nop 0
	v_div_scale_f32 v5, s[50:51], v4, v4, v3
	v_rcp_f32_e32 v6, v5
	s_nop 0
	v_fma_f32 v7, -v5, v6, 1.0
	v_fmac_f32_e32 v6, v7, v6
	v_div_scale_f32 v7, vcc, v3, v4, v3
	v_mul_f32_e32 v8, v7, v6
	v_fma_f32 v9, -v5, v8, v7
	v_fmac_f32_e32 v8, v9, v6
	v_fma_f32 v5, -v5, v8, v7
	v_div_fmas_f32 v5, v5, v6, v8
	v_div_fixup_f32 v3, v5, v4, v3
	v_div_scale_f32 v5, s[50:51], v4, v4, v2
	v_rcp_f32_e32 v6, v5
	s_nop 0
	v_fma_f32 v7, -v5, v6, 1.0
	v_fmac_f32_e32 v6, v7, v6
	v_div_scale_f32 v7, vcc, v2, v4, v2
	v_mul_f32_e32 v8, v7, v6
	v_fma_f32 v9, -v5, v8, v7
	v_fmac_f32_e32 v8, v9, v6
	v_fma_f32 v5, -v5, v8, v7
	v_div_fmas_f32 v5, v5, v6, v8
	v_div_fixup_f32 v2, v5, v4, v2
	global_store_dwordx2 v[0:1], v[2:3], off
	v_mov_b32_e32 v1, 0
.LBB19_310:                             ;   in Loop: Header=BB19_13 Depth=1
	s_or_b64 exec, exec, s[40:41]
	v_cmp_gt_i32_e32 vcc, 50, v1
	s_mov_b64 s[40:41], -1
	s_and_saveexec_b64 s[50:51], vcc
; %bb.311:                              ;   in Loop: Header=BB19_13 Depth=1
	v_cmp_eq_u32_e32 vcc, 0, v1
	s_orn2_b64 s[40:41], vcc, exec
; %bb.312:                              ;   in Loop: Header=BB19_13 Depth=1
	s_or_b64 exec, exec, s[50:51]
	s_and_b64 exec, exec, s[40:41]
	;; [unrolled: 61-line block ×6, first 2 shown]
	s_cbranch_execz .LBB19_335
; %bb.333:                              ;   in Loop: Header=BB19_13 Depth=1
	v_readlane_b32 s40, v255, 28
	v_readlane_b32 s41, v255, 29
	s_and_b64 exec, exec, s[40:41]
	s_cbranch_execz .LBB19_335
; %bb.334:                              ;   in Loop: Header=BB19_13 Depth=1
	scratch_load_dword v0, off, off offset:220 ; 4-byte Folded Reload
	s_waitcnt vmcnt(0)
	ds_read_b32 v4, v0 offset:228
	scratch_load_dword v0, off, off offset:224 ; 4-byte Folded Reload
	s_waitcnt vmcnt(0)
	ds_read_b32 v2, v0
	v_mad_u64_u32 v[0:1], s[40:41], v80, s57, v[38:39]
	v_ashrrev_i32_e32 v1, 31, v0
	v_lshl_add_u64 v[0:1], v[0:1], 3, v[90:91]
	s_waitcnt lgkmcnt(0)
	v_cvt_f32_f16_sdwa v3, v2 dst_sel:DWORD dst_unused:UNUSED_PAD src0_sel:WORD_1
	v_cvt_f32_f16_e32 v2, v2
	v_pk_add_f32 v[2:3], v[2:3], 0 op_sel_hi:[1,0]
	s_nop 0
	v_div_scale_f32 v5, s[40:41], v4, v4, v3
	v_rcp_f32_e32 v6, v5
	s_nop 0
	v_fma_f32 v7, -v5, v6, 1.0
	v_fmac_f32_e32 v6, v7, v6
	v_div_scale_f32 v7, vcc, v3, v4, v3
	v_mul_f32_e32 v8, v7, v6
	v_fma_f32 v9, -v5, v8, v7
	v_fmac_f32_e32 v8, v9, v6
	v_fma_f32 v5, -v5, v8, v7
	v_div_fmas_f32 v5, v5, v6, v8
	v_div_fixup_f32 v3, v5, v4, v3
	v_div_scale_f32 v5, s[40:41], v4, v4, v2
	v_rcp_f32_e32 v6, v5
	s_nop 0
	v_fma_f32 v7, -v5, v6, 1.0
	v_fmac_f32_e32 v6, v7, v6
	v_div_scale_f32 v7, vcc, v2, v4, v2
	v_mul_f32_e32 v8, v7, v6
	v_fma_f32 v9, -v5, v8, v7
	v_fmac_f32_e32 v8, v9, v6
	v_fma_f32 v5, -v5, v8, v7
	v_div_fmas_f32 v5, v5, v6, v8
	v_div_fixup_f32 v2, v5, v4, v2
	global_store_dwordx2 v[0:1], v[2:3], off
.LBB19_335:                             ;   in Loop: Header=BB19_13 Depth=1
	s_or_b64 exec, exec, s[38:39]
	v_mov_b32_e32 v1, 50
	s_mov_b64 s[38:39], exec
	v_readlane_b32 s40, v255, 30
	v_readlane_b32 s41, v255, 31
	s_and_b64 s[40:41], s[38:39], s[40:41]
	s_mov_b64 exec, s[40:41]
	s_cbranch_execz .LBB19_337
; %bb.336:                              ;   in Loop: Header=BB19_13 Depth=1
	scratch_load_dword v1, off, off offset:36 ; 4-byte Folded Reload
	v_mul_lo_u32 v0, v79, s57
	s_waitcnt vmcnt(0)
	ds_read_b32 v4, v1 offset:228
	ds_read_b32 v2, v229 offset:128
	v_ashrrev_i32_e32 v1, 31, v0
	v_lshl_add_u64 v[0:1], v[0:1], 0, v[40:41]
	v_lshl_add_u64 v[0:1], v[0:1], 3, v[90:91]
	s_waitcnt lgkmcnt(0)
	v_cvt_f32_f16_sdwa v3, v2 dst_sel:DWORD dst_unused:UNUSED_PAD src0_sel:WORD_1
	v_cvt_f32_f16_e32 v2, v2
	v_pk_add_f32 v[2:3], v[2:3], 0 op_sel_hi:[1,0]
	s_nop 0
	v_div_scale_f32 v5, s[40:41], v4, v4, v3
	v_rcp_f32_e32 v6, v5
	s_nop 0
	v_fma_f32 v7, -v5, v6, 1.0
	v_fmac_f32_e32 v6, v7, v6
	v_div_scale_f32 v7, vcc, v3, v4, v3
	v_mul_f32_e32 v8, v7, v6
	v_fma_f32 v9, -v5, v8, v7
	v_fmac_f32_e32 v8, v9, v6
	v_fma_f32 v5, -v5, v8, v7
	v_div_fmas_f32 v5, v5, v6, v8
	v_div_fixup_f32 v3, v5, v4, v3
	v_div_scale_f32 v5, s[40:41], v4, v4, v2
	v_rcp_f32_e32 v6, v5
	s_nop 0
	v_fma_f32 v7, -v5, v6, 1.0
	v_fmac_f32_e32 v6, v7, v6
	v_div_scale_f32 v7, vcc, v2, v4, v2
	v_mul_f32_e32 v8, v7, v6
	v_fma_f32 v9, -v5, v8, v7
	v_fmac_f32_e32 v8, v9, v6
	v_fma_f32 v5, -v5, v8, v7
	v_div_fmas_f32 v5, v5, v6, v8
	v_div_fixup_f32 v2, v5, v4, v2
	global_store_dwordx2 v[0:1], v[2:3], off offset:256
	v_mov_b32_e32 v1, 0
.LBB19_337:                             ;   in Loop: Header=BB19_13 Depth=1
	s_or_b64 exec, exec, s[38:39]
	v_cmp_gt_i32_e32 vcc, 50, v1
	s_mov_b64 s[40:41], -1
	s_and_saveexec_b64 s[38:39], vcc
; %bb.338:                              ;   in Loop: Header=BB19_13 Depth=1
	v_cmp_eq_u32_e32 vcc, 0, v1
	s_orn2_b64 s[40:41], vcc, exec
; %bb.339:                              ;   in Loop: Header=BB19_13 Depth=1
	s_or_b64 exec, exec, s[38:39]
	s_and_saveexec_b64 s[38:39], s[40:41]
	s_cbranch_execz .LBB19_352
; %bb.340:                              ;   in Loop: Header=BB19_13 Depth=1
	v_mov_b32_e32 v1, 50
	s_mov_b64 s[40:41], exec
	v_readlane_b32 s50, v255, 32
	v_readlane_b32 s51, v255, 33
	s_and_b64 s[50:51], s[40:41], s[50:51]
	s_mov_b64 exec, s[50:51]
	s_cbranch_execz .LBB19_342
; %bb.341:                              ;   in Loop: Header=BB19_13 Depth=1
	scratch_load_dword v1, off, off offset:124 ; 4-byte Folded Reload
	v_mul_lo_u32 v0, v78, s57
	s_waitcnt vmcnt(0)
	ds_read_b32 v4, v1 offset:228
	scratch_load_dword v1, off, off offset:128 ; 4-byte Folded Reload
	s_waitcnt vmcnt(0)
	ds_read_b32 v2, v1 offset:128
	v_ashrrev_i32_e32 v1, 31, v0
	v_lshl_add_u64 v[0:1], v[0:1], 0, v[40:41]
	v_lshl_add_u64 v[0:1], v[0:1], 3, v[90:91]
	s_waitcnt lgkmcnt(0)
	v_cvt_f32_f16_sdwa v3, v2 dst_sel:DWORD dst_unused:UNUSED_PAD src0_sel:WORD_1
	v_cvt_f32_f16_e32 v2, v2
	v_pk_add_f32 v[2:3], v[2:3], 0 op_sel_hi:[1,0]
	s_nop 0
	v_div_scale_f32 v5, s[50:51], v4, v4, v3
	v_rcp_f32_e32 v6, v5
	s_nop 0
	v_fma_f32 v7, -v5, v6, 1.0
	v_fmac_f32_e32 v6, v7, v6
	v_div_scale_f32 v7, vcc, v3, v4, v3
	v_mul_f32_e32 v8, v7, v6
	v_fma_f32 v9, -v5, v8, v7
	v_fmac_f32_e32 v8, v9, v6
	v_fma_f32 v5, -v5, v8, v7
	v_div_fmas_f32 v5, v5, v6, v8
	v_div_fixup_f32 v3, v5, v4, v3
	v_div_scale_f32 v5, s[50:51], v4, v4, v2
	v_rcp_f32_e32 v6, v5
	s_nop 0
	v_fma_f32 v7, -v5, v6, 1.0
	v_fmac_f32_e32 v6, v7, v6
	v_div_scale_f32 v7, vcc, v2, v4, v2
	v_mul_f32_e32 v8, v7, v6
	v_fma_f32 v9, -v5, v8, v7
	v_fmac_f32_e32 v8, v9, v6
	v_fma_f32 v5, -v5, v8, v7
	v_div_fmas_f32 v5, v5, v6, v8
	v_div_fixup_f32 v2, v5, v4, v2
	global_store_dwordx2 v[0:1], v[2:3], off offset:256
	v_mov_b32_e32 v1, 0
.LBB19_342:                             ;   in Loop: Header=BB19_13 Depth=1
	s_or_b64 exec, exec, s[40:41]
	v_cmp_gt_i32_e32 vcc, 50, v1
	s_mov_b64 s[40:41], -1
	s_and_saveexec_b64 s[50:51], vcc
; %bb.343:                              ;   in Loop: Header=BB19_13 Depth=1
	v_cmp_eq_u32_e32 vcc, 0, v1
	s_orn2_b64 s[40:41], vcc, exec
; %bb.344:                              ;   in Loop: Header=BB19_13 Depth=1
	s_or_b64 exec, exec, s[50:51]
	s_and_b64 exec, exec, s[40:41]
	s_cbranch_execz .LBB19_352
; %bb.345:                              ;   in Loop: Header=BB19_13 Depth=1
	v_mov_b32_e32 v1, 50
	s_mov_b64 s[40:41], exec
	v_readlane_b32 s50, v255, 34
	v_readlane_b32 s51, v255, 35
	s_and_b64 s[50:51], s[40:41], s[50:51]
	s_mov_b64 exec, s[50:51]
	s_cbranch_execz .LBB19_347
; %bb.346:                              ;   in Loop: Header=BB19_13 Depth=1
	scratch_load_dword v1, off, off offset:160 ; 4-byte Folded Reload
	v_mul_lo_u32 v0, v239, s57
	s_waitcnt vmcnt(0)
	ds_read_b32 v4, v1 offset:228
	scratch_load_dword v1, off, off offset:164 ; 4-byte Folded Reload
	s_waitcnt vmcnt(0)
	ds_read_b32 v2, v1 offset:128
	v_ashrrev_i32_e32 v1, 31, v0
	v_lshl_add_u64 v[0:1], v[0:1], 0, v[40:41]
	v_lshl_add_u64 v[0:1], v[0:1], 3, v[90:91]
	s_waitcnt lgkmcnt(0)
	v_cvt_f32_f16_sdwa v3, v2 dst_sel:DWORD dst_unused:UNUSED_PAD src0_sel:WORD_1
	v_cvt_f32_f16_e32 v2, v2
	v_pk_add_f32 v[2:3], v[2:3], 0 op_sel_hi:[1,0]
	s_nop 0
	v_div_scale_f32 v5, s[50:51], v4, v4, v3
	v_rcp_f32_e32 v6, v5
	s_nop 0
	v_fma_f32 v7, -v5, v6, 1.0
	v_fmac_f32_e32 v6, v7, v6
	v_div_scale_f32 v7, vcc, v3, v4, v3
	v_mul_f32_e32 v8, v7, v6
	v_fma_f32 v9, -v5, v8, v7
	v_fmac_f32_e32 v8, v9, v6
	v_fma_f32 v5, -v5, v8, v7
	v_div_fmas_f32 v5, v5, v6, v8
	v_div_fixup_f32 v3, v5, v4, v3
	v_div_scale_f32 v5, s[50:51], v4, v4, v2
	v_rcp_f32_e32 v6, v5
	s_nop 0
	v_fma_f32 v7, -v5, v6, 1.0
	v_fmac_f32_e32 v6, v7, v6
	v_div_scale_f32 v7, vcc, v2, v4, v2
	v_mul_f32_e32 v8, v7, v6
	v_fma_f32 v9, -v5, v8, v7
	v_fmac_f32_e32 v8, v9, v6
	v_fma_f32 v5, -v5, v8, v7
	v_div_fmas_f32 v5, v5, v6, v8
	v_div_fixup_f32 v2, v5, v4, v2
	global_store_dwordx2 v[0:1], v[2:3], off offset:256
	v_mov_b32_e32 v1, 0
.LBB19_347:                             ;   in Loop: Header=BB19_13 Depth=1
	s_or_b64 exec, exec, s[40:41]
	v_cmp_gt_i32_e32 vcc, 50, v1
	s_mov_b64 s[40:41], -1
	s_and_saveexec_b64 s[50:51], vcc
; %bb.348:                              ;   in Loop: Header=BB19_13 Depth=1
	v_cmp_eq_u32_e32 vcc, 0, v1
	s_orn2_b64 s[40:41], vcc, exec
; %bb.349:                              ;   in Loop: Header=BB19_13 Depth=1
	s_or_b64 exec, exec, s[50:51]
	s_and_b64 exec, exec, s[40:41]
	s_cbranch_execz .LBB19_352
; %bb.350:                              ;   in Loop: Header=BB19_13 Depth=1
	v_readlane_b32 s40, v255, 36
	v_readlane_b32 s41, v255, 37
	s_and_b64 exec, exec, s[40:41]
	s_cbranch_execz .LBB19_352
; %bb.351:                              ;   in Loop: Header=BB19_13 Depth=1
	scratch_load_dword v1, off, off offset:180 ; 4-byte Folded Reload
	v_mul_lo_u32 v0, v89, s57
	s_waitcnt vmcnt(0)
	ds_read_b32 v4, v1 offset:228
	scratch_load_dword v1, off, off offset:184 ; 4-byte Folded Reload
	s_waitcnt vmcnt(0)
	ds_read_b32 v2, v1 offset:128
	v_ashrrev_i32_e32 v1, 31, v0
	v_lshl_add_u64 v[0:1], v[0:1], 0, v[40:41]
	v_lshl_add_u64 v[0:1], v[0:1], 3, v[90:91]
	s_waitcnt lgkmcnt(0)
	v_cvt_f32_f16_sdwa v3, v2 dst_sel:DWORD dst_unused:UNUSED_PAD src0_sel:WORD_1
	v_cvt_f32_f16_e32 v2, v2
	v_pk_add_f32 v[2:3], v[2:3], 0 op_sel_hi:[1,0]
	s_nop 0
	v_div_scale_f32 v5, s[40:41], v4, v4, v3
	v_rcp_f32_e32 v6, v5
	s_nop 0
	v_fma_f32 v7, -v5, v6, 1.0
	v_fmac_f32_e32 v6, v7, v6
	v_div_scale_f32 v7, vcc, v3, v4, v3
	v_mul_f32_e32 v8, v7, v6
	v_fma_f32 v9, -v5, v8, v7
	v_fmac_f32_e32 v8, v9, v6
	v_fma_f32 v5, -v5, v8, v7
	v_div_fmas_f32 v5, v5, v6, v8
	v_div_fixup_f32 v3, v5, v4, v3
	v_div_scale_f32 v5, s[40:41], v4, v4, v2
	v_rcp_f32_e32 v6, v5
	s_nop 0
	v_fma_f32 v7, -v5, v6, 1.0
	v_fmac_f32_e32 v6, v7, v6
	v_div_scale_f32 v7, vcc, v2, v4, v2
	v_mul_f32_e32 v8, v7, v6
	v_fma_f32 v9, -v5, v8, v7
	v_fmac_f32_e32 v8, v9, v6
	v_fma_f32 v5, -v5, v8, v7
	v_div_fmas_f32 v5, v5, v6, v8
	v_div_fixup_f32 v2, v5, v4, v2
	global_store_dwordx2 v[0:1], v[2:3], off offset:256
.LBB19_352:                             ;   in Loop: Header=BB19_13 Depth=1
	s_or_b64 exec, exec, s[38:39]
	v_mov_b32_e32 v1, 50
	s_mov_b64 s[38:39], exec
	v_readlane_b32 s40, v255, 38
	v_readlane_b32 s41, v255, 39
	s_and_b64 s[40:41], s[38:39], s[40:41]
	s_mov_b64 exec, s[40:41]
	s_cbranch_execz .LBB19_354
; %bb.353:                              ;   in Loop: Header=BB19_13 Depth=1
	scratch_load_dword v1, off, off offset:24 ; 4-byte Folded Reload
	v_mul_lo_u32 v0, v88, s57
	s_waitcnt vmcnt(0)
	ds_read_b32 v4, v1 offset:228
	ds_read_b32 v2, v199 offset:192
	v_ashrrev_i32_e32 v1, 31, v0
	v_lshl_add_u64 v[0:1], v[0:1], 0, v[72:73]
	v_lshl_add_u64 v[0:1], v[0:1], 3, v[90:91]
	s_waitcnt lgkmcnt(0)
	v_cvt_f32_f16_sdwa v3, v2 dst_sel:DWORD dst_unused:UNUSED_PAD src0_sel:WORD_1
	v_cvt_f32_f16_e32 v2, v2
	v_pk_add_f32 v[2:3], v[2:3], 0 op_sel_hi:[1,0]
	s_nop 0
	v_div_scale_f32 v5, s[40:41], v4, v4, v3
	v_rcp_f32_e32 v6, v5
	s_nop 0
	v_fma_f32 v7, -v5, v6, 1.0
	v_fmac_f32_e32 v6, v7, v6
	v_div_scale_f32 v7, vcc, v3, v4, v3
	v_mul_f32_e32 v8, v7, v6
	v_fma_f32 v9, -v5, v8, v7
	v_fmac_f32_e32 v8, v9, v6
	v_fma_f32 v5, -v5, v8, v7
	v_div_fmas_f32 v5, v5, v6, v8
	v_div_fixup_f32 v3, v5, v4, v3
	v_div_scale_f32 v5, s[40:41], v4, v4, v2
	v_rcp_f32_e32 v6, v5
	s_nop 0
	v_fma_f32 v7, -v5, v6, 1.0
	v_fmac_f32_e32 v6, v7, v6
	v_div_scale_f32 v7, vcc, v2, v4, v2
	v_mul_f32_e32 v8, v7, v6
	v_fma_f32 v9, -v5, v8, v7
	v_fmac_f32_e32 v8, v9, v6
	v_fma_f32 v5, -v5, v8, v7
	v_div_fmas_f32 v5, v5, v6, v8
	v_div_fixup_f32 v2, v5, v4, v2
	global_store_dwordx2 v[0:1], v[2:3], off offset:384
	v_mov_b32_e32 v1, 0
.LBB19_354:                             ;   in Loop: Header=BB19_13 Depth=1
	s_or_b64 exec, exec, s[38:39]
	v_cmp_gt_i32_e32 vcc, 50, v1
	s_mov_b64 s[40:41], -1
	s_and_saveexec_b64 s[38:39], vcc
; %bb.355:                              ;   in Loop: Header=BB19_13 Depth=1
	v_cmp_eq_u32_e32 vcc, 0, v1
	s_orn2_b64 s[40:41], vcc, exec
; %bb.356:                              ;   in Loop: Header=BB19_13 Depth=1
	s_or_b64 exec, exec, s[38:39]
                                        ; implicit-def: $vgpr2_vgpr3
	s_and_saveexec_b64 s[38:39], s[40:41]
	s_cbranch_execz .LBB19_360
; %bb.357:                              ;   in Loop: Header=BB19_13 Depth=1
	s_mov_b64 s[50:51], s[2:3]
                                        ; implicit-def: $vgpr2_vgpr3
	s_mov_b64 s[40:41], exec
	v_readlane_b32 s52, v255, 40
	v_readlane_b32 s53, v255, 41
	s_and_b64 s[52:53], s[40:41], s[52:53]
	s_mov_b64 exec, s[52:53]
	s_cbranch_execz .LBB19_359
; %bb.358:                              ;   in Loop: Header=BB19_13 Depth=1
	scratch_load_dword v0, off, off offset:112 ; 4-byte Folded Reload
	s_waitcnt vmcnt(0)
	ds_read_b32 v2, v0 offset:228
	ds_read_b32 v0, v200 offset:192
	s_waitcnt lgkmcnt(0)
	v_cvt_f32_f16_sdwa v1, v0 dst_sel:DWORD dst_unused:UNUSED_PAD src0_sel:WORD_1
	v_cvt_f32_f16_e32 v0, v0
	v_pk_add_f32 v[0:1], v[0:1], 0 op_sel_hi:[1,0]
	s_nop 0
	v_div_scale_f32 v3, s[50:51], v2, v2, v1
	v_rcp_f32_e32 v4, v3
	s_nop 0
	v_fma_f32 v5, -v3, v4, 1.0
	v_fmac_f32_e32 v4, v5, v4
	v_div_scale_f32 v5, vcc, v1, v2, v1
	v_mul_f32_e32 v6, v5, v4
	v_fma_f32 v7, -v3, v6, v5
	v_fmac_f32_e32 v6, v7, v4
	v_fma_f32 v3, -v3, v6, v5
	v_div_fmas_f32 v3, v3, v4, v6
	v_div_fixup_f32 v3, v3, v2, v1
	v_div_scale_f32 v1, s[50:51], v2, v2, v0
	v_rcp_f32_e32 v4, v1
	s_or_b64 s[50:51], s[2:3], exec
	v_fma_f32 v5, -v1, v4, 1.0
	v_fmac_f32_e32 v4, v5, v4
	v_div_scale_f32 v5, vcc, v0, v2, v0
	v_mul_f32_e32 v6, v5, v4
	v_fma_f32 v7, -v1, v6, v5
	v_fmac_f32_e32 v6, v7, v4
	v_fma_f32 v1, -v1, v6, v5
	v_div_fmas_f32 v1, v1, v4, v6
	v_div_fixup_f32 v2, v1, v2, v0
.LBB19_359:                             ;   in Loop: Header=BB19_13 Depth=1
	s_or_b64 exec, exec, s[40:41]
	s_andn2_b64 s[2:3], s[2:3], exec
	s_and_b64 s[40:41], s[50:51], exec
	s_or_b64 s[2:3], s[2:3], s[40:41]
.LBB19_360:                             ;   in Loop: Header=BB19_13 Depth=1
	s_or_b64 exec, exec, s[38:39]
.LBB19_361:                             ;   in Loop: Header=BB19_13 Depth=1
	s_and_saveexec_b64 s[38:39], s[2:3]
	s_cbranch_execz .LBB19_12
; %bb.362:                              ;   in Loop: Header=BB19_13 Depth=1
	v_mul_lo_u32 v0, v85, s57
	v_ashrrev_i32_e32 v1, 31, v0
	v_lshl_add_u64 v[0:1], v[0:1], 0, v[72:73]
	v_lshl_add_u64 v[0:1], v[0:1], 3, v[90:91]
	global_store_dwordx2 v[0:1], v[2:3], off offset:384
	s_branch .LBB19_12
.LBB19_363:
	v_writelane_b32 v254, s40, 54
	s_nop 1
	v_writelane_b32 v254, s41, 55
	v_writelane_b32 v254, s38, 56
	s_nop 1
	v_writelane_b32 v254, s39, 57
.LBB19_364:
	s_andn2_b64 vcc, exec, s[2:3]
	s_cbranch_vccnz .LBB19_492
; %bb.365:
	v_readlane_b32 s6, v254, 7
	s_abs_i32 s0, s6
	v_cvt_f32_u32_e32 v0, s0
	v_readlane_b32 s2, v254, 12
	v_readlane_b32 s3, v254, 13
	s_sub_i32 s3, 0, s0
	v_rcp_iflag_f32_e32 v0, v0
	s_mov_b32 s10, s2
	s_xor_b32 s1, s2, s6
	s_abs_i32 s2, s2
	v_mul_f32_e32 v0, 0x4f7ffffe, v0
	v_cvt_u32_f32_e32 v0, v0
	s_ashr_i32 s1, s1, 31
	v_readlane_b32 s8, v254, 6
	v_readlane_b32 s9, v254, 3
	v_readfirstlane_b32 s4, v0
	s_mul_i32 s3, s3, s4
	s_mul_hi_u32 s3, s4, s3
	s_add_i32 s4, s4, s3
	s_mul_hi_u32 s3, s2, s4
	s_mul_i32 s4, s3, s0
	s_sub_i32 s2, s2, s4
	s_add_i32 s5, s3, 1
	s_sub_i32 s4, s2, s0
	s_cmp_ge_u32 s2, s0
	s_cselect_b32 s3, s5, s3
	s_cselect_b32 s2, s4, s2
	s_add_i32 s4, s3, 1
	s_cmp_ge_u32 s2, s0
	s_cselect_b32 s0, s4, s3
	s_abs_i32 s2, s8
	v_cvt_f32_u32_e32 v0, s2
	s_xor_b32 s0, s0, s1
	s_sub_i32 s4, s0, s1
	s_sub_i32 s3, 0, s2
	v_rcp_iflag_f32_e32 v0, v0
	s_mul_i32 s0, s4, s6
	s_sub_i32 s0, s10, s0
	s_abs_i32 s5, s0
	v_mul_f32_e32 v0, 0x4f7ffffe, v0
	v_cvt_u32_f32_e32 v0, v0
	s_xor_b32 s1, s0, s8
	s_ashr_i32 s1, s1, 31
	v_readlane_b32 s12, v254, 32
	v_readfirstlane_b32 s6, v0
	s_mul_i32 s3, s3, s6
	s_mul_hi_u32 s3, s6, s3
	s_add_i32 s6, s6, s3
	s_mul_hi_u32 s3, s5, s6
	s_mul_i32 s6, s3, s2
	s_sub_i32 s5, s5, s6
	s_add_i32 s7, s3, 1
	s_sub_i32 s6, s5, s2
	s_cmp_ge_u32 s5, s2
	s_cselect_b32 s3, s7, s3
	s_cselect_b32 s5, s6, s5
	s_add_i32 s6, s3, 1
	s_cmp_ge_u32 s5, s2
	s_cselect_b32 s2, s6, s3
	s_abs_i32 s3, s9
	v_cvt_f32_u32_e32 v0, s3
	s_xor_b32 s2, s2, s1
	s_sub_i32 s6, 0, s3
	s_sub_i32 s5, s2, s1
	v_rcp_iflag_f32_e32 v0, v0
	s_mul_i32 s1, s5, s8
	s_sub_i32 s1, s0, s1
	s_abs_i32 s2, s1
	v_mul_f32_e32 v0, 0x4f7ffffe, v0
	v_cvt_u32_f32_e32 v0, v0
	s_xor_b32 s0, s1, s9
	s_ashr_i32 s0, s0, 31
	v_readlane_b32 s18, v254, 38
	v_readfirstlane_b32 s7, v0
	s_mul_i32 s6, s6, s7
	s_mul_hi_u32 s6, s7, s6
	s_add_i32 s7, s7, s6
	s_mul_hi_u32 s6, s2, s7
	s_mul_i32 s7, s6, s3
	s_sub_i32 s2, s2, s7
	s_add_i32 s8, s6, 1
	s_sub_i32 s7, s2, s3
	s_cmp_ge_u32 s2, s3
	s_cselect_b32 s6, s8, s6
	s_cselect_b32 s2, s7, s2
	s_add_i32 s7, s6, 1
	s_cmp_ge_u32 s2, s3
	s_cselect_b32 s2, s7, s6
	s_xor_b32 s2, s2, s0
	s_sub_i32 s0, s2, s0
	s_mul_i32 s2, s0, s9
	s_sub_i32 s1, s1, s2
	s_abs_i32 s8, s1
	v_readlane_b32 s2, v254, 30
	s_ashr_i32 s6, s4, 31
	v_readlane_b32 s19, v254, 39
	s_mul_hi_u32 s7, s8, s2
	s_cmp_eq_u64 s[18:19], 0
	s_mov_b64 s[44:45], 0
	v_readlane_b32 s13, v254, 33
	v_readlane_b32 s14, v254, 34
	v_readlane_b32 s15, v254, 35
	v_readlane_b32 s16, v254, 36
	v_readlane_b32 s17, v254, 37
	v_readlane_b32 s20, v254, 40
	v_readlane_b32 s21, v254, 41
	v_readlane_b32 s22, v254, 42
	v_readlane_b32 s23, v254, 43
	v_readlane_b32 s24, v254, 44
	v_readlane_b32 s25, v254, 45
	v_readlane_b32 s26, v254, 46
	v_readlane_b32 s27, v254, 47
	s_cbranch_scc1 .LBB19_367
; %bb.366:
	v_readlane_b32 s2, v254, 52
	s_abs_i32 s2, s2
	s_sub_i32 s9, 0, s2
	v_cvt_f32_u32_e32 v0, s2
	v_readlane_b32 s3, v254, 53
	s_abs_i32 s3, s4
	v_readlane_b32 s12, v254, 21
	v_rcp_iflag_f32_e32 v0, v0
	v_readlane_b32 s13, v254, 22
	v_mul_f32_e32 v0, 0x4f7ffffe, v0
	v_cvt_u32_f32_e32 v0, v0
	s_nop 0
	v_readfirstlane_b32 s10, v0
	s_mul_i32 s9, s9, s10
	s_mul_hi_u32 s9, s10, s9
	s_add_i32 s10, s10, s9
	s_mul_hi_u32 s9, s3, s10
	s_mul_i32 s9, s9, s2
	s_sub_i32 s3, s3, s9
	s_sub_i32 s9, s3, s2
	s_cmp_ge_u32 s3, s2
	s_cselect_b32 s3, s9, s3
	s_sub_i32 s9, s3, s2
	s_cmp_ge_u32 s3, s2
	s_cselect_b32 s2, s9, s3
	s_xor_b32 s2, s2, s6
	s_sub_i32 s2, s2, s6
	s_ashr_i32 s3, s2, 31
	s_mul_hi_u32 s9, s12, s2
	s_mul_i32 s3, s12, s3
	s_mul_i32 s10, s13, s2
	s_add_i32 s3, s9, s3
	s_add_i32 s3, s3, s10
	s_mul_i32 s2, s12, s2
	s_add_u32 s44, s18, s2
	s_addc_u32 s45, s19, s3
.LBB19_367:
	s_ashr_i32 s10, s1, 31
	v_readlane_b32 s1, v254, 2
	s_mul_i32 s9, s5, s1
	s_add_i32 s9, s9, s0
	v_readlane_b32 s0, v254, 48
	v_readlane_b32 s1, v254, 49
	;; [unrolled: 1-line block ×4, first 2 shown]
	v_cmp_le_f32_e64 s[0:1], s1, 0
	s_and_b64 vcc, exec, s[0:1]
	v_mov_b32_e32 v46, 1.0
	s_cbranch_vccnz .LBB19_369
; %bb.368:
	v_readlane_b32 s0, v254, 18
	v_mov_b32_e32 v1, s3
	v_mov_b32_e32 v2, s2
	;; [unrolled: 1-line block ×3, first 2 shown]
	v_sub_co_u32_e32 v0, vcc, s9, v0
	s_add_i32 s0, s9, 1
	v_lshlrev_b32_e32 v0, 1, v0
	v_cndmask_b32_e32 v1, v1, v2, vcc
	v_or_b32_e32 v0, 1, v0
	v_mov_b32_e32 v2, s0
	v_cndmask_b32_e32 v0, v0, v2, vcc
	v_cvt_f32_i32_e32 v0, v0
	v_cmp_neq_f32_e32 vcc, 1.0, v1
	s_mov_b32 s0, 0x3f2aaaab
	s_movk_i32 s2, 0x204
	v_cndmask_b32_e32 v16, 1.0, v0, vcc
	v_cmp_neq_f32_e32 vcc, 0, v16
	s_mov_b32 s1, 0x42b17218
	s_mov_b32 s3, 0x3fb8aa3b
	v_cndmask_b32_e32 v17, 1.0, v1, vcc
	v_frexp_mant_f32_e64 v0, |v17|
	v_cmp_gt_f32_e32 vcc, s0, v0
	s_mov_b32 s0, 0x3f317218
	s_brev_b32 s11, -2
	v_cndmask_b32_e64 v1, 1.0, 2.0, vcc
	v_mul_f32_e32 v0, v0, v1
	v_add_f32_e32 v3, 1.0, v0
	v_rcp_f32_e32 v8, v3
	v_add_f32_e32 v1, -1.0, v3
	v_sub_f32_e32 v5, v0, v1
	v_add_f32_e32 v1, -1.0, v0
	v_mul_f32_e32 v9, v1, v8
	v_mul_f32_e32 v2, v3, v9
	v_fma_f32 v4, v9, v3, -v2
	v_fmac_f32_e32 v4, v9, v5
	v_add_f32_e32 v0, v2, v4
	v_sub_f32_e32 v3, v1, v0
	v_pk_add_f32 v[6:7], v[0:1], v[2:3] neg_lo:[0,1] neg_hi:[0,1]
	v_mov_b32_e32 v5, v0
	v_pk_add_f32 v[0:1], v[6:7], v[4:5] neg_lo:[0,1] neg_hi:[0,1]
	v_mov_b32_e32 v4, 0x3e91f4c4
	v_add_f32_e32 v0, v0, v1
	v_add_f32_e32 v0, v3, v0
	v_mul_f32_e32 v1, v8, v0
	v_add_f32_e32 v0, v9, v1
	v_sub_f32_e32 v2, v0, v9
	v_sub_f32_e32 v10, v1, v2
	v_mul_f32_e32 v1, v0, v0
	v_fma_f32 v3, v0, v0, -v1
	v_add_f32_e32 v2, v10, v10
	v_fmac_f32_e32 v3, v0, v2
	v_add_f32_e32 v2, v1, v3
	v_fmac_f32_e32 v4, 0x3e76c4e1, v2
	v_fmaak_f32 v4, v2, v4, 0x3ecccdef
	v_sub_f32_e32 v1, v2, v1
	v_sub_f32_e32 v11, v3, v1
	v_mul_f32_e32 v1, v2, v4
	v_fma_f32 v3, v2, v4, -v1
	v_fmac_f32_e32 v3, v11, v4
	v_add_f32_e32 v4, v1, v3
	v_add_f32_e32 v5, 0x3f2aaaaa, v4
	v_sub_f32_e32 v1, v4, v1
	v_sub_f32_e32 v1, v3, v1
	v_add_f32_e32 v3, 0xbf2aaaaa, v5
	v_add_f32_e32 v1, 0x31739010, v1
	v_sub_f32_e32 v3, v4, v3
	v_pk_mul_f32 v[6:7], v[0:1], v[2:3]
	v_pk_add_f32 v[8:9], v[0:1], v[2:3]
	v_fma_f32 v4, v2, v0, -v6
	v_fmac_f32_e32 v4, v2, v10
	v_mov_b32_e32 v7, v9
	v_fmac_f32_e32 v4, v11, v0
	v_pk_add_f32 v[2:3], v[6:7], v[4:5]
	v_ldexp_f32 v12, v10, 1
	v_sub_f32_e32 v1, v2, v6
	v_sub_f32_e32 v1, v4, v1
	;; [unrolled: 1-line block ×3, first 2 shown]
	v_add_f32_e32 v7, v9, v4
	v_pk_mul_f32 v[4:5], v[2:3], v[2:3] op_sel:[0,1] op_sel_hi:[1,0]
	v_cvt_f64_f32_e64 v[8:9], |v17|
	v_frexp_exp_i32_f64_e32 v5, v[8:9]
	v_subbrev_co_u32_e32 v5, vcc, 0, v5, vcc
	v_cvt_f32_i32_e32 v5, v5
	v_fma_f32 v6, v2, v3, -v4
	v_fmac_f32_e32 v6, v2, v7
	v_fmac_f32_e32 v6, v1, v3
	v_mul_f32_e32 v2, 0x3f317218, v5
	v_fma_f32 v1, v5, s0, -v2
	v_fmamk_f32 v8, v5, 0xb102e308, v1
	v_ldexp_f32 v9, v0, 1
	v_add_f32_e32 v3, v4, v6
	v_pk_add_f32 v[0:1], v[2:3], v[8:9]
	v_mov_b32_e32 v10, v3
	v_mov_b32_e32 v11, v1
	;; [unrolled: 1-line block ×3, first 2 shown]
	v_pk_add_f32 v[4:5], v[10:11], v[4:5] neg_lo:[0,1] neg_hi:[0,1]
	v_mov_b32_e32 v7, v3
	v_pk_add_f32 v[4:5], v[6:7], v[4:5] neg_lo:[0,1] neg_hi:[0,1]
	v_mov_b32_e32 v9, v0
	v_add_f32_e32 v3, v12, v4
	v_add_f32_e32 v3, v3, v5
	v_pk_add_f32 v[4:5], v[0:1], v[2:3] neg_lo:[0,1] neg_hi:[0,1]
	v_pk_add_f32 v[6:7], v[0:1], v[2:3]
	v_mov_b32_e32 v14, v1
	v_mov_b32_e32 v5, v7
	v_pk_add_f32 v[10:11], v[8:9], v[4:5] neg_lo:[0,1] neg_hi:[0,1]
	v_pk_add_f32 v[4:5], v[8:9], v[4:5]
	v_mov_b32_e32 v2, v3
	v_pk_add_f32 v[8:9], v[4:5], v[0:1] op_sel:[1,0] op_sel_hi:[0,1] neg_lo:[0,1] neg_hi:[0,1]
	v_pk_add_f32 v[12:13], v[6:7], v[8:9] op_sel_hi:[1,0] neg_lo:[0,1] neg_hi:[0,1]
	v_mov_b32_e32 v6, v7
	v_mov_b32_e32 v7, v5
	;; [unrolled: 1-line block ×3, first 2 shown]
	v_pk_add_f32 v[6:7], v[6:7], v[14:15] neg_lo:[0,1] neg_hi:[0,1]
	v_mov_b32_e32 v3, v0
	v_pk_add_f32 v[0:1], v[2:3], v[6:7] neg_lo:[0,1] neg_hi:[0,1]
	v_mov_b32_e32 v12, v10
	v_pk_add_f32 v[2:3], v[12:13], v[0:1]
	v_mov_b32_e32 v11, v5
	v_pk_add_f32 v[6:7], v[2:3], v[2:3] op_sel:[0,1] op_sel_hi:[1,0]
	s_mov_b32 s0, 0x7f800000
	v_pk_add_f32 v[4:5], v[4:5], v[6:7] op_sel:[1,0] op_sel_hi:[0,1]
	v_mov_b32_e32 v3, v4
	v_pk_add_f32 v[8:9], v[2:3], v[10:11] neg_lo:[0,1] neg_hi:[0,1]
	v_mov_b32_e32 v1, v6
	v_sub_f32_e32 v2, v2, v8
	v_pk_add_f32 v[0:1], v[0:1], v[8:9] neg_lo:[0,1] neg_hi:[0,1]
	v_sub_f32_e32 v2, v10, v2
	v_add_f32_e32 v0, v0, v2
	v_add_f32_e32 v0, v0, v1
	;; [unrolled: 1-line block ×3, first 2 shown]
	v_sub_f32_e32 v2, v1, v4
	v_sub_f32_e32 v0, v0, v2
	v_mul_f32_e32 v2, v16, v1
	v_fma_f32 v1, v16, v1, -v2
	v_fmac_f32_e32 v1, v16, v0
	v_add_f32_e32 v0, v2, v1
	v_cmp_class_f32_e64 vcc, v2, s2
	v_sub_f32_e32 v3, v0, v2
	v_sub_f32_e32 v1, v1, v3
	v_cndmask_b32_e32 v0, v0, v2, vcc
	v_mov_b32_e32 v2, 0x37000000
	v_cmp_eq_f32_e32 vcc, s1, v0
	v_cmp_class_f32_e64 s[12:13], v17, s2
	s_nop 0
	v_cndmask_b32_e32 v2, 0, v2, vcc
	v_sub_f32_e32 v3, v0, v2
	v_mul_f32_e32 v4, 0x3fb8aa3b, v3
	v_fma_f32 v5, v3, s3, -v4
	v_rndne_f32_e32 v6, v4
	v_fmamk_f32 v5, v3, 0x32a5705f, v5
	v_sub_f32_e32 v4, v4, v6
	v_add_f32_e32 v4, v4, v5
	v_exp_f32_e32 v4, v4
	v_cvt_i32_f32_e32 v5, v6
	v_cmp_neq_f32_e64 vcc, |v0|, s0
	s_mov_b32 s0, 0xc2ce8ed0
	s_nop 0
	v_cndmask_b32_e32 v0, 0, v1, vcc
	v_ldexp_f32 v1, v4, v5
	v_cmp_ngt_f32_e32 vcc, s0, v3
	v_add_f32_e32 v0, v2, v0
	v_mov_b32_e32 v2, 0x7f800000
	v_cndmask_b32_e32 v1, 0, v1, vcc
	v_cmp_nlt_f32_e32 vcc, s1, v3
	v_mov_b32_e32 v3, 0x7fc00000
	s_nop 0
	v_cndmask_b32_e32 v1, v2, v1, vcc
	v_fma_f32 v0, v1, v0, v1
	v_cmp_class_f32_e64 vcc, v1, s2
	v_cmp_gt_f32_e64 s[2:3], 0, v16
	s_nop 0
	v_cndmask_b32_e32 v0, v0, v1, vcc
	v_trunc_f32_e32 v1, v16
	v_cmp_eq_f32_e32 vcc, v1, v16
	v_mul_f32_e32 v1, 0.5, v16
	v_trunc_f32_e32 v4, v1
	v_cmp_neq_f32_e64 s[0:1], v4, v1
	s_and_b64 s[0:1], vcc, s[0:1]
	s_nop 0
	v_cndmask_b32_e64 v1, 1.0, v17, s[0:1]
	v_bfi_b32 v0, s11, v0, v1
	v_cndmask_b32_e32 v1, v3, v0, vcc
	v_cmp_gt_f32_e32 vcc, 0, v17
	s_nop 1
	v_cndmask_b32_e32 v0, v0, v1, vcc
	v_cmp_eq_f32_e32 vcc, 0, v17
	s_xor_b64 s[2:3], s[2:3], vcc
	v_cndmask_b32_e64 v1, v2, 0, s[2:3]
	v_cndmask_b32_e64 v2, 0, v17, s[0:1]
	v_bfi_b32 v1, s11, v1, v2
	s_or_b64 vcc, vcc, s[12:13]
	v_cndmask_b32_e32 v0, v0, v1, vcc
	v_cmp_o_f32_e32 vcc, v17, v17
	s_nop 1
	v_cndmask_b32_e32 v46, v3, v0, vcc
.LBB19_369:
	v_readlane_b32 s0, v254, 29
	s_xor_b32 s0, s10, s0
	v_readlane_b32 s10, v254, 31
	s_mul_i32 s1, s7, s10
	s_sub_i32 s1, s8, s1
	s_add_i32 s2, s7, 1
	s_sub_i32 s3, s1, s10
	s_cmp_ge_u32 s1, s10
	s_cselect_b32 s2, s2, s7
	s_cselect_b32 s1, s3, s1
	s_add_i32 s3, s2, 1
	s_cmp_ge_u32 s1, s10
	s_cselect_b32 s1, s3, s2
	s_xor_b32 s1, s1, s0
	v_readlane_b32 s12, v254, 32
	s_sub_i32 s2, s1, s0
	v_readlane_b32 s22, v254, 42
	v_readlane_b32 s23, v254, 43
	;; [unrolled: 1-line block ×3, first 2 shown]
	s_cmp_eq_u64 s[22:23], 0
	v_mov_b32_e32 v12, s63
	v_readlane_b32 s14, v254, 34
	v_readlane_b32 s15, v254, 35
	;; [unrolled: 1-line block ×12, first 2 shown]
	s_cbranch_scc1 .LBB19_371
; %bb.370:
	v_readlane_b32 s0, v254, 0
	s_mul_i32 s0, s4, s0
	s_add_i32 s0, s2, s0
	s_ashr_i32 s1, s0, 31
	s_lshl_b64 s[0:1], s[0:1], 2
	s_add_u32 s0, s22, s0
	s_addc_u32 s1, s23, s1
	v_mov_b32_e32 v0, 0
	global_load_dword v0, v0, s[0:1]
	s_waitcnt vmcnt(0)
	v_ashrrev_i32_e32 v1, 31, v0
	v_lshrrev_b32_e32 v1, 26, v1
	v_add_u32_e32 v0, v0, v1
	v_ashrrev_i32_e32 v0, 6, v0
	v_min_i32_e32 v12, s63, v0
.LBB19_371:
	v_readlane_b32 s10, v254, 10
	v_readlane_b32 s11, v254, 11
	s_mul_i32 s0, s4, s11
	s_ashr_i32 s1, s0, 31
	s_add_u32 s0, s12, s0
	s_mul_i32 s9, s9, s10
	s_addc_u32 s1, s13, s1
	s_ashr_i32 s3, s9, 31
	s_add_u32 s0, s0, s9
	s_addc_u32 s1, s1, s3
	s_lshl_b32 s33, s2, 6
	v_add_u32_e32 v2, s33, v39
	s_mov_b32 s7, 0x10001
	v_lshl_add_u32 v97, v38, 2, 0
	v_cmp_le_i32_e32 vcc, s60, v2
	s_and_saveexec_b64 s[2:3], vcc
	s_xor_b64 s[2:3], exec, s[2:3]
; %bb.372:
	s_movk_i32 s8, 0xf0
	v_mad_u32_u24 v0, v39, s8, v97
	v_mov_b32_e32 v1, 0
	ds_write_b32 v0, v1
                                        ; implicit-def: $vgpr2
; %bb.373:
	s_or_saveexec_b64 s[2:3], s[2:3]
	scratch_load_dword v0, off, off offset:148 ; 4-byte Folded Reload
	s_waitcnt vmcnt(0)
	v_mul_lo_u32 v1, v0, s7
	s_xor_b64 exec, exec, s[2:3]
	s_cbranch_execz .LBB19_375
; %bb.374:
	v_mad_u64_u32 v[2:3], s[8:9], v2, s56, v[38:39]
	v_ashrrev_i32_e32 v3, 31, v2
	v_lshl_add_u64 v[2:3], v[2:3], 3, s[0:1]
	global_load_dwordx2 v[2:3], v[2:3], off
	s_movk_i32 s7, 0xf0
	s_waitcnt vmcnt(0)
	v_cvt_pk_f16_f32 v0, v2, v3
	v_pk_mul_f16 v0, v0, v1
	v_mad_u32_u24 v2, v39, s7, v97
	ds_write_b32 v2, v0
.LBB19_375:
	s_or_b64 exec, exec, s[2:3]
	v_add_u32_e32 v2, 8, v39
	v_add_u32_e32 v3, s33, v2
	v_cmp_le_i32_e32 vcc, s60, v3
	s_and_saveexec_b64 s[2:3], vcc
	s_xor_b64 s[2:3], exec, s[2:3]
; %bb.376:
	s_movk_i32 s7, 0xf0
	v_mad_u32_u24 v0, v2, s7, v97
	v_mov_b32_e32 v2, 0
	ds_write_b32 v0, v2
                                        ; implicit-def: $vgpr3
                                        ; implicit-def: $vgpr2
; %bb.377:
	s_andn2_saveexec_b64 s[2:3], s[2:3]
	s_cbranch_execz .LBB19_379
; %bb.378:
	v_mad_u64_u32 v[4:5], s[8:9], v3, s56, v[38:39]
	v_ashrrev_i32_e32 v5, 31, v4
	v_lshl_add_u64 v[4:5], v[4:5], 3, s[0:1]
	global_load_dwordx2 v[4:5], v[4:5], off
	s_movk_i32 s7, 0xf0
	v_mad_u32_u24 v2, v2, s7, v97
	s_waitcnt vmcnt(0)
	v_cvt_pk_f16_f32 v0, v4, v5
	v_pk_mul_f16 v0, v0, v1
	ds_write_b32 v2, v0
.LBB19_379:
	s_or_b64 exec, exec, s[2:3]
	v_add_u32_e32 v114, 16, v39
	v_add_u32_e32 v2, s33, v114
	v_cmp_le_i32_e32 vcc, s60, v2
	s_and_saveexec_b64 s[2:3], vcc
	s_xor_b64 s[2:3], exec, s[2:3]
; %bb.380:
	s_movk_i32 s7, 0xf0
	v_mad_u32_u24 v0, v114, s7, v97
	v_mov_b32_e32 v2, 0
	ds_write_b32 v0, v2
                                        ; implicit-def: $vgpr2
; %bb.381:
	s_andn2_saveexec_b64 s[2:3], s[2:3]
	s_cbranch_execz .LBB19_383
; %bb.382:
	v_mad_u64_u32 v[2:3], s[8:9], v2, s56, v[38:39]
	v_ashrrev_i32_e32 v3, 31, v2
	v_lshl_add_u64 v[2:3], v[2:3], 3, s[0:1]
	global_load_dwordx2 v[2:3], v[2:3], off
	s_movk_i32 s7, 0xf0
	s_waitcnt vmcnt(0)
	v_cvt_pk_f16_f32 v0, v2, v3
	v_pk_mul_f16 v0, v0, v1
	v_mad_u32_u24 v2, v114, s7, v97
	ds_write_b32 v2, v0
.LBB19_383:
	s_or_b64 exec, exec, s[2:3]
	v_add_u32_e32 v2, 24, v39
	v_add_u32_e32 v3, s33, v2
	v_cmp_le_i32_e32 vcc, s60, v3
	s_and_saveexec_b64 s[2:3], vcc
	s_xor_b64 s[2:3], exec, s[2:3]
; %bb.384:
	s_movk_i32 s7, 0xf0
	v_mad_u32_u24 v0, v2, s7, v97
	v_mov_b32_e32 v2, 0
	ds_write_b32 v0, v2
                                        ; implicit-def: $vgpr3
                                        ; implicit-def: $vgpr2
; %bb.385:
	s_andn2_saveexec_b64 s[2:3], s[2:3]
	s_cbranch_execz .LBB19_387
; %bb.386:
	v_mad_u64_u32 v[4:5], s[8:9], v3, s56, v[38:39]
	v_ashrrev_i32_e32 v5, 31, v4
	v_lshl_add_u64 v[4:5], v[4:5], 3, s[0:1]
	global_load_dwordx2 v[4:5], v[4:5], off
	s_movk_i32 s7, 0xf0
	v_mad_u32_u24 v2, v2, s7, v97
	s_waitcnt vmcnt(0)
	v_cvt_pk_f16_f32 v0, v4, v5
	v_pk_mul_f16 v0, v0, v1
	ds_write_b32 v2, v0
.LBB19_387:
	s_or_b64 exec, exec, s[2:3]
	v_add_u32_e32 v115, 32, v39
	v_add_u32_e32 v2, s33, v115
	v_cmp_le_i32_e32 vcc, s60, v2
	s_and_saveexec_b64 s[2:3], vcc
	s_xor_b64 s[2:3], exec, s[2:3]
; %bb.388:
	s_movk_i32 s7, 0xf0
	v_mad_u32_u24 v0, v115, s7, v97
	v_mov_b32_e32 v2, 0
	ds_write_b32 v0, v2
                                        ; implicit-def: $vgpr2
; %bb.389:
	s_andn2_saveexec_b64 s[2:3], s[2:3]
	;; [unrolled: 55-line block ×3, first 2 shown]
	s_cbranch_execz .LBB19_399
; %bb.398:
	v_mad_u64_u32 v[2:3], s[8:9], v2, s56, v[38:39]
	v_ashrrev_i32_e32 v3, 31, v2
	v_lshl_add_u64 v[2:3], v[2:3], 3, s[0:1]
	global_load_dwordx2 v[2:3], v[2:3], off
	s_movk_i32 s7, 0xf0
	s_waitcnt vmcnt(0)
	v_cvt_pk_f16_f32 v0, v2, v3
	v_pk_mul_f16 v0, v0, v1
	v_mad_u32_u24 v2, v117, s7, v97
	ds_write_b32 v2, v0
.LBB19_399:
	s_or_b64 exec, exec, s[2:3]
	v_add_u32_e32 v2, 56, v39
	v_add_u32_e32 v3, s33, v2
	v_cmp_le_i32_e32 vcc, s60, v3
	s_and_saveexec_b64 s[2:3], vcc
	s_xor_b64 s[2:3], exec, s[2:3]
; %bb.400:
	s_movk_i32 s7, 0xf0
	v_mad_u32_u24 v0, v2, s7, v97
	v_mov_b32_e32 v2, 0
	ds_write_b32 v0, v2
                                        ; implicit-def: $vgpr3
                                        ; implicit-def: $vgpr2
; %bb.401:
	s_or_saveexec_b64 s[2:3], s[2:3]
	scratch_load_dword v0, off, off offset:144 ; 4-byte Folded Reload
	s_waitcnt vmcnt(0)
	v_and_b32_e32 v123, 0x3ff, v0
	s_xor_b64 exec, exec, s[2:3]
	s_cbranch_execz .LBB19_403
; %bb.402:
	v_mad_u64_u32 v[4:5], s[8:9], v3, s56, v[38:39]
	v_ashrrev_i32_e32 v5, 31, v4
	v_lshl_add_u64 v[4:5], v[4:5], 3, s[0:1]
	global_load_dwordx2 v[4:5], v[4:5], off
	s_movk_i32 s7, 0xf0
	v_mad_u32_u24 v2, v2, s7, v97
	s_waitcnt vmcnt(0)
	v_cvt_pk_f16_f32 v0, v4, v5
	v_pk_mul_f16 v0, v0, v1
	ds_write_b32 v2, v0
.LBB19_403:
	s_or_b64 exec, exec, s[2:3]
	v_lshrrev_b32_e32 v0, 4, v123
	v_lshl_add_u32 v116, v168, 2, v0
	v_add_u32_e32 v0, s33, v116
	v_and_b32_e32 v36, 15, v123
	v_cmp_le_i32_e32 vcc, s60, v0
	s_and_saveexec_b64 s[2:3], vcc
	s_xor_b64 s[2:3], exec, s[2:3]
; %bb.404:
	v_mul_u32_u24_e32 v0, 0xf0, v116
	v_lshlrev_b32_e32 v2, 2, v36
	v_add3_u32 v0, 0, v0, v2
	v_mov_b32_e32 v2, 0
	ds_write_b32 v0, v2 offset:128
                                        ; implicit-def: $vgpr0
; %bb.405:
	s_or_saveexec_b64 s[2:3], s[2:3]
	v_lshl_add_u32 v118, v36, 2, 0
	s_xor_b64 exec, exec, s[2:3]
	s_cbranch_execz .LBB19_407
; %bb.406:
	v_mul_lo_u32 v2, v0, s56
	v_ashrrev_i32_e32 v3, 31, v2
	v_mov_b32_e32 v37, 0
	v_lshl_add_u64 v[2:3], v[2:3], 0, v[36:37]
	v_lshl_add_u64 v[2:3], v[2:3], 3, s[0:1]
	global_load_dwordx2 v[2:3], v[2:3], off offset:256
	s_movk_i32 s7, 0xf0
	s_waitcnt vmcnt(0)
	v_cvt_pk_f16_f32 v0, v2, v3
	v_pk_mul_f16 v0, v0, v1
	v_mad_u32_u24 v2, v116, s7, v118
	ds_write_b32 v2, v0 offset:128
.LBB19_407:
	s_or_b64 exec, exec, s[2:3]
	v_add_u32_e32 v119, 16, v116
	v_add_u32_e32 v0, s33, v119
	v_cmp_le_i32_e32 vcc, s60, v0
	s_and_saveexec_b64 s[2:3], vcc
	s_xor_b64 s[2:3], exec, s[2:3]
; %bb.408:
	v_mul_u32_u24_e32 v0, 0xf0, v119
	v_lshlrev_b32_e32 v2, 2, v36
	v_add3_u32 v0, 0, v0, v2
	v_mov_b32_e32 v2, 0
	ds_write_b32 v0, v2 offset:128
                                        ; implicit-def: $vgpr0
; %bb.409:
	s_andn2_saveexec_b64 s[2:3], s[2:3]
	s_cbranch_execz .LBB19_411
; %bb.410:
	v_mul_lo_u32 v2, v0, s56
	v_ashrrev_i32_e32 v3, 31, v2
	v_mov_b32_e32 v37, 0
	v_lshl_add_u64 v[2:3], v[2:3], 0, v[36:37]
	v_lshl_add_u64 v[2:3], v[2:3], 3, s[0:1]
	global_load_dwordx2 v[2:3], v[2:3], off offset:256
	s_movk_i32 s7, 0xf0
	s_waitcnt vmcnt(0)
	v_cvt_pk_f16_f32 v0, v2, v3
	v_pk_mul_f16 v0, v0, v1
	v_mad_u32_u24 v2, v119, s7, v118
	ds_write_b32 v2, v0 offset:128
.LBB19_411:
	s_or_b64 exec, exec, s[2:3]
	v_add_u32_e32 v120, 32, v116
	v_add_u32_e32 v0, s33, v120
	v_cmp_le_i32_e32 vcc, s60, v0
	s_and_saveexec_b64 s[2:3], vcc
	s_xor_b64 s[2:3], exec, s[2:3]
; %bb.412:
	v_mul_u32_u24_e32 v0, 0xf0, v120
	v_lshlrev_b32_e32 v2, 2, v36
	v_add3_u32 v0, 0, v0, v2
	v_mov_b32_e32 v2, 0
	ds_write_b32 v0, v2 offset:128
                                        ; implicit-def: $vgpr0
; %bb.413:
	s_andn2_saveexec_b64 s[2:3], s[2:3]
	s_cbranch_execz .LBB19_415
; %bb.414:
	v_mul_lo_u32 v2, v0, s56
	v_ashrrev_i32_e32 v3, 31, v2
	v_mov_b32_e32 v37, 0
	v_lshl_add_u64 v[2:3], v[2:3], 0, v[36:37]
	v_lshl_add_u64 v[2:3], v[2:3], 3, s[0:1]
	global_load_dwordx2 v[2:3], v[2:3], off offset:256
	s_movk_i32 s7, 0xf0
	s_waitcnt vmcnt(0)
	v_cvt_pk_f16_f32 v0, v2, v3
	v_pk_mul_f16 v0, v0, v1
	v_mad_u32_u24 v2, v120, s7, v118
	ds_write_b32 v2, v0 offset:128
.LBB19_415:
	s_or_b64 exec, exec, s[2:3]
	v_add_u32_e32 v122, 48, v116
	v_add_u32_e32 v0, s33, v122
	v_cmp_le_i32_e32 vcc, s60, v0
	s_and_saveexec_b64 s[2:3], vcc
	s_xor_b64 s[2:3], exec, s[2:3]
; %bb.416:
	v_mul_u32_u24_e32 v0, 0xf0, v122
	v_lshlrev_b32_e32 v2, 2, v36
	v_add3_u32 v0, 0, v0, v2
	v_mov_b32_e32 v2, 0
	ds_write_b32 v0, v2 offset:128
                                        ; implicit-def: $vgpr0
; %bb.417:
	s_andn2_saveexec_b64 s[2:3], s[2:3]
	s_cbranch_execz .LBB19_419
; %bb.418:
	v_mul_lo_u32 v2, v0, s56
	v_ashrrev_i32_e32 v3, 31, v2
	v_mov_b32_e32 v37, 0
	v_lshl_add_u64 v[2:3], v[2:3], 0, v[36:37]
	v_lshl_add_u64 v[2:3], v[2:3], 3, s[0:1]
	global_load_dwordx2 v[2:3], v[2:3], off offset:256
	s_movk_i32 s7, 0xf0
	s_waitcnt vmcnt(0)
	v_cvt_pk_f16_f32 v0, v2, v3
	v_pk_mul_f16 v0, v0, v1
	v_mad_u32_u24 v2, v122, s7, v118
	ds_write_b32 v2, v0 offset:128
.LBB19_419:
	s_or_b64 exec, exec, s[2:3]
	v_lshrrev_b32_e32 v13, 3, v123
	v_lshl_add_u32 v37, v168, 3, v13
	v_add_u32_e32 v0, s33, v37
	v_and_b32_e32 v40, 7, v123
	v_cmp_le_i32_e32 vcc, s60, v0
	s_and_saveexec_b64 s[2:3], vcc
	s_xor_b64 s[2:3], exec, s[2:3]
; %bb.420:
	v_mul_u32_u24_e32 v0, 0xf0, v37
	v_lshlrev_b32_e32 v2, 2, v40
	v_add3_u32 v0, 0, v0, v2
	v_mov_b32_e32 v2, 0
	ds_write_b32 v0, v2 offset:192
                                        ; implicit-def: $vgpr0
; %bb.421:
	s_or_saveexec_b64 s[2:3], s[2:3]
	v_lshl_add_u32 v121, v40, 2, 0
	s_xor_b64 exec, exec, s[2:3]
	s_cbranch_execz .LBB19_423
; %bb.422:
	v_mul_lo_u32 v2, v0, s56
	v_ashrrev_i32_e32 v3, 31, v2
	v_mov_b32_e32 v41, 0
	v_lshl_add_u64 v[2:3], v[2:3], 0, v[40:41]
	v_lshl_add_u64 v[2:3], v[2:3], 3, s[0:1]
	global_load_dwordx2 v[2:3], v[2:3], off offset:384
	s_movk_i32 s7, 0xf0
	s_waitcnt vmcnt(0)
	v_cvt_pk_f16_f32 v0, v2, v3
	v_pk_mul_f16 v0, v0, v1
	v_mad_u32_u24 v2, v37, s7, v121
	ds_write_b32 v2, v0 offset:192
.LBB19_423:
	s_or_b64 exec, exec, s[2:3]
	v_add_u32_e32 v132, 32, v37
	v_add_u32_e32 v0, s33, v132
	v_cmp_le_i32_e32 vcc, s60, v0
	s_and_saveexec_b64 s[2:3], vcc
	s_xor_b64 s[2:3], exec, s[2:3]
; %bb.424:
	v_mul_u32_u24_e32 v0, 0xf0, v132
	v_lshlrev_b32_e32 v1, 2, v40
	v_add3_u32 v0, 0, v0, v1
	v_mov_b32_e32 v1, 0
	ds_write_b32 v0, v1 offset:192
                                        ; implicit-def: $vgpr0
                                        ; implicit-def: $vgpr1
; %bb.425:
	s_andn2_saveexec_b64 s[2:3], s[2:3]
	s_cbranch_execz .LBB19_427
; %bb.426:
	v_mul_lo_u32 v2, v0, s56
	v_ashrrev_i32_e32 v3, 31, v2
	v_mov_b32_e32 v41, 0
	v_lshl_add_u64 v[2:3], v[2:3], 0, v[40:41]
	v_lshl_add_u64 v[2:3], v[2:3], 3, s[0:1]
	global_load_dwordx2 v[2:3], v[2:3], off offset:384
	s_movk_i32 s0, 0xf0
	s_waitcnt vmcnt(0)
	v_cvt_pk_f16_f32 v0, v2, v3
	v_pk_mul_f16 v0, v0, v1
	v_mad_u32_u24 v1, v132, s0, v121
	ds_write_b32 v1, v0 offset:192
.LBB19_427:
	s_or_b64 exec, exec, s[2:3]
	v_readlane_b32 s2, v254, 19
	v_readlane_b32 s3, v254, 20
	s_mul_i32 s0, s2, s6
	s_mul_hi_u32 s1, s2, s4
	s_add_i32 s0, s1, s0
	s_mul_i32 s1, s3, s4
	v_readlane_b32 s8, v254, 32
	s_add_i32 s0, s0, s1
	s_mul_i32 s1, s2, s4
	v_readlane_b32 s12, v254, 36
	v_readlane_b32 s13, v254, 37
	;; [unrolled: 1-line block ×4, first 2 shown]
	s_add_u32 s1, s12, s1
	s_addc_u32 s0, s13, s0
	v_readlane_b32 s12, v254, 25
	v_readlane_b32 s15, v254, 28
	s_mul_i32 s2, s5, s15
	s_ashr_i32 s3, s2, 31
	s_add_u32 s43, s1, s2
	v_readlane_b32 s13, v254, 26
	s_addc_u32 s58, s0, s3
	s_mul_i32 s0, s12, s6
	s_mul_hi_u32 s1, s12, s4
	s_add_i32 s0, s1, s0
	s_mul_i32 s1, s13, s4
	v_readlane_b32 s2, v254, 23
	v_readlane_b32 s10, v254, 34
	s_add_i32 s0, s0, s1
	s_mul_i32 s1, s12, s4
	v_readlane_b32 s3, v254, 24
	v_readlane_b32 s11, v254, 35
	s_add_u32 s1, s10, s1
	s_mul_i32 s5, s5, s3
	s_addc_u32 s0, s11, s0
	s_ashr_i32 s2, s5, 31
	s_add_u32 s59, s1, s5
	s_addc_u32 s61, s0, s2
	s_movk_i32 s0, 0xf00
	v_and_b32_e32 v0, 0x7e, v13
	v_mad_u32_u24 v14, v168, s0, 0
	v_mul_u32_u24_e32 v136, 0xf0, v36
	v_lshlrev_b32_e32 v41, 2, v0
	v_add3_u32 v15, v14, v136, v41
	s_waitcnt lgkmcnt(0)
	s_barrier
	ds_read2_b64 v[8:11], v15 offset1:4
	ds_read2_b64 v[4:7], v15 offset0:8 offset1:12
	ds_read2_b64 v[0:3], v15 offset0:16 offset1:20
	ds_read_b64 v[48:49], v15 offset:192
	v_add_u32_e32 v142, -1, v12
	v_readlane_b32 s38, v254, 56
	v_cmp_ge_i32_e32 vcc, s72, v142
	v_mul_lo_u32 v52, s42, v37
	v_mul_lo_u32 v42, s38, v132
	;; [unrolled: 1-line block ×3, first 2 shown]
	s_movk_i32 s2, 0xf0
	s_mov_b32 s62, 0
	s_and_b64 vcc, exec, vcc
	v_lshlrev_b32_e32 v54, 1, v123
	v_lshrrev_b32_e32 v137, 1, v123
	v_lshrrev_b32_e32 v129, 2, v123
	v_lshlrev_b32_e32 v128, 2, v123
	v_ashrrev_i32_e32 v53, 31, v52
	v_lshl_add_u32 v50, s42, 5, v52
	v_lshl_or_b32 v133, v13, 2, 4
	v_lshlrev_b32_e32 v125, 1, v13
	v_ashrrev_i32_e32 v43, 31, v42
	v_ashrrev_i32_e32 v45, 31, v44
	v_lshlrev_b32_e32 v124, 1, v36
	v_readlane_b32 s9, v254, 33
	v_readlane_b32 s16, v254, 40
	;; [unrolled: 1-line block ×10, first 2 shown]
	s_waitcnt lgkmcnt(0)
	s_barrier
	v_readlane_b32 s39, v254, 57
	s_cbranch_vccnz .LBB19_447
; %bb.428:
	v_mov_b32_e32 v57, 0
	v_mov_b32_e32 v55, v57
	v_mul_i32_i24_e32 v12, 0xfffff190, v168
	v_lshl_add_u64 v[58:59], s[44:45], 0, v[54:55]
	v_add3_u32 v55, v14, v12, v54
	v_add_u32_e32 v12, s33, v168
	v_mul_hi_u32 v13, s48, v12
	v_add_u32_e32 v13, v12, v13
	v_lshrrev_b32_e32 v13, s49, v13
	v_mul_lo_u32 v13, v13, s60
	v_sub_u32_e32 v13, v12, v13
	v_readlane_b32 s6, v254, 54
	v_lshlrev_b32_e32 v18, 4, v168
	v_add_u32_e32 v15, v129, v18
	v_mad_i64_i32 v[60:61], s[4:5], v13, s6, 0
	v_add_u32_e32 v13, 4, v12
	v_mul_hi_u32 v14, s48, v13
	v_add_u32_e32 v14, v13, v14
	v_lshrrev_b32_e32 v14, s49, v14
	v_mul_lo_u32 v14, v14, s60
	v_sub_u32_e32 v13, v13, v14
	v_mad_i64_i32 v[62:63], s[4:5], v13, s6, 0
	v_add_u32_e32 v13, 8, v12
	v_mul_hi_u32 v14, s48, v13
	v_add_u32_e32 v14, v13, v14
	v_lshrrev_b32_e32 v14, s49, v14
	v_mul_lo_u32 v14, v14, s60
	v_sub_u32_e32 v13, v13, v14
	;; [unrolled: 7-line block ×14, first 2 shown]
	v_add_u32_e32 v12, 60, v12
	v_mad_i64_i32 v[88:89], s[4:5], v13, s6, 0
	v_mul_hi_u32 v13, s48, v12
	v_add_u32_e32 v13, v12, v13
	v_lshrrev_b32_e32 v13, s49, v13
	v_mul_lo_u32 v13, v13, s60
	v_sub_u32_e32 v12, v12, v13
	v_mad_i64_i32 v[90:91], s[4:5], v12, s6, 0
	v_mbcnt_lo_u32_b32 v12, -1, 0
	v_mbcnt_hi_u32_b32 v12, -1, v12
	v_and_b32_e32 v13, 64, v12
	v_add_u32_e32 v13, 64, v13
	v_xor_b32_e32 v14, 32, v12
	v_cmp_lt_i32_e32 vcc, v14, v13
	s_movk_i32 s3, 0x80
	v_and_b32_e32 v96, 4, v128
	v_cndmask_b32_e32 v14, v12, v14, vcc
	v_lshlrev_b32_e32 v158, 2, v14
	v_xor_b32_e32 v14, 16, v12
	v_cmp_lt_i32_e32 vcc, v14, v13
	v_lshl_add_u32 v13, v168, 5, v137
	s_movk_i32 s12, 0x90
	v_cndmask_b32_e32 v12, v12, v14, vcc
	v_lshlrev_b32_e32 v159, 2, v12
	v_and_b32_e32 v12, 12, v128
	v_mad_u32_u24 v14, v15, s2, 0
	v_lshlrev_b32_e32 v16, 2, v12
	v_add3_u32 v160, v14, v16, s3
	v_and_b32_e32 v14, 28, v128
	v_mul_u32_u24_e32 v16, 0xf0, v37
	v_lshlrev_b32_e32 v17, 2, v14
	v_add3_u32 v161, 0, v16, v17
	v_mad_u32_u24 v16, v13, s2, 0
	v_lshlrev_b32_e32 v17, 2, v96
	s_movk_i32 s2, 0xc0
	v_add3_u32 v164, v16, v17, s2
	v_or_b32_e32 v17, v36, v18
	v_and_b32_e32 v16, 0xfc, v129
	v_mad_u32_u24 v17, v17, s12, 0
	v_cmp_gt_u32_e64 s[4:5], 64, v13
	v_mul_lo_u32 v94, s42, v13
	v_lshl_add_u32 v165, v16, 1, v17
	v_cmp_gt_u32_e64 s[16:17], 47, v16
	v_cmp_gt_u32_e64 s[18:19], 46, v16
	;; [unrolled: 1-line block ×9, first 2 shown]
	v_mul_lo_u32 v98, s38, v13
	v_or_b32_e32 v13, 3, v125
	v_or_b32_e32 v16, 2, v125
	v_and_b32_e32 v20, 0xfc, v125
	s_mov_b64 s[46:47], src_private_base
	s_cmp_lg_u64 s[44:45], 0
	v_readlane_b32 s7, v254, 55
	v_mul_lo_u32 v92, s42, v15
	v_add_u32_e32 v166, v17, v133
	v_add_u32_e32 v17, 32, v165
	;; [unrolled: 1-line block ×4, first 2 shown]
	s_movk_i32 s12, 0x100
	v_mul_u32_u24_e32 v13, 0xf0, v13
	v_mul_u32_u24_e32 v16, 0xf0, v16
	;; [unrolled: 1-line block ×3, first 2 shown]
	v_mul_lo_u32 v100, s38, v15
	s_cselect_b64 s[50:51], -1, 0
	v_cmp_gt_u32_e64 s[0:1], 64, v123
	v_cmp_lt_u32_e64 s[40:41], 63, v123
	v_add_u32_e32 v143, 0x240, v55
	v_add_u32_e32 v144, 0x480, v55
	;; [unrolled: 1-line block ×15, first 2 shown]
	v_cmp_gt_u32_e64 s[6:7], 64, v15
	v_ashrrev_i32_e32 v93, 31, v92
	v_cmp_gt_u32_e64 s[8:9], 64, v37
	v_add_u32_e32 v162, 0x1e00, v161
	v_cmp_gt_u32_e64 s[10:11], 32, v37
	v_ashrrev_i32_e32 v51, 31, v50
	v_add3_u32 v163, 0, v136, v41
	v_ashrrev_i32_e32 v95, 31, v94
	v_cmp_gt_u32_e64 s[12:13], s12, v123
	v_cmp_gt_u32_e64 s[14:15], s2, v123
	;; [unrolled: 1-line block ×3, first 2 shown]
	v_ashrrev_i32_e32 v99, 31, v98
	v_ashrrev_i32_e32 v101, 31, v100
	v_add3_u32 v167, 0, v20, v124
	v_add3_u32 v169, 0, v16, v124
	;; [unrolled: 1-line block ×3, first 2 shown]
	v_mov_b32_e32 v102, v46
	v_mov_b32_e32 v103, v46
	s_lshl_b32 s52, s72, 6
	v_mov_b32_e32 v32, 0xfeffffff
	v_lshlrev_b32_e32 v56, 2, v12
	s_mov_b64 s[54:55], 0x80
	v_lshlrev_b32_e32 v104, 2, v14
	v_add_u32_e32 v171, 0x3c00, v17
	v_add_u32_e32 v172, 0x3c00, v18
	;; [unrolled: 1-line block ×3, first 2 shown]
	s_mov_b32 s46, 0x3fb8aa3b
	s_mov_b32 s63, 0xc2ce8ed0
	;; [unrolled: 1-line block ×5, first 2 shown]
	v_mov_b32_e32 v186, v57
	v_mov_b32_e32 v187, v57
	;; [unrolled: 1-line block ×21, first 2 shown]
.LBB19_429:                             ; =>This Inner Loop Header: Depth=1
	v_cndmask_b32_e64 v12, 0, 1, s[50:51]
	v_cmp_ne_u32_e64 s[38:39], 1, v12
	s_andn2_b64 vcc, exec, s[50:51]
	s_ashr_i32 s53, s52, 31
	s_cbranch_vccnz .LBB19_439
; %bb.430:                              ;   in Loop: Header=BB19_429 Depth=1
	s_and_saveexec_b64 s[2:3], s[40:41]
	s_xor_b64 s[2:3], exec, s[2:3]
	s_cbranch_execz .LBB19_432
; %bb.431:                              ;   in Loop: Header=BB19_429 Depth=1
	ds_write_b16 v55, v57 offset:15360
	ds_write_b16 v143, v57 offset:15360
	;; [unrolled: 1-line block ×4, first 2 shown]
.LBB19_432:                             ;   in Loop: Header=BB19_429 Depth=1
	s_or_saveexec_b64 s[2:3], s[2:3]
	v_lshl_add_u64 v[12:13], s[52:53], 1, v[58:59]
	v_mov_b32_e32 v14, 0
	v_mov_b32_e32 v15, 0
	;; [unrolled: 1-line block ×4, first 2 shown]
	s_xor_b64 exec, exec, s[2:3]
	s_cbranch_execz .LBB19_434
; %bb.433:                              ;   in Loop: Header=BB19_429 Depth=1
	v_lshl_add_u64 v[14:15], v[60:61], 1, v[12:13]
	v_lshl_add_u64 v[16:17], v[62:63], 1, v[12:13]
	;; [unrolled: 1-line block ×8, first 2 shown]
	global_load_ushort v30, v[14:15], off
	global_load_ushort v31, v[16:17], off
	s_nop 0
	global_load_ushort v18, v[18:19], off
	s_nop 0
	global_load_ushort v19, v[20:21], off
	global_load_ushort v14, v[22:23], off
	;; [unrolled: 1-line block ×5, first 2 shown]
	s_waitcnt vmcnt(7)
	ds_write_b16 v55, v30 offset:15360
	s_waitcnt vmcnt(6)
	ds_write_b16 v143, v31 offset:15360
	;; [unrolled: 2-line block ×4, first 2 shown]
.LBB19_434:                             ;   in Loop: Header=BB19_429 Depth=1
	s_or_b64 exec, exec, s[2:3]
	s_waitcnt vmcnt(3)
	ds_write_b16 v146, v14 offset:15360
	s_waitcnt vmcnt(2)
	ds_write_b16 v147, v15 offset:15360
	;; [unrolled: 2-line block ×4, first 2 shown]
	s_and_saveexec_b64 s[2:3], s[40:41]
	s_xor_b64 s[2:3], exec, s[2:3]
	s_cbranch_execz .LBB19_436
; %bb.435:                              ;   in Loop: Header=BB19_429 Depth=1
	ds_write_b16 v150, v57 offset:15360
	ds_write_b16 v151, v57 offset:15360
	;; [unrolled: 1-line block ×4, first 2 shown]
                                        ; implicit-def: $vgpr12_vgpr13
.LBB19_436:                             ;   in Loop: Header=BB19_429 Depth=1
	s_or_saveexec_b64 s[2:3], s[2:3]
	v_mov_b32_e32 v14, 0
	v_mov_b32_e32 v15, 0
	;; [unrolled: 1-line block ×4, first 2 shown]
	s_xor_b64 exec, exec, s[2:3]
	s_cbranch_execz .LBB19_438
; %bb.437:                              ;   in Loop: Header=BB19_429 Depth=1
	v_lshl_add_u64 v[14:15], v[76:77], 1, v[12:13]
	v_lshl_add_u64 v[16:17], v[78:79], 1, v[12:13]
	;; [unrolled: 1-line block ×8, first 2 shown]
	global_load_ushort v28, v[14:15], off
	global_load_ushort v29, v[16:17], off
	s_nop 0
	global_load_ushort v18, v[18:19], off
	s_nop 0
	global_load_ushort v19, v[20:21], off
	global_load_ushort v14, v[22:23], off
	;; [unrolled: 1-line block ×5, first 2 shown]
	s_waitcnt vmcnt(7)
	ds_write_b16 v150, v28 offset:15360
	s_waitcnt vmcnt(6)
	ds_write_b16 v151, v29 offset:15360
	;; [unrolled: 2-line block ×4, first 2 shown]
.LBB19_438:                             ;   in Loop: Header=BB19_429 Depth=1
	s_or_b64 exec, exec, s[2:3]
	s_waitcnt vmcnt(3)
	ds_write_b16 v154, v14 offset:15360
	s_waitcnt vmcnt(2)
	ds_write_b16 v155, v15 offset:15360
	;; [unrolled: 2-line block ×4, first 2 shown]
.LBB19_439:                             ;   in Loop: Header=BB19_429 Depth=1
	s_mul_hi_i32 s3, s52, s42
	s_mul_i32 s2, s52, s42
	s_lshl_b64 s[2:3], s[2:3], 2
	s_add_u32 s2, s59, s2
	s_addc_u32 s3, s61, s3
	scratch_store_dwordx4 off, v[186:189], off
	s_and_saveexec_b64 s[56:57], s[4:5]
	s_cbranch_execz .LBB19_441
; %bb.440:                              ;   in Loop: Header=BB19_429 Depth=1
	v_lshl_add_u64 v[12:13], v[94:95], 2, s[2:3]
	v_lshlrev_b32_e32 v14, 2, v96
	v_mov_b32_e32 v15, v57
	v_lshl_add_u64 v[12:13], v[12:13], 0, v[14:15]
	global_load_dwordx4 v[12:15], v[12:13], off offset:192
	s_waitcnt vmcnt(0)
	ds_write_b128 v164, v[12:15]
.LBB19_441:                             ;   in Loop: Header=BB19_429 Depth=1
	s_or_b64 exec, exec, s[56:57]
	v_lshl_add_u64 v[12:13], v[92:93], 2, s[2:3]
	v_lshl_add_u64 v[12:13], v[12:13], 0, v[56:57]
	;; [unrolled: 1-line block ×3, first 2 shown]
	v_mov_b32_e32 v18, s47
	v_cndmask_b32_e64 v13, v18, v13, s[6:7]
	v_cndmask_b32_e64 v12, v174, v12, s[6:7]
	flat_load_dwordx4 v[12:15], v[12:13]
	v_lshl_add_u64 v[16:17], v[52:53], 2, s[2:3]
	v_mov_b32_e32 v105, v57
	v_lshl_add_u64 v[16:17], v[16:17], 0, v[104:105]
	v_cndmask_b32_e64 v17, v18, v17, s[8:9]
	v_cndmask_b32_e64 v16, v174, v16, s[8:9]
	v_add_u32_e32 v33, 0x800, v163
	v_add_u32_e32 v34, 0x1800, v163
	;; [unrolled: 1-line block ×3, first 2 shown]
	s_and_b64 vcc, exec, s[38:39]
	s_waitcnt vmcnt(0) lgkmcnt(0)
	ds_write_b128 v160, v[12:15]
	flat_load_dwordx4 v[12:15], v[16:17]
	v_lshl_add_u64 v[16:17], v[50:51], 2, s[2:3]
	v_lshl_add_u64 v[16:17], v[16:17], 0, v[104:105]
	v_cndmask_b32_e64 v17, v18, v17, s[10:11]
	v_cndmask_b32_e64 v16, v174, v16, s[10:11]
	s_waitcnt vmcnt(0) lgkmcnt(0)
	ds_write_b128 v161, v[12:15]
	flat_load_dwordx4 v[12:15], v[16:17]
	s_waitcnt vmcnt(0) lgkmcnt(0)
	ds_write_b128 v162, v[12:15]
	s_waitcnt lgkmcnt(0)
	s_barrier
	ds_read2_b64 v[12:15], v163 offset1:4
	ds_read2_b64 v[20:23], v33 offset0:224 offset1:228
	ds_read2_b64 v[28:31], v34 offset0:192 offset1:196
	ds_read2_b64 v[178:181], v35 offset0:160 offset1:164
	s_waitcnt lgkmcnt(3)
	v_mfma_f32_16x16x16_f16 v[16:19], v[12:13], v[8:9], 0
	s_waitcnt lgkmcnt(2)
	v_mfma_f32_16x16x16_f16 v[24:27], v[20:21], v[8:9], 0
	;; [unrolled: 2-line block ×4, first 2 shown]
	v_mfma_f32_16x16x16_f16 v[12:15], v[14:15], v[10:11], v[16:19]
	v_mfma_f32_16x16x16_f16 v[16:19], v[22:23], v[10:11], v[24:27]
	;; [unrolled: 1-line block ×3, first 2 shown]
	ds_read2_b64 v[28:31], v163 offset0:8 offset1:12
	v_mfma_f32_16x16x16_f16 v[24:27], v[180:181], v[10:11], v[182:185]
	s_nop 0
	ds_read2_b64 v[110:113], v33 offset0:232 offset1:236
	ds_read2_b64 v[178:181], v34 offset0:200 offset1:204
	;; [unrolled: 1-line block ×3, first 2 shown]
	s_waitcnt lgkmcnt(2)
	v_mfma_f32_16x16x16_f16 v[16:19], v[110:111], v[4:5], v[16:19]
	s_waitcnt lgkmcnt(1)
	v_mfma_f32_16x16x16_f16 v[20:23], v[178:179], v[4:5], v[20:23]
	v_mfma_f32_16x16x16_f16 v[12:15], v[28:29], v[4:5], v[12:15]
	;; [unrolled: 1-line block ×3, first 2 shown]
	ds_read2_b64 v[110:113], v33 offset0:240 offset1:244
	v_mfma_f32_16x16x16_f16 v[20:23], v[180:181], v[6:7], v[20:23]
	ds_read2_b64 v[178:181], v34 offset0:208 offset1:212
	s_waitcnt lgkmcnt(2)
	v_mfma_f32_16x16x16_f16 v[24:27], v[182:183], v[4:5], v[24:27]
	v_mfma_f32_16x16x16_f16 v[12:15], v[30:31], v[6:7], v[12:15]
	ds_read2_b64 v[28:31], v163 offset0:16 offset1:20
	v_mfma_f32_16x16x16_f16 v[24:27], v[184:185], v[6:7], v[24:27]
	ds_read2_b64 v[182:185], v35 offset0:176 offset1:180
	s_waitcnt lgkmcnt(3)
	v_mfma_f32_16x16x16_f16 v[16:19], v[110:111], v[0:1], v[16:19]
	s_waitcnt lgkmcnt(2)
	v_mfma_f32_16x16x16_f16 v[20:23], v[178:179], v[0:1], v[20:23]
	;; [unrolled: 2-line block ×3, first 2 shown]
	v_mfma_f32_16x16x16_f16 v[16:19], v[112:113], v[2:3], v[16:19]
	v_mfma_f32_16x16x16_f16 v[110:113], v[180:181], v[2:3], v[20:23]
	s_nop 3
	ds_read_b64 v[20:21], v163 offset:192
	s_waitcnt lgkmcnt(1)
	v_mfma_f32_16x16x16_f16 v[24:27], v[182:183], v[0:1], v[24:27]
	v_mfma_f32_16x16x16_f16 v[12:15], v[30:31], v[2:3], v[12:15]
	ds_read_b64 v[22:23], v163 offset:4032
	ds_read_b64 v[30:31], v163 offset:7872
	;; [unrolled: 1-line block ×3, first 2 shown]
	s_waitcnt lgkmcnt(0)
	s_barrier
	v_mfma_f32_16x16x16_f16 v[178:181], v[184:185], v[2:3], v[24:27]
	v_mfma_f32_16x16x16_f16 v[26:29], v[20:21], v[48:49], v[12:15]
	;; [unrolled: 1-line block ×5, first 2 shown]
	s_cbranch_vccnz .LBB19_443
; %bb.442:                              ;   in Loop: Header=BB19_429 Depth=1
	ds_read_b32 v33, v165 offset:15360
	ds_read_b32 v47, v166 offset:15360
	ds_read2_b32 v[16:17], v171 offset1:1
	ds_read2_b32 v[30:31], v172 offset1:1
	s_waitcnt lgkmcnt(3)
	v_cvt_f32_f16_sdwa v35, v33 dst_sel:DWORD dst_unused:UNUSED_PAD src0_sel:WORD_1
	v_cvt_f32_f16_e32 v34, v33
	s_waitcnt lgkmcnt(1)
	v_cvt_f32_f16_e32 v112, v16
	v_cvt_f32_f16_e32 v178, v17
	v_cvt_f32_f16_sdwa v179, v17 dst_sel:DWORD dst_unused:UNUSED_PAD src0_sel:WORD_1
	v_cvt_f32_f16_sdwa v113, v16 dst_sel:DWORD dst_unused:UNUSED_PAD src0_sel:WORD_1
	ds_read2_b32 v[16:17], v173 offset1:1
	v_cvt_f32_f16_sdwa v111, v47 dst_sel:DWORD dst_unused:UNUSED_PAD src0_sel:WORD_1
	v_cvt_f32_f16_e32 v110, v47
	v_mov_b32_e32 v47, v46
	v_pk_fma_f32 v[26:27], v[102:103], v[34:35], v[26:27]
	v_pk_fma_f32 v[22:23], v[102:103], v[112:113], v[22:23]
	;; [unrolled: 1-line block ×3, first 2 shown]
	s_waitcnt lgkmcnt(1)
	v_cvt_f32_f16_e32 v34, v30
	v_cvt_f32_f16_sdwa v35, v30 dst_sel:DWORD dst_unused:UNUSED_PAD src0_sel:WORD_1
	v_cvt_f32_f16_e32 v30, v31
	v_cvt_f32_f16_sdwa v31, v31 dst_sel:DWORD dst_unused:UNUSED_PAD src0_sel:WORD_1
	s_waitcnt lgkmcnt(0)
	v_cvt_f32_f16_e32 v110, v16
	v_cvt_f32_f16_e32 v112, v17
	v_cvt_f32_f16_sdwa v113, v17 dst_sel:DWORD dst_unused:UNUSED_PAD src0_sel:WORD_1
	v_cvt_f32_f16_sdwa v111, v16 dst_sel:DWORD dst_unused:UNUSED_PAD src0_sel:WORD_1
	v_pk_fma_f32 v[24:25], v[46:47], v[178:179], v[24:25]
	v_pk_fma_f32 v[20:21], v[46:47], v[30:31], v[20:21]
	v_pk_fma_f32 v[18:19], v[102:103], v[34:35], v[18:19]
	v_pk_fma_f32 v[14:15], v[46:47], v[112:113], v[14:15]
	v_pk_fma_f32 v[12:13], v[102:103], v[110:111], v[12:13]
.LBB19_443:                             ;   in Loop: Header=BB19_429 Depth=1
	s_nop 3
	v_add_f32_e32 v16, 0x40051340, v26
	v_max_f32_e32 v17, v32, v32
	v_max_f32_e32 v16, v17, v16
	v_cndmask_b32_e64 v16, v32, v16, s[12:13]
	v_add_f32_e32 v17, 0x40051340, v27
	v_max_f32_e32 v16, v16, v16
	v_max_f32_e32 v16, v16, v17
	v_cndmask_b32_e64 v16, v32, v16, s[12:13]
	;; [unrolled: 4-line block ×16, first 2 shown]
	ds_bpermute_b32 v17, v158, v16
	v_max_f32_e32 v16, v16, v16
	v_readlane_b32 s2, v254, 56
	v_readlane_b32 s3, v254, 57
	s_mul_hi_i32 s3, s52, s2
	s_waitcnt lgkmcnt(0)
	v_max_f32_e32 v17, v17, v17
	v_max_f32_e32 v16, v16, v17
	ds_bpermute_b32 v17, v159, v16
	s_mul_i32 s2, s52, s2
	s_lshl_b64 s[2:3], s[2:3], 2
	s_add_u32 s2, s43, s2
	s_addc_u32 s3, s58, s3
	scratch_store_dwordx4 off, v[186:189], off
	s_and_saveexec_b64 s[38:39], s[4:5]
	s_cbranch_execz .LBB19_445
; %bb.444:                              ;   in Loop: Header=BB19_429 Depth=1
	v_lshl_add_u64 v[30:31], v[98:99], 2, s[2:3]
	v_lshlrev_b32_e32 v34, 2, v96
	v_mov_b32_e32 v35, v57
	v_lshl_add_u64 v[30:31], v[30:31], 0, v[34:35]
	global_load_dwordx4 v[110:113], v[30:31], off offset:192
	s_waitcnt vmcnt(0)
	ds_write_b128 v164, v[110:113]
.LBB19_445:                             ;   in Loop: Header=BB19_429 Depth=1
	s_or_b64 exec, exec, s[38:39]
	v_lshl_add_u64 v[34:35], v[100:101], 2, s[2:3]
	v_lshl_add_u64 v[34:35], v[34:35], 0, v[56:57]
	;; [unrolled: 1-line block ×3, first 2 shown]
	v_mov_b32_e32 v177, s47
	v_cndmask_b32_e64 v35, v177, v35, s[6:7]
	v_cndmask_b32_e64 v34, v174, v34, s[6:7]
	flat_load_dwordx4 v[110:113], v[34:35]
	s_waitcnt lgkmcnt(0)
	v_max_f32_e32 v17, v17, v17
	v_max_f32_e32 v16, v16, v16
	;; [unrolled: 1-line block ×3, first 2 shown]
	v_sub_f32_e32 v16, v26, v47
	v_mul_f32_e32 v17, 0x3fb8aa3b, v16
	v_fma_f32 v26, v16, s46, -v17
	v_rndne_f32_e32 v30, v17
	v_fmac_f32_e32 v26, 0x32a5705f, v16
	v_sub_f32_e32 v17, v17, v30
	v_add_f32_e32 v17, v17, v26
	v_exp_f32_e32 v17, v17
	v_cvt_i32_f32_e32 v26, v30
	v_cmp_ngt_f32_e32 vcc, s63, v16
	v_sub_f32_e32 v29, v29, v47
	v_sub_f32_e32 v22, v22, v47
	v_ldexp_f32 v17, v17, v26
	v_sub_f32_e32 v26, v27, v47
	v_mul_f32_e32 v27, 0x3fb8aa3b, v26
	v_fma_f32 v30, v26, s46, -v27
	v_rndne_f32_e32 v31, v27
	v_fmac_f32_e32 v30, 0x32a5705f, v26
	v_sub_f32_e32 v27, v27, v31
	v_add_f32_e32 v27, v27, v30
	v_exp_f32_e32 v27, v27
	v_cvt_i32_f32_e32 v31, v31
	v_cndmask_b32_e32 v17, 0, v17, vcc
	v_cmp_nlt_f32_e32 vcc, s64, v16
	v_sub_f32_e32 v23, v23, v47
	v_sub_f32_e32 v24, v24, v47
	v_cndmask_b32_e32 v30, v175, v17, vcc
	v_ldexp_f32 v17, v27, v31
	v_cmp_ngt_f32_e32 vcc, s63, v26
	v_sub_f32_e32 v25, v25, v47
	v_mov_b32_e32 v105, v57
	v_cndmask_b32_e32 v17, 0, v17, vcc
	v_cmp_nlt_f32_e32 vcc, s64, v26
	v_sub_f32_e32 v26, v28, v47
	v_mul_f32_e32 v27, 0x3fb8aa3b, v26
	v_fma_f32 v28, v26, s46, -v27
	v_rndne_f32_e32 v33, v27
	v_fmac_f32_e32 v28, 0x32a5705f, v26
	v_sub_f32_e32 v27, v27, v33
	v_add_f32_e32 v27, v27, v28
	v_exp_f32_e32 v27, v27
	v_cvt_i32_f32_e32 v28, v33
	v_cndmask_b32_e32 v31, v175, v17, vcc
	v_cmp_ngt_f32_e32 vcc, s63, v26
	v_sub_f32_e32 v18, v18, v47
	v_ldexp_f32 v27, v27, v28
	v_cndmask_b32_e32 v27, 0, v27, vcc
	v_cmp_nlt_f32_e32 vcc, s64, v26
	v_mul_f32_e32 v26, 0x3fb8aa3b, v29
	v_fma_f32 v28, v29, s46, -v26
	v_rndne_f32_e32 v33, v26
	v_fmac_f32_e32 v28, 0x32a5705f, v29
	v_sub_f32_e32 v26, v26, v33
	v_add_f32_e32 v26, v26, v28
	v_exp_f32_e32 v34, v26
	v_cvt_i32_f32_e32 v33, v33
	v_cndmask_b32_e32 v28, v175, v27, vcc
	v_cmp_ngt_f32_e32 vcc, s63, v29
	v_sub_f32_e32 v19, v19, v47
	v_ldexp_f32 v27, v34, v33
	v_mul_f32_e32 v33, 0x3fb8aa3b, v22
	v_fma_f32 v34, v22, s46, -v33
	v_rndne_f32_e32 v35, v33
	v_fmac_f32_e32 v34, 0x32a5705f, v22
	v_sub_f32_e32 v33, v33, v35
	v_add_f32_e32 v33, v33, v34
	v_exp_f32_e32 v33, v33
	v_cvt_i32_f32_e32 v34, v35
	v_cndmask_b32_e32 v27, 0, v27, vcc
	v_cmp_nlt_f32_e32 vcc, s64, v29
	v_sub_f32_e32 v20, v20, v47
	v_sub_f32_e32 v21, v21, v47
	v_cndmask_b32_e32 v184, v175, v27, vcc
	v_ldexp_f32 v27, v33, v34
	v_cmp_ngt_f32_e32 vcc, s63, v22
	v_sub_f32_e32 v12, v12, v47
	s_waitcnt vmcnt(0)
	ds_write_b128 v160, v[110:113]
	v_cndmask_b32_e32 v27, 0, v27, vcc
	v_cmp_nlt_f32_e32 vcc, s64, v22
	v_mul_f32_e32 v22, 0x3fb8aa3b, v23
	v_fma_f32 v29, v23, s46, -v22
	v_rndne_f32_e32 v33, v22
	v_fmac_f32_e32 v29, 0x32a5705f, v23
	v_sub_f32_e32 v22, v22, v33
	v_add_f32_e32 v22, v22, v29
	v_exp_f32_e32 v34, v22
	v_cvt_i32_f32_e32 v33, v33
	v_cndmask_b32_e32 v29, v175, v27, vcc
	v_cmp_ngt_f32_e32 vcc, s63, v23
	v_sub_f32_e32 v13, v13, v47
	v_ldexp_f32 v27, v34, v33
	v_cndmask_b32_e32 v27, 0, v27, vcc
	v_cmp_nlt_f32_e32 vcc, s64, v23
	v_mul_f32_e32 v23, 0x3fb8aa3b, v24
	v_fma_f32 v33, v24, s46, -v23
	v_rndne_f32_e32 v34, v23
	v_fmac_f32_e32 v33, 0x32a5705f, v24
	v_sub_f32_e32 v23, v23, v34
	v_add_f32_e32 v23, v23, v33
	v_exp_f32_e32 v33, v23
	v_cvt_i32_f32_e32 v34, v34
	v_cndmask_b32_e32 v185, v175, v27, vcc
	v_cmp_ngt_f32_e32 vcc, s63, v24
	v_sub_f32_e32 v14, v14, v47
	v_ldexp_f32 v27, v33, v34
	v_cndmask_b32_e32 v27, 0, v27, vcc
	v_cmp_nlt_f32_e32 vcc, s64, v24
	v_sub_f32_e32 v15, v15, v47
	v_mov_b32_e32 v17, s62
	v_cndmask_b32_e32 v33, v175, v27, vcc
	v_mul_f32_e32 v27, 0x3fb8aa3b, v25
	v_fma_f32 v34, v25, s46, -v27
	v_rndne_f32_e32 v35, v27
	v_fmac_f32_e32 v34, 0x32a5705f, v25
	v_sub_f32_e32 v27, v27, v35
	v_add_f32_e32 v27, v27, v34
	v_cvt_i32_f32_e32 v178, v35
	v_lshl_add_u64 v[34:35], v[44:45], 2, s[2:3]
	v_lshl_add_u64 v[34:35], v[34:35], 0, v[104:105]
	v_cndmask_b32_e64 v35, v177, v35, s[8:9]
	v_cndmask_b32_e64 v34, v174, v34, s[8:9]
	flat_load_dwordx4 v[110:113], v[34:35]
	v_exp_f32_e32 v27, v27
	v_mul_f32_e32 v34, 0x3fb8aa3b, v18
	v_fma_f32 v35, v18, s46, -v34
	v_fmac_f32_e32 v35, 0x32a5705f, v18
	v_ldexp_f32 v27, v27, v178
	v_rndne_f32_e32 v178, v34
	v_sub_f32_e32 v34, v34, v178
	v_add_f32_e32 v34, v34, v35
	v_exp_f32_e32 v35, v34
	v_cvt_i32_f32_e32 v178, v178
	v_cmp_ngt_f32_e32 vcc, s63, v25
	v_mov_b32_e32 v26, s62
	v_cndmask_b32_e64 v16, 0, v30, s[12:13]
	v_cndmask_b32_e32 v27, 0, v27, vcc
	v_cmp_nlt_f32_e32 vcc, s64, v25
	v_ldexp_f32 v25, v35, v178
	v_cndmask_b32_e64 v17, v17, v31, s[12:13]
	v_cndmask_b32_e32 v34, v175, v27, vcc
	v_cmp_ngt_f32_e32 vcc, s63, v18
	v_cndmask_b32_e64 v26, v26, v28, s[12:13]
	v_mov_b32_e32 v22, s62
	v_cndmask_b32_e32 v25, 0, v25, vcc
	v_cmp_nlt_f32_e32 vcc, s64, v18
	v_mul_f32_e32 v18, 0x3fb8aa3b, v19
	v_fma_f32 v27, v19, s46, -v18
	v_rndne_f32_e32 v35, v18
	v_fmac_f32_e32 v27, 0x32a5705f, v19
	v_sub_f32_e32 v18, v18, v35
	v_add_f32_e32 v18, v18, v27
	v_exp_f32_e32 v27, v18
	v_cvt_i32_f32_e32 v178, v35
	v_cndmask_b32_e32 v35, v175, v25, vcc
	v_cmp_ngt_f32_e32 vcc, s63, v19
	v_mov_b32_e32 v23, s62
	v_ldexp_f32 v25, v27, v178
	v_cndmask_b32_e32 v25, 0, v25, vcc
	v_cmp_nlt_f32_e32 vcc, s64, v19
	v_mul_f32_e32 v19, 0x3fb8aa3b, v20
	v_fma_f32 v27, v20, s46, -v19
	v_rndne_f32_e32 v178, v19
	v_fmac_f32_e32 v27, 0x32a5705f, v20
	v_sub_f32_e32 v19, v19, v178
	v_add_f32_e32 v19, v19, v27
	v_exp_f32_e32 v27, v19
	v_cvt_i32_f32_e32 v178, v178
	v_cndmask_b32_e32 v182, v175, v25, vcc
	v_cmp_ngt_f32_e32 vcc, s63, v20
	v_mov_b32_e32 v24, s62
	v_ldexp_f32 v25, v27, v178
	v_cndmask_b32_e32 v25, 0, v25, vcc
	v_cmp_nlt_f32_e32 vcc, s64, v20
	v_mul_f32_e32 v20, 0x3fb8aa3b, v21
	v_fma_f32 v27, v21, s46, -v20
	v_rndne_f32_e32 v178, v20
	v_fmac_f32_e32 v27, 0x32a5705f, v21
	v_sub_f32_e32 v20, v20, v178
	v_add_f32_e32 v20, v20, v27
	v_exp_f32_e32 v27, v20
	v_cvt_i32_f32_e32 v178, v178
	v_cndmask_b32_e32 v183, v175, v25, vcc
	v_cmp_ngt_f32_e32 vcc, s63, v21
	v_cndmask_b32_e64 v22, v22, v29, s[14:15]
	v_ldexp_f32 v25, v27, v178
	v_mul_f32_e32 v27, 0x3fb8aa3b, v12
	v_fma_f32 v178, v12, s46, -v27
	v_rndne_f32_e32 v179, v27
	v_fmac_f32_e32 v178, 0x32a5705f, v12
	v_sub_f32_e32 v27, v27, v179
	v_add_f32_e32 v27, v27, v178
	v_exp_f32_e32 v27, v27
	v_cvt_i32_f32_e32 v179, v179
	v_cndmask_b32_e32 v25, 0, v25, vcc
	v_cmp_nlt_f32_e32 vcc, s64, v21
	v_cndmask_b32_e64 v23, v23, v185, s[16:17]
	v_ldexp_f32 v21, v27, v179
	v_cndmask_b32_e32 v178, v175, v25, vcc
	v_cmp_ngt_f32_e32 vcc, s63, v12
	v_cndmask_b32_e64 v24, v24, v33, s[18:19]
	v_mov_b32_e32 v18, s62
	s_waitcnt vmcnt(0) lgkmcnt(0)
	ds_write_b128 v161, v[110:113]
	v_lshl_add_u64 v[110:111], v[42:43], 2, s[2:3]
	v_lshl_add_u64 v[110:111], v[110:111], 0, v[104:105]
	v_cndmask_b32_e64 v111, v177, v111, s[10:11]
	v_cndmask_b32_e64 v110, v174, v110, s[10:11]
	flat_load_dwordx4 v[110:113], v[110:111]
	v_cndmask_b32_e32 v21, 0, v21, vcc
	v_cmp_nlt_f32_e32 vcc, s64, v12
	v_mul_f32_e32 v12, 0x3fb8aa3b, v13
	v_fma_f32 v25, v13, s46, -v12
	v_rndne_f32_e32 v27, v12
	v_fmac_f32_e32 v25, 0x32a5705f, v13
	v_sub_f32_e32 v12, v12, v27
	v_add_f32_e32 v12, v12, v25
	v_exp_f32_e32 v25, v12
	v_cvt_i32_f32_e32 v27, v27
	v_cndmask_b32_e32 v179, v175, v21, vcc
	v_cmp_ngt_f32_e32 vcc, s63, v13
	v_mov_b32_e32 v19, s62
	v_ldexp_f32 v21, v25, v27
	v_cndmask_b32_e32 v21, 0, v21, vcc
	v_cmp_nlt_f32_e32 vcc, s64, v13
	v_mul_f32_e32 v13, 0x3fb8aa3b, v14
	v_fma_f32 v25, v14, s46, -v13
	v_rndne_f32_e32 v27, v13
	v_fmac_f32_e32 v25, 0x32a5705f, v14
	v_sub_f32_e32 v13, v13, v27
	v_add_f32_e32 v13, v13, v25
	v_exp_f32_e32 v25, v13
	v_cvt_i32_f32_e32 v27, v27
	v_cndmask_b32_e32 v181, v175, v21, vcc
	v_cmp_ngt_f32_e32 vcc, s63, v14
	v_mov_b32_e32 v20, s62
	v_ldexp_f32 v21, v25, v27
	v_cndmask_b32_e32 v21, 0, v21, vcc
	v_cmp_nlt_f32_e32 vcc, s64, v14
	v_cndmask_b32_e64 v18, v18, v35, s[22:23]
	v_cndmask_b32_e64 v19, v19, v182, s[24:25]
	v_cndmask_b32_e32 v180, v175, v21, vcc
	v_mul_f32_e32 v21, 0x3fb8aa3b, v15
	v_fma_f32 v25, v15, s46, -v21
	v_rndne_f32_e32 v27, v21
	v_fmac_f32_e32 v25, 0x32a5705f, v15
	v_sub_f32_e32 v21, v21, v27
	v_add_f32_e32 v21, v21, v25
	v_cvt_i32_f32_e32 v25, v27
	v_sub_f32_e32 v27, v32, v47
	v_mul_f32_e32 v32, 0x3fb8aa3b, v27
	v_fma_f32 v105, v27, s46, -v32
	v_rndne_f32_e32 v177, v32
	v_fmac_f32_e32 v105, 0x32a5705f, v27
	v_sub_f32_e32 v32, v32, v177
	v_add_f32_e32 v32, v32, v105
	v_exp_f32_e32 v21, v21
	v_exp_f32_e32 v32, v32
	v_cvt_i32_f32_e32 v105, v177
	v_cmp_ngt_f32_e64 s[2:3], s63, v27
	v_ldexp_f32 v21, v21, v25
	v_cmp_ngt_f32_e32 vcc, s63, v15
	v_ldexp_f32 v25, v32, v105
	v_cndmask_b32_e64 v25, 0, v25, s[2:3]
	v_cmp_nlt_f32_e64 s[2:3], s64, v27
	v_cndmask_b32_e32 v21, 0, v21, vcc
	v_cmp_nlt_f32_e32 vcc, s64, v15
	v_cndmask_b32_e64 v25, v175, v25, s[2:3]
	v_cmp_le_f32_e64 s[2:3], s65, v27
	v_cndmask_b32_e32 v105, v175, v21, vcc
	v_mov_b32_e32 v15, s62
	v_cndmask_b32_e64 v177, 0, v25, s[2:3]
	v_cvt_f16_f32_e32 v25, v177
	v_cndmask_b32_e64 v195, v15, v105, s[36:37]
	v_cndmask_b32_e64 v196, v15, v178, s[28:29]
	;; [unrolled: 1-line block ×3, first 2 shown]
	v_mul_u32_u24_e32 v32, 0x10001, v25
	v_pk_mul_f16 v21, v109, v32
	v_pk_mul_f16 v25, v108, v32
	;; [unrolled: 1-line block ×4, first 2 shown]
	v_cndmask_b32_e64 v15, v15, v184, s[12:13]
	v_cndmask_b32_e64 v20, v20, v183, s[26:27]
	v_mov_b32_e32 v12, s62
	v_mov_b32_e32 v13, s62
	;; [unrolled: 1-line block ×3, first 2 shown]
	v_cndmask_b32_e64 v12, v12, v179, s[0:1]
	v_cndmask_b32_e64 v13, v13, v181, s[30:31]
	s_waitcnt vmcnt(0) lgkmcnt(0)
	ds_write_b128 v162, v[110:113]
	s_waitcnt lgkmcnt(0)
	s_barrier
	ds_read_u16 v106, v167 offset:240
	ds_read_u16 v107, v169
	ds_read_u16 v108, v170
	;; [unrolled: 1-line block ×3, first 2 shown]
	v_cvt_f32_f16_e32 v110, v21
	v_cvt_f32_f16_sdwa v111, v21 dst_sel:DWORD dst_unused:UNUSED_PAD src0_sel:WORD_1
	v_cvt_f32_f16_e32 v112, v25
	s_waitcnt lgkmcnt(1)
	v_perm_b32 v107, v108, v107, s66
	s_waitcnt lgkmcnt(0)
	v_perm_b32 v106, v106, v109, s66
	v_cvt_f32_f16_sdwa v113, v25 dst_sel:DWORD dst_unused:UNUSED_PAD src0_sel:WORD_1
	v_cvt_pk_f16_f32 v109, v26, v15
	v_cvt_pk_f16_f32 v108, v16, v17
	v_cndmask_b32_e64 v14, v14, v180, s[34:35]
	v_pk_mul_f16 v135, v135, v32
	v_mfma_f32_16x16x16_f16 v[110:113], v[106:107], v[108:109], v[110:113]
	ds_read_u16 v25, v167 offset:3840
	ds_read_u16 v26, v169 offset:3840
	;; [unrolled: 1-line block ×4, first 2 shown]
	v_add_f32_e32 v30, v30, v31
	v_add_f32_e32 v28, v30, v28
	s_nop 1
	v_cvt_f16_f32_e32 v16, v111
	v_cvt_f16_f32_e32 v17, v112
	;; [unrolled: 1-line block ×4, first 2 shown]
	v_cvt_f32_f16_e32 v191, v16
	v_cvt_f32_f16_e32 v192, v17
	s_waitcnt lgkmcnt(1)
	v_perm_b32 v17, v106, v26, s66
	s_waitcnt lgkmcnt(0)
	v_perm_b32 v16, v107, v25, s66
	v_cvt_f32_f16_e32 v190, v15
	v_cvt_f32_f16_e32 v193, v21
	v_cvt_pk_f16_f32 v113, v24, v197
	v_cvt_pk_f16_f32 v112, v22, v23
	ds_read_u16 v26, v169 offset:32
	v_cvt_pk_f16_f32 v111, v20, v196
	v_mfma_f32_16x16x16_f16 v[22:25], v[16:17], v[112:113], v[190:193]
	v_add_f32_e32 v28, v28, v184
	v_cndmask_b32_e64 v28, 0, v28, s[12:13]
	v_add_f32_e32 v29, v29, v28
	v_pk_mul_f16 v131, v131, v32
	v_pk_mul_f16 v127, v127, v32
	s_nop 2
	v_cvt_f16_f32_e32 v21, v25
	ds_read_u16 v25, v167 offset:7680
	ds_read_u16 v106, v169 offset:7680
	;; [unrolled: 1-line block ×4, first 2 shown]
	v_cvt_f16_f32_e32 v16, v23
	v_cvt_f16_f32_e32 v17, v24
	v_cvt_f16_f32_e32 v15, v22
	ds_read_u16 v190, v170 offset:32
	v_cvt_f32_f16_e32 v23, v16
	v_cvt_f32_f16_e32 v24, v17
	s_waitcnt lgkmcnt(2)
	v_perm_b32 v17, v107, v106, s66
	s_waitcnt lgkmcnt(1)
	v_perm_b32 v16, v110, v25, s66
	v_cvt_f32_f16_e32 v22, v15
	v_cvt_f32_f16_e32 v25, v21
	v_cvt_pk_f16_f32 v110, v18, v19
	v_cvt_pk_f16_f32 v107, v14, v195
	;; [unrolled: 1-line block ×3, first 2 shown]
	v_mfma_f32_16x16x16_f16 v[16:19], v[16:17], v[110:111], v[22:25]
	ds_read_u16 v20, v167 offset:11520
	ds_read_u16 v21, v169 offset:11520
	s_nop 0
	ds_read_u16 v22, v170 offset:11520
	ds_read_u16 v23, v167 offset:11760
	s_add_i32 s72, s72, 1
	v_cmp_lt_i32_e32 vcc, s72, v142
	s_nop 0
	v_cvt_f16_f32_e32 v15, v16
	v_cvt_f16_f32_e32 v17, v17
	;; [unrolled: 1-line block ×4, first 2 shown]
	s_waitcnt lgkmcnt(1)
	v_perm_b32 v21, v22, v21, s66
	s_waitcnt lgkmcnt(0)
	v_perm_b32 v20, v23, v20, s66
	v_cvt_f32_f16_e32 v16, v15
	v_cvt_f32_f16_e32 v17, v17
	;; [unrolled: 1-line block ×4, first 2 shown]
	ds_read_u16 v22, v167 offset:32
	s_and_b64 vcc, exec, vcc
	v_mfma_f32_16x16x16_f16 v[12:15], v[20:21], v[106:107], v[16:19]
	v_perm_b32 v21, v190, v26, s66
	s_add_i32 s52, s52, 64
	s_nop 0
	ds_read_u16 v19, v167 offset:272
	v_cvt_f32_f16_e32 v16, v27
	v_cvt_f32_f16_sdwa v17, v27 dst_sel:DWORD dst_unused:UNUSED_PAD src0_sel:WORD_1
	v_cvt_f32_f16_e32 v18, v194
	s_waitcnt lgkmcnt(0)
	v_perm_b32 v20, v19, v22, s66
	v_cvt_f32_f16_sdwa v19, v194 dst_sel:DWORD dst_unused:UNUSED_PAD src0_sel:WORD_1
	s_nop 1
	v_mfma_f32_16x16x16_f16 v[16:19], v[20:21], v[108:109], v[16:19]
	ds_read_u16 v20, v167 offset:3872
	ds_read_u16 v21, v169 offset:3872
	;; [unrolled: 1-line block ×4, first 2 shown]
	s_nop 3
	v_cvt_f16_f32_e32 v16, v16
	v_cvt_f16_f32_e32 v17, v17
	v_cvt_f16_f32_e32 v18, v18
	v_cvt_f16_f32_e32 v19, v19
	s_waitcnt lgkmcnt(1)
	v_perm_b32 v21, v22, v21, s66
	s_waitcnt lgkmcnt(0)
	v_perm_b32 v20, v23, v20, s66
	v_cvt_f32_f16_e32 v16, v16
	v_cvt_f32_f16_e32 v17, v17
	v_cvt_f32_f16_e32 v18, v18
	v_cvt_f32_f16_e32 v19, v19
	s_nop 1
	v_mfma_f32_16x16x16_f16 v[16:19], v[20:21], v[112:113], v[16:19]
	ds_read_u16 v20, v167 offset:7712
	ds_read_u16 v21, v169 offset:7712
	;; [unrolled: 1-line block ×4, first 2 shown]
	s_nop 3
	v_cvt_f16_f32_e32 v16, v16
	v_cvt_f16_f32_e32 v17, v17
	;; [unrolled: 1-line block ×4, first 2 shown]
	s_waitcnt lgkmcnt(1)
	v_perm_b32 v21, v22, v21, s66
	s_waitcnt lgkmcnt(0)
	v_perm_b32 v20, v23, v20, s66
	v_cvt_f32_f16_e32 v16, v16
	v_cvt_f32_f16_e32 v17, v17
	v_cvt_f32_f16_e32 v18, v18
	v_cvt_f32_f16_e32 v19, v19
	s_nop 1
	v_mfma_f32_16x16x16_f16 v[16:19], v[20:21], v[110:111], v[16:19]
	ds_read_u16 v20, v167 offset:11552
	ds_read_u16 v21, v169 offset:11552
	;; [unrolled: 1-line block ×8, first 2 shown]
	v_cvt_f16_f32_e32 v16, v16
	v_cvt_f16_f32_e32 v17, v17
	;; [unrolled: 1-line block ×4, first 2 shown]
	s_waitcnt lgkmcnt(5)
	v_perm_b32 v21, v22, v21, s66
	s_waitcnt lgkmcnt(4)
	v_perm_b32 v20, v23, v20, s66
	v_cvt_f32_f16_e32 v16, v16
	v_cvt_f32_f16_e32 v17, v17
	;; [unrolled: 1-line block ×4, first 2 shown]
	v_pk_mul_f16 v22, v141, v32
	v_pk_mul_f16 v23, v140, v32
	s_waitcnt lgkmcnt(1)
	v_perm_b32 v25, v26, v25, s66
	s_waitcnt lgkmcnt(0)
	v_perm_b32 v24, v27, v24, s66
	v_mfma_f32_16x16x16_f16 v[16:19], v[20:21], v[106:107], v[16:19]
	v_cvt_f32_f16_e32 v20, v22
	v_cvt_f32_f16_sdwa v21, v22 dst_sel:DWORD dst_unused:UNUSED_PAD src0_sel:WORD_1
	v_cvt_f32_f16_e32 v22, v23
	v_cvt_f32_f16_sdwa v23, v23 dst_sel:DWORD dst_unused:UNUSED_PAD src0_sel:WORD_1
	s_nop 1
	v_mfma_f32_16x16x16_f16 v[20:23], v[24:25], v[108:109], v[20:23]
	ds_read_u16 v24, v167 offset:3904
	ds_read_u16 v25, v169 offset:3904
	;; [unrolled: 1-line block ×4, first 2 shown]
	s_nop 3
	v_cvt_f16_f32_e32 v20, v20
	v_cvt_f16_f32_e32 v21, v21
	;; [unrolled: 1-line block ×4, first 2 shown]
	s_waitcnt lgkmcnt(1)
	v_perm_b32 v25, v26, v25, s66
	s_waitcnt lgkmcnt(0)
	v_perm_b32 v24, v27, v24, s66
	v_cvt_f32_f16_e32 v20, v20
	v_cvt_f32_f16_e32 v21, v21
	;; [unrolled: 1-line block ×4, first 2 shown]
	s_nop 1
	v_mfma_f32_16x16x16_f16 v[20:23], v[24:25], v[112:113], v[20:23]
	ds_read_u16 v24, v167 offset:7744
	ds_read_u16 v25, v169 offset:7744
	;; [unrolled: 1-line block ×4, first 2 shown]
	s_nop 3
	v_cvt_f16_f32_e32 v20, v20
	v_cvt_f16_f32_e32 v21, v21
	;; [unrolled: 1-line block ×4, first 2 shown]
	s_waitcnt lgkmcnt(1)
	v_perm_b32 v25, v26, v25, s66
	s_waitcnt lgkmcnt(0)
	v_perm_b32 v24, v27, v24, s66
	v_cvt_f32_f16_e32 v20, v20
	v_cvt_f32_f16_e32 v21, v21
	v_cvt_f32_f16_e32 v22, v22
	v_cvt_f32_f16_e32 v23, v23
	s_nop 1
	v_mfma_f32_16x16x16_f16 v[20:23], v[24:25], v[110:111], v[20:23]
	ds_read_u16 v24, v167 offset:11584
	ds_read_u16 v25, v169 offset:11584
	;; [unrolled: 1-line block ×4, first 2 shown]
	s_nop 3
	v_cvt_f16_f32_e32 v20, v20
	v_cvt_f16_f32_e32 v21, v21
	;; [unrolled: 1-line block ×4, first 2 shown]
	s_waitcnt lgkmcnt(1)
	v_perm_b32 v25, v26, v25, s66
	s_waitcnt lgkmcnt(0)
	v_perm_b32 v24, v27, v24, s66
	v_pk_mul_f16 v26, v139, v32
	v_pk_mul_f16 v27, v138, v32
	ds_read_u16 v138, v167 offset:96
	ds_read_u16 v139, v169 offset:96
	;; [unrolled: 1-line block ×4, first 2 shown]
	v_cvt_f32_f16_e32 v20, v20
	v_cvt_f32_f16_e32 v21, v21
	;; [unrolled: 1-line block ×4, first 2 shown]
	s_waitcnt lgkmcnt(1)
	v_perm_b32 v139, v140, v139, s66
	s_waitcnt lgkmcnt(0)
	v_perm_b32 v138, v141, v138, s66
	v_mfma_f32_16x16x16_f16 v[20:23], v[24:25], v[106:107], v[20:23]
	v_cvt_f32_f16_e32 v24, v26
	v_cvt_f32_f16_sdwa v25, v26 dst_sel:DWORD dst_unused:UNUSED_PAD src0_sel:WORD_1
	v_cvt_f32_f16_e32 v26, v27
	v_cvt_f32_f16_sdwa v27, v27 dst_sel:DWORD dst_unused:UNUSED_PAD src0_sel:WORD_1
	s_nop 1
	v_mfma_f32_16x16x16_f16 v[24:27], v[138:139], v[108:109], v[24:27]
	ds_read_u16 v138, v167 offset:3936
	ds_read_u16 v139, v169 offset:3936
	;; [unrolled: 1-line block ×4, first 2 shown]
	s_nop 3
	v_cvt_f16_f32_e32 v24, v24
	v_cvt_f16_f32_e32 v25, v25
	;; [unrolled: 1-line block ×4, first 2 shown]
	s_waitcnt lgkmcnt(1)
	v_perm_b32 v139, v140, v139, s66
	s_waitcnt lgkmcnt(0)
	v_perm_b32 v138, v141, v138, s66
	v_cvt_f32_f16_e32 v24, v24
	v_cvt_f32_f16_e32 v25, v25
	;; [unrolled: 1-line block ×4, first 2 shown]
	s_nop 1
	v_mfma_f32_16x16x16_f16 v[24:27], v[138:139], v[112:113], v[24:27]
	ds_read_u16 v138, v167 offset:7776
	ds_read_u16 v139, v169 offset:7776
	;; [unrolled: 1-line block ×4, first 2 shown]
	s_nop 3
	v_cvt_f16_f32_e32 v24, v24
	v_cvt_f16_f32_e32 v25, v25
	;; [unrolled: 1-line block ×4, first 2 shown]
	s_waitcnt lgkmcnt(1)
	v_perm_b32 v139, v140, v139, s66
	s_waitcnt lgkmcnt(0)
	v_perm_b32 v138, v141, v138, s66
	v_cvt_f32_f16_e32 v24, v24
	v_cvt_f32_f16_e32 v25, v25
	;; [unrolled: 1-line block ×4, first 2 shown]
	s_nop 1
	v_mfma_f32_16x16x16_f16 v[24:27], v[138:139], v[110:111], v[24:27]
	ds_read_u16 v138, v167 offset:11616
	ds_read_u16 v139, v169 offset:11616
	;; [unrolled: 1-line block ×4, first 2 shown]
	s_nop 3
	v_cvt_f16_f32_e32 v24, v24
	v_cvt_f16_f32_e32 v25, v25
	;; [unrolled: 1-line block ×4, first 2 shown]
	s_waitcnt lgkmcnt(1)
	v_perm_b32 v139, v140, v139, s66
	s_waitcnt lgkmcnt(0)
	v_perm_b32 v138, v141, v138, s66
	v_pk_mul_f16 v141, v134, v32
	ds_read_u16 v134, v167 offset:128
	ds_read_u16 v190, v169 offset:128
	;; [unrolled: 1-line block ×4, first 2 shown]
	v_cvt_f32_f16_e32 v24, v24
	v_cvt_f32_f16_e32 v25, v25
	;; [unrolled: 1-line block ×4, first 2 shown]
	s_waitcnt lgkmcnt(0)
	v_perm_b32 v134, v192, v134, s66
	v_cvt_f32_f16_e32 v140, v141
	v_mfma_f32_16x16x16_f16 v[24:27], v[138:139], v[106:107], v[24:27]
	v_cvt_f32_f16_e32 v138, v135
	v_cvt_f32_f16_sdwa v139, v135 dst_sel:DWORD dst_unused:UNUSED_PAD src0_sel:WORD_1
	v_perm_b32 v135, v191, v190, s66
	v_cvt_f32_f16_sdwa v141, v141 dst_sel:DWORD dst_unused:UNUSED_PAD src0_sel:WORD_1
	ds_read_u16 v190, v167 offset:3968
	ds_read_u16 v191, v169 offset:3968
	;; [unrolled: 1-line block ×4, first 2 shown]
	v_mfma_f32_16x16x16_f16 v[138:141], v[134:135], v[108:109], v[138:141]
	s_nop 7
	v_cvt_f16_f32_e32 v134, v138
	v_cvt_f16_f32_e32 v135, v139
	;; [unrolled: 1-line block ×4, first 2 shown]
	v_cvt_f32_f16_e32 v138, v134
	v_cvt_f32_f16_e32 v139, v135
	s_waitcnt lgkmcnt(1)
	v_perm_b32 v135, v192, v191, s66
	s_waitcnt lgkmcnt(0)
	v_perm_b32 v134, v193, v190, s66
	v_cvt_f32_f16_e32 v140, v140
	v_cvt_f32_f16_e32 v141, v141
	s_nop 1
	v_mfma_f32_16x16x16_f16 v[138:141], v[134:135], v[112:113], v[138:141]
	s_nop 7
	v_cvt_f16_f32_e32 v135, v141
	ds_read_u16 v141, v167 offset:7808
	ds_read_u16 v184, v169 offset:7808
	;; [unrolled: 1-line block ×4, first 2 shown]
	v_cvt_f16_f32_e32 v30, v138
	v_cvt_f16_f32_e32 v31, v139
	;; [unrolled: 1-line block ×3, first 2 shown]
	v_cvt_f32_f16_e32 v138, v30
	v_cvt_f32_f16_e32 v139, v31
	s_waitcnt lgkmcnt(1)
	v_perm_b32 v31, v190, v184, s66
	s_waitcnt lgkmcnt(0)
	v_perm_b32 v30, v191, v141, s66
	v_cvt_f32_f16_e32 v140, v134
	v_cvt_f32_f16_e32 v141, v135
	v_cndmask_b32_e64 v184, v28, v29, s[14:15]
	v_add_f32_e32 v185, v185, v184
	v_mfma_f32_16x16x16_f16 v[28:31], v[30:31], v[110:111], v[138:141]
	ds_read_u16 v134, v167 offset:11648
	ds_read_u16 v135, v169 offset:11648
	s_nop 0
	ds_read_u16 v138, v170 offset:11648
	ds_read_u16 v139, v167 offset:11888
	v_pk_mul_f16 v141, v130, v32
	s_nop 1
	v_cvt_f16_f32_e32 v28, v28
	v_cvt_f16_f32_e32 v29, v29
	;; [unrolled: 1-line block ×4, first 2 shown]
	s_waitcnt lgkmcnt(1)
	v_perm_b32 v135, v138, v135, s66
	s_waitcnt lgkmcnt(0)
	v_perm_b32 v134, v139, v134, s66
	v_cvt_f32_f16_e32 v28, v28
	v_cvt_f32_f16_e32 v29, v29
	;; [unrolled: 1-line block ×5, first 2 shown]
	v_cvt_f32_f16_sdwa v139, v131 dst_sel:DWORD dst_unused:UNUSED_PAD src0_sel:WORD_1
	v_mfma_f32_16x16x16_f16 v[28:31], v[134:135], v[106:107], v[28:31]
	ds_read_u16 v130, v167 offset:160
	ds_read_u16 v134, v169 offset:160
	;; [unrolled: 1-line block ×4, first 2 shown]
	v_cvt_f32_f16_e32 v140, v141
	v_cvt_f32_f16_sdwa v141, v141 dst_sel:DWORD dst_unused:UNUSED_PAD src0_sel:WORD_1
	s_waitcnt lgkmcnt(1)
	v_perm_b32 v131, v135, v134, s66
	s_waitcnt lgkmcnt(0)
	v_perm_b32 v130, v190, v130, s66
	v_cndmask_b32_e64 v134, v184, v185, s[16:17]
	v_add_f32_e32 v33, v33, v134
	v_mfma_f32_16x16x16_f16 v[138:141], v[130:131], v[108:109], v[138:141]
	v_cndmask_b32_e64 v33, v134, v33, s[18:19]
	v_add_f32_e32 v34, v34, v33
	v_cndmask_b32_e64 v33, v33, v34, s[20:21]
	s_nop 4
	v_cvt_f16_f32_e32 v135, v141
	ds_read_u16 v141, v167 offset:4000
	ds_read_u16 v184, v169 offset:4000
	;; [unrolled: 1-line block ×4, first 2 shown]
	v_cvt_f16_f32_e32 v130, v138
	v_cvt_f16_f32_e32 v131, v139
	;; [unrolled: 1-line block ×3, first 2 shown]
	v_cvt_f32_f16_e32 v138, v130
	v_cvt_f32_f16_e32 v139, v131
	s_waitcnt lgkmcnt(1)
	v_perm_b32 v131, v185, v184, s66
	s_waitcnt lgkmcnt(0)
	v_perm_b32 v130, v190, v141, s66
	v_cvt_f32_f16_e32 v140, v134
	v_cvt_f32_f16_e32 v141, v135
	v_add_f32_e32 v134, v35, v33
	v_cndmask_b32_e64 v33, v33, v134, s[22:23]
	v_mfma_f32_16x16x16_f16 v[138:141], v[130:131], v[112:113], v[138:141]
	s_nop 7
	v_cvt_f16_f32_e32 v131, v141
	ds_read_u16 v135, v167 offset:7840
	ds_read_u16 v141, v169 offset:7840
	;; [unrolled: 1-line block ×4, first 2 shown]
	v_cvt_f16_f32_e32 v34, v138
	v_cvt_f16_f32_e32 v35, v139
	;; [unrolled: 1-line block ×3, first 2 shown]
	v_cvt_f32_f16_e32 v138, v34
	v_cvt_f32_f16_e32 v139, v35
	s_waitcnt lgkmcnt(1)
	v_perm_b32 v35, v184, v141, s66
	s_waitcnt lgkmcnt(0)
	v_perm_b32 v34, v185, v135, s66
	v_cvt_f32_f16_e32 v140, v130
	v_cvt_f32_f16_e32 v141, v131
	v_add_f32_e32 v130, v182, v33
	v_cndmask_b32_e64 v130, v33, v130, s[24:25]
	v_mfma_f32_16x16x16_f16 v[138:141], v[34:35], v[110:111], v[138:141]
	s_nop 7
	v_cvt_f16_f32_e32 v131, v141
	ds_read_u16 v134, v167 offset:11680
	ds_read_u16 v135, v169 offset:11680
	;; [unrolled: 1-line block ×4, first 2 shown]
	v_cvt_f16_f32_e32 v34, v139
	v_cvt_f16_f32_e32 v35, v140
	;; [unrolled: 1-line block ×3, first 2 shown]
	v_cvt_f32_f16_e32 v139, v34
	v_cvt_f32_f16_e32 v140, v35
	s_waitcnt lgkmcnt(1)
	v_perm_b32 v35, v141, v135, s66
	s_waitcnt lgkmcnt(0)
	v_perm_b32 v34, v182, v134, s66
	v_cvt_f32_f16_e32 v138, v33
	v_cvt_f32_f16_e32 v141, v131
	v_pk_mul_f16 v134, v126, v32
	v_add_f32_e32 v131, v183, v130
	v_mfma_f32_16x16x16_f16 v[32:35], v[34:35], v[106:107], v[138:141]
	ds_read_u16 v126, v167 offset:192
	ds_read_u16 v135, v169 offset:192
	s_nop 0
	ds_read_u16 v141, v170 offset:192
	ds_read_u16 v182, v167 offset:432
	v_cvt_f32_f16_e32 v138, v127
	v_cvt_f32_f16_sdwa v139, v127 dst_sel:DWORD dst_unused:UNUSED_PAD src0_sel:WORD_1
	v_cvt_f32_f16_e32 v140, v134
	s_waitcnt lgkmcnt(1)
	v_perm_b32 v127, v141, v135, s66
	s_waitcnt lgkmcnt(0)
	v_perm_b32 v126, v182, v126, s66
	v_cvt_f32_f16_sdwa v141, v134 dst_sel:DWORD dst_unused:UNUSED_PAD src0_sel:WORD_1
	v_cndmask_b32_e64 v130, v130, v131, s[26:27]
	v_add_f32_e32 v131, v178, v130
	v_mfma_f32_16x16x16_f16 v[138:141], v[126:127], v[108:109], v[138:141]
	v_cndmask_b32_e64 v130, v130, v131, s[28:29]
	s_nop 6
	v_cvt_f16_f32_e32 v127, v141
	ds_read_u16 v131, v167 offset:4032
	ds_read_u16 v134, v169 offset:4032
	;; [unrolled: 1-line block ×4, first 2 shown]
	v_cvt_f16_f32_e32 v108, v138
	v_cvt_f16_f32_e32 v109, v139
	;; [unrolled: 1-line block ×3, first 2 shown]
	v_cvt_f32_f16_e32 v138, v108
	v_cvt_f32_f16_e32 v139, v109
	s_waitcnt lgkmcnt(1)
	v_perm_b32 v109, v135, v134, s66
	s_waitcnt lgkmcnt(0)
	v_perm_b32 v108, v141, v131, s66
	v_cvt_f32_f16_e32 v140, v126
	v_cvt_f32_f16_e32 v141, v127
	v_add_f32_e32 v126, v179, v130
	v_cndmask_b32_e64 v126, v130, v126, s[0:1]
	v_mfma_f32_16x16x16_f16 v[138:141], v[108:109], v[112:113], v[138:141]
	ds_read_u16 v131, v167 offset:7872
	ds_read_u16 v113, v169 offset:7872
	ds_read_u16 v134, v170 offset:7872
	ds_read_u16 v135, v167 offset:8112
	v_add_f32_e32 v127, v181, v126
	s_nop 2
	v_cvt_f16_f32_e32 v112, v140
	v_cvt_f16_f32_e32 v108, v138
	v_cvt_f16_f32_e32 v109, v139
	v_cvt_f16_f32_e32 v130, v141
	v_cvt_f32_f16_e32 v140, v112
	s_waitcnt lgkmcnt(1)
	v_perm_b32 v113, v134, v113, s66
	s_waitcnt lgkmcnt(0)
	v_perm_b32 v112, v135, v131, s66
	v_cvt_f32_f16_e32 v138, v108
	v_cvt_f32_f16_e32 v139, v109
	;; [unrolled: 1-line block ×3, first 2 shown]
	v_cndmask_b32_e64 v108, v126, v127, s[30:31]
	v_add_f32_e32 v109, v180, v108
	v_mfma_f32_16x16x16_f16 v[138:141], v[112:113], v[110:111], v[138:141]
	ds_read_u16 v110, v167 offset:11712
	ds_read_u16 v126, v169 offset:11712
	;; [unrolled: 1-line block ×4, first 2 shown]
	v_cndmask_b32_e64 v108, v108, v109, s[34:35]
	v_add_f32_e32 v105, v105, v108
	s_nop 1
	v_cvt_f16_f32_e32 v111, v138
	v_cvt_f16_f32_e32 v112, v139
	;; [unrolled: 1-line block ×4, first 2 shown]
	v_cvt_f32_f16_e32 v138, v111
	s_waitcnt lgkmcnt(1)
	v_perm_b32 v111, v127, v126, s66
	s_waitcnt lgkmcnt(0)
	v_perm_b32 v110, v130, v110, s66
	v_cvt_f32_f16_e32 v139, v112
	v_cvt_f32_f16_e32 v140, v113
	;; [unrolled: 1-line block ×3, first 2 shown]
	v_cndmask_b32_e64 v105, v108, v105, s[36:37]
	v_fmac_f32_e32 v105, v176, v177
	v_mfma_f32_16x16x16_f16 v[110:113], v[110:111], v[106:107], v[138:141]
	v_cvt_pk_f16_f32 v131, v32, v33
	v_cvt_pk_f16_f32 v130, v34, v35
	;; [unrolled: 1-line block ×14, first 2 shown]
	s_barrier
	s_cbranch_vccz .LBB19_448
; %bb.446:                              ;   in Loop: Header=BB19_429 Depth=1
	v_mov_b32_e32 v176, v105
	v_mov_b32_e32 v32, v47
	s_branch .LBB19_429
.LBB19_447:
	v_mov_b32_e32 v47, 0xfeffffff
	v_mov_b32_e32 v105, 0
	;; [unrolled: 1-line block ×16, first 2 shown]
.LBB19_448:
	s_lshl_b32 s46, s72, 6
	v_readlane_b32 s0, v254, 4
	s_sub_i32 s50, s0, s46
	v_readlane_b32 s1, v254, 5
	s_cmp_lg_u64 s[44:45], 0
	s_cselect_b64 s[0:1], -1, 0
	s_ashr_i32 s47, s46, 31
	s_cmp_eq_u64 s[44:45], 0
	s_cbranch_scc1 .LBB19_482
; %bb.449:
	s_lshl_b64 s[2:3], s[46:47], 1
	s_add_u32 s2, s44, s2
	s_addc_u32 s3, s45, s3
	v_mov_b32_e32 v55, 0
	v_cmp_gt_i32_e32 vcc, s50, v123
	v_lshl_add_u64 v[12:13], s[2:3], 0, v[54:55]
	v_mov_b32_e32 v15, 0
	s_and_saveexec_b64 s[2:3], vcc
	s_cbranch_execz .LBB19_451
; %bb.450:
	v_add_u32_e32 v14, s33, v168
	v_mul_hi_u32 v15, s48, v14
	v_add_u32_e32 v15, v14, v15
	v_lshrrev_b32_e32 v15, s49, v15
	v_mul_lo_u32 v15, v15, s60
	v_readlane_b32 s4, v254, 54
	v_sub_u32_e32 v14, v14, v15
	v_readlane_b32 s5, v254, 55
	v_mad_i64_i32 v[14:15], s[4:5], v14, s4, 0
	v_lshl_add_u64 v[14:15], v[14:15], 1, v[12:13]
	global_load_ushort v15, v[14:15], off
.LBB19_451:
	s_or_b64 exec, exec, s[2:3]
	s_movk_i32 s2, 0x90
	v_mad_u32_u24 v14, v168, s2, 0
	v_lshl_add_u32 v16, v123, 1, v14
	s_waitcnt vmcnt(0)
	ds_write_b16 v16, v15 offset:15360
	s_and_saveexec_b64 s[2:3], vcc
	s_cbranch_execz .LBB19_453
; %bb.452:
	v_add3_u32 v15, v168, s33, 4
	v_mul_hi_u32 v16, s48, v15
	v_add_u32_e32 v16, v15, v16
	v_lshrrev_b32_e32 v16, s49, v16
	v_mul_lo_u32 v16, v16, s60
	v_readlane_b32 s4, v254, 54
	v_sub_u32_e32 v15, v15, v16
	v_readlane_b32 s5, v254, 55
	v_mad_i64_i32 v[16:17], s[4:5], v15, s4, 0
	v_lshl_add_u64 v[16:17], v[16:17], 1, v[12:13]
	global_load_ushort v55, v[16:17], off
.LBB19_453:
	s_or_b64 exec, exec, s[2:3]
	v_add_u32_e32 v15, 0x240, v14
	v_lshl_add_u32 v14, v123, 1, v15
	s_waitcnt vmcnt(0)
	ds_write_b16 v14, v55 offset:15360
	v_mov_b32_e32 v14, 0
	v_mov_b32_e32 v16, 0
	s_and_saveexec_b64 s[2:3], vcc
	s_cbranch_execz .LBB19_455
; %bb.454:
	v_add3_u32 v16, v168, s33, 8
	v_mul_hi_u32 v17, s48, v16
	v_add_u32_e32 v17, v16, v17
	v_lshrrev_b32_e32 v17, s49, v17
	v_mul_lo_u32 v17, v17, s60
	v_readlane_b32 s4, v254, 54
	v_sub_u32_e32 v16, v16, v17
	v_readlane_b32 s5, v254, 55
	v_mad_i64_i32 v[16:17], s[4:5], v16, s4, 0
	v_lshl_add_u64 v[16:17], v[16:17], 1, v[12:13]
	global_load_ushort v16, v[16:17], off
.LBB19_455:
	s_or_b64 exec, exec, s[2:3]
	v_add_u32_e32 v15, 0x240, v15
	v_lshl_add_u32 v17, v123, 1, v15
	s_waitcnt vmcnt(0)
	ds_write_b16 v17, v16 offset:15360
	s_and_saveexec_b64 s[2:3], vcc
	s_cbranch_execz .LBB19_457
; %bb.456:
	v_add3_u32 v14, v168, s33, 12
	v_mul_hi_u32 v16, s48, v14
	v_add_u32_e32 v16, v14, v16
	v_lshrrev_b32_e32 v16, s49, v16
	v_mul_lo_u32 v16, v16, s60
	v_readlane_b32 s4, v254, 54
	v_sub_u32_e32 v14, v14, v16
	v_readlane_b32 s5, v254, 55
	v_mad_i64_i32 v[16:17], s[4:5], v14, s4, 0
	v_lshl_add_u64 v[16:17], v[16:17], 1, v[12:13]
	global_load_ushort v14, v[16:17], off
.LBB19_457:
	s_or_b64 exec, exec, s[2:3]
	v_add_u32_e32 v15, 0x240, v15
	v_lshl_add_u32 v16, v123, 1, v15
	s_waitcnt vmcnt(0)
	ds_write_b16 v16, v14 offset:15360
	v_mov_b32_e32 v14, 0
	v_mov_b32_e32 v16, 0
	s_and_saveexec_b64 s[2:3], vcc
	s_cbranch_execz .LBB19_459
; %bb.458:
	v_add3_u32 v16, v168, s33, 16
	v_mul_hi_u32 v17, s48, v16
	v_add_u32_e32 v17, v16, v17
	v_lshrrev_b32_e32 v17, s49, v17
	v_mul_lo_u32 v17, v17, s60
	v_readlane_b32 s4, v254, 54
	v_sub_u32_e32 v16, v16, v17
	v_readlane_b32 s5, v254, 55
	v_mad_i64_i32 v[16:17], s[4:5], v16, s4, 0
	v_lshl_add_u64 v[16:17], v[16:17], 1, v[12:13]
	global_load_ushort v16, v[16:17], off
.LBB19_459:
	s_or_b64 exec, exec, s[2:3]
	v_add_u32_e32 v15, 0x240, v15
	;; [unrolled: 42-line block ×7, first 2 shown]
	v_lshl_add_u32 v15, v123, 1, v15
	s_waitcnt vmcnt(0)
	ds_write_b16 v15, v16 offset:15360
	s_and_saveexec_b64 s[2:3], vcc
	s_cbranch_execz .LBB19_481
; %bb.480:
	v_add3_u32 v14, v168, s33, 60
	v_mul_hi_u32 v16, s48, v14
	v_add_u32_e32 v16, v14, v16
	v_lshrrev_b32_e32 v16, s49, v16
	v_mul_lo_u32 v16, v16, s60
	v_readlane_b32 s4, v254, 54
	v_sub_u32_e32 v14, v14, v16
	v_readlane_b32 s5, v254, 55
	v_mad_i64_i32 v[16:17], s[4:5], v14, s4, 0
	v_lshl_add_u64 v[12:13], v[16:17], 1, v[12:13]
	global_load_ushort v14, v[12:13], off
.LBB19_481:
	s_or_b64 exec, exec, s[2:3]
	s_waitcnt vmcnt(0)
	ds_write_b16 v15, v14 offset:15936
.LBB19_482:
	s_mul_hi_i32 s3, s46, s42
	s_mul_i32 s2, s46, s42
	s_lshl_b64 s[2:3], s[2:3], 2
	s_add_u32 s2, s59, s2
	v_lshl_add_u32 v57, v168, 5, v137
	v_mov_b32_e32 v12, 0
	s_mov_b64 s[4:5], src_private_base
	s_addc_u32 s3, s61, s3
	v_cmp_gt_u32_e64 s[36:37], 64, v57
	v_mov_b32_e32 v13, v12
	v_mov_b32_e32 v14, v12
	v_mov_b32_e32 v15, v12
	scratch_store_dwordx4 off, v[12:15], off
	s_and_saveexec_b64 s[6:7], s[36:37]
	s_cbranch_execz .LBB19_484
; %bb.483:
	v_mul_lo_u32 v14, s42, v57
	v_ashrrev_i32_e32 v15, 31, v14
	v_and_b32_e32 v13, 4, v128
	v_lshl_add_u64 v[14:15], v[14:15], 2, s[2:3]
	v_lshlrev_b32_e32 v18, 2, v13
	v_mov_b32_e32 v19, v12
	v_lshl_add_u64 v[14:15], v[14:15], 0, v[18:19]
	s_mov_b64 s[8:9], 0xc0
	v_lshl_add_u64 v[14:15], v[14:15], 0, s[8:9]
	v_mov_b32_e32 v13, s5
	v_cmp_gt_i32_e32 vcc, s50, v57
	s_nop 1
	v_cndmask_b32_e32 v15, v13, v15, vcc
	v_mov_b32_e32 v13, 0
	v_cndmask_b32_e32 v14, v13, v14, vcc
	flat_load_dwordx4 v[14:17], v[14:15]
	v_mul_u32_u24_e32 v13, 0xf0, v57
	v_add3_u32 v13, 0, v13, v18
	s_waitcnt vmcnt(0) lgkmcnt(0)
	ds_write_b128 v13, v[14:17] offset:192
.LBB19_484:
	s_or_b64 exec, exec, s[6:7]
	scratch_load_dword v145, off, off offset:140 ; 4-byte Folded Reload
	v_and_b32_e32 v13, 12, v128
	v_lshlrev_b32_e32 v54, 2, v13
	v_mov_b32_e32 v55, v12
	s_mov_b64 s[6:7], 0x80
	v_mov_b32_e32 v20, s5
	v_mov_b32_e32 v21, 0
	v_and_b32_e32 v13, 28, v128
	v_lshl_add_u64 v[18:19], v[52:53], 2, s[2:3]
	v_mov_b32_e32 v35, v12
	v_lshlrev_b32_e32 v34, 2, v13
	v_cmp_gt_i32_e64 s[30:31], s50, v37
	v_ashrrev_i32_e32 v51, 31, v50
	v_mul_u32_u24_e32 v52, 0xf0, v37
	v_cmp_gt_i32_e64 s[28:29], s50, v132
	v_add3_u32 v32, 0, v136, v41
	v_add_u32_e32 v33, 0x800, v32
	s_and_b64 vcc, exec, s[0:1]
	v_readlane_b32 s48, v254, 14
	v_readlane_b32 s49, v254, 17
	;; [unrolled: 1-line block ×4, first 2 shown]
	s_waitcnt vmcnt(0)
	v_add_u32_e32 v56, v129, v145
	v_mul_lo_u32 v14, s42, v56
	v_ashrrev_i32_e32 v15, 31, v14
	v_lshl_add_u64 v[14:15], v[14:15], 2, s[2:3]
	v_lshl_add_u64 v[14:15], v[14:15], 0, v[54:55]
	;; [unrolled: 1-line block ×3, first 2 shown]
	v_cmp_gt_i32_e64 s[34:35], s50, v56
	v_mul_u32_u24_e32 v12, 0xf0, v56
	v_add3_u32 v53, 0, v12, v54
	v_cndmask_b32_e64 v15, v20, v15, s[34:35]
	v_cndmask_b32_e64 v14, v21, v14, s[34:35]
	flat_load_dwordx4 v[14:17], v[14:15]
	v_lshl_add_u64 v[12:13], v[18:19], 0, v[34:35]
	v_cndmask_b32_e64 v13, v20, v13, s[30:31]
	v_cndmask_b32_e64 v12, v21, v12, s[30:31]
	s_waitcnt vmcnt(0) lgkmcnt(0)
	ds_write_b128 v53, v[14:17] offset:128
	flat_load_dwordx4 v[12:15], v[12:13]
	v_lshl_add_u64 v[16:17], v[50:51], 2, s[2:3]
	v_add3_u32 v50, 0, v52, v34
	v_lshl_add_u64 v[16:17], v[16:17], 0, v[34:35]
	v_cndmask_b32_e64 v17, v20, v17, s[28:29]
	v_cndmask_b32_e64 v16, v21, v16, s[28:29]
	v_add_u32_e32 v35, 0x1800, v32
	v_add_u32_e32 v51, 0x2800, v32
	s_waitcnt vmcnt(0) lgkmcnt(0)
	ds_write_b128 v50, v[12:15]
	flat_load_dwordx4 v[12:15], v[16:17]
	s_waitcnt vmcnt(0) lgkmcnt(0)
	ds_write_b128 v50, v[12:15] offset:7680
	s_waitcnt lgkmcnt(0)
	s_barrier
	ds_read2_b64 v[12:15], v32 offset1:4
	ds_read2_b64 v[20:23], v33 offset0:224 offset1:228
	ds_read2_b64 v[28:31], v35 offset0:192 offset1:196
	;; [unrolled: 1-line block ×3, first 2 shown]
	s_waitcnt lgkmcnt(3)
	v_mfma_f32_16x16x16_f16 v[16:19], v[12:13], v[8:9], 0
	s_waitcnt lgkmcnt(2)
	v_mfma_f32_16x16x16_f16 v[24:27], v[20:21], v[8:9], 0
	;; [unrolled: 2-line block ×4, first 2 shown]
	v_mfma_f32_16x16x16_f16 v[12:15], v[14:15], v[10:11], v[16:19]
	v_mfma_f32_16x16x16_f16 v[16:19], v[22:23], v[10:11], v[24:27]
	;; [unrolled: 1-line block ×3, first 2 shown]
	s_nop 1
	ds_read2_b64 v[24:27], v32 offset0:8 offset1:12
	ds_read2_b64 v[28:31], v33 offset0:232 offset1:236
	v_mfma_f32_16x16x16_f16 v[8:11], v[64:65], v[10:11], v[66:69]
	ds_read2_b64 v[58:61], v35 offset0:200 offset1:204
	ds_read2_b64 v[62:65], v51 offset0:168 offset1:172
	s_waitcnt lgkmcnt(3)
	v_mfma_f32_16x16x16_f16 v[12:15], v[24:25], v[4:5], v[12:15]
	v_mbcnt_lo_u32_b32 v66, -1, 0
	s_waitcnt lgkmcnt(2)
	v_mfma_f32_16x16x16_f16 v[16:19], v[28:29], v[4:5], v[16:19]
	s_waitcnt lgkmcnt(1)
	v_mfma_f32_16x16x16_f16 v[20:23], v[58:59], v[4:5], v[20:23]
	;; [unrolled: 2-line block ×3, first 2 shown]
	v_mfma_f32_16x16x16_f16 v[12:15], v[26:27], v[6:7], v[12:15]
	ds_read2_b64 v[24:27], v33 offset0:240 offset1:244
	v_mfma_f32_16x16x16_f16 v[16:19], v[30:31], v[6:7], v[16:19]
	ds_read2_b64 v[28:31], v35 offset0:208 offset1:212
	;; [unrolled: 2-line block ×3, first 2 shown]
	v_mfma_f32_16x16x16_f16 v[4:7], v[64:65], v[6:7], v[8:11]
	s_nop 2
	ds_read2_b64 v[8:11], v32 offset0:16 offset1:20
	s_waitcnt lgkmcnt(0)
	v_mfma_f32_16x16x16_f16 v[12:15], v[8:9], v[0:1], v[12:15]
	v_mfma_f32_16x16x16_f16 v[16:19], v[24:25], v[0:1], v[16:19]
	;; [unrolled: 1-line block ×4, first 2 shown]
	ds_read_b64 v[0:1], v32 offset:192
	v_mfma_f32_16x16x16_f16 v[8:11], v[10:11], v[2:3], v[12:15]
	v_mfma_f32_16x16x16_f16 v[12:15], v[26:27], v[2:3], v[16:19]
	v_mfma_f32_16x16x16_f16 v[26:29], v[30:31], v[2:3], v[20:23]
	v_mfma_f32_16x16x16_f16 v[2:5], v[60:61], v[2:3], v[4:7]
	s_nop 2
	ds_read_b64 v[6:7], v32 offset:4032
	ds_read_b64 v[16:17], v32 offset:7872
	ds_read_b64 v[30:31], v32 offset:11712
	s_waitcnt lgkmcnt(0)
	s_barrier
	v_mfma_f32_16x16x16_f16 v[18:21], v[0:1], v[48:49], v[8:11]
	v_and_b32_e32 v0, 0xfc, v129
	v_add_u32_e32 v1, 16, v0
	v_add_u32_e32 v35, 18, v0
	v_mfma_f32_16x16x16_f16 v[22:25], v[6:7], v[48:49], v[12:15]
	v_add_u32_e32 v51, 32, v0
	v_add_u32_e32 v55, 34, v0
	;; [unrolled: 1-line block ×3, first 2 shown]
	v_mfma_f32_16x16x16_f16 v[26:29], v[16:17], v[48:49], v[26:29]
	v_add_u32_e32 v60, 50, v0
	v_mfma_f32_16x16x16_f16 v[30:33], v[30:31], v[48:49], v[2:5]
	s_cbranch_vccz .LBB19_493
; %bb.485:
	s_nop 1
	v_or_b32_e32 v2, v36, v145
	s_movk_i32 s0, 0x90
	v_mad_u32_u24 v61, v2, s0, 0
	v_add_u32_e32 v3, v61, v133
	ds_read_b32 v7, v3 offset:15360
	v_add_u32_e32 v49, 16, v0
	v_add_u32_e32 v48, 32, v0
	v_lshlrev_b32_e32 v3, 1, v49
	s_movk_i32 s0, 0x3c00
	v_lshlrev_b32_e32 v4, 1, v48
	v_lshl_add_u32 v2, v0, 1, v61
	v_add3_u32 v3, v61, v3, s0
	v_add3_u32 v4, v61, v4, s0
	ds_read_b32 v9, v2 offset:15360
	ds_read2_b32 v[2:3], v3 offset1:1
	ds_read2_b32 v[4:5], v4 offset1:1
	s_waitcnt lgkmcnt(3)
	v_cvt_f32_f16_e32 v6, v7
	v_cvt_f32_f16_sdwa v7, v7 dst_sel:DWORD dst_unused:UNUSED_PAD src0_sel:WORD_1
	v_add_u32_e32 v59, 48, v0
	s_waitcnt lgkmcnt(1)
	v_cvt_f32_f16_e32 v14, v3
	v_cvt_f32_f16_sdwa v15, v3 dst_sel:DWORD dst_unused:UNUSED_PAD src0_sel:WORD_1
	v_pk_fma_f32 v[12:13], v[46:47], v[6:7], v[20:21] op_sel_hi:[0,1,1]
	v_cvt_f32_f16_e32 v6, v2
	v_cvt_f32_f16_sdwa v7, v2 dst_sel:DWORD dst_unused:UNUSED_PAD src0_sel:WORD_1
	s_waitcnt lgkmcnt(0)
	v_cvt_f32_f16_e32 v2, v5
	v_cvt_f32_f16_sdwa v3, v5 dst_sel:DWORD dst_unused:UNUSED_PAD src0_sel:WORD_1
	v_lshlrev_b32_e32 v5, 1, v59
	v_add3_u32 v5, v61, v5, s0
	v_pk_fma_f32 v[16:17], v[46:47], v[14:15], v[24:25] op_sel_hi:[0,1,1]
	v_pk_fma_f32 v[14:15], v[46:47], v[6:7], v[22:23] op_sel_hi:[0,1,1]
	ds_read2_b32 v[6:7], v5 offset1:1
	v_cvt_f32_f16_e32 v8, v9
	v_cvt_f32_f16_sdwa v9, v9 dst_sel:DWORD dst_unused:UNUSED_PAD src0_sel:WORD_1
	v_cvt_f32_f16_e32 v64, v4
	v_cvt_f32_f16_sdwa v65, v4 dst_sel:DWORD dst_unused:UNUSED_PAD src0_sel:WORD_1
	s_waitcnt lgkmcnt(0)
	v_cvt_f32_f16_e32 v4, v7
	v_pk_fma_f32 v[10:11], v[46:47], v[8:9], v[18:19] op_sel_hi:[0,1,1]
	v_pk_fma_f32 v[8:9], v[46:47], v[2:3], v[28:29] op_sel_hi:[0,1,1]
	v_cvt_f32_f16_e32 v2, v6
	v_cvt_f32_f16_sdwa v5, v7 dst_sel:DWORD dst_unused:UNUSED_PAD src0_sel:WORD_1
	v_cvt_f32_f16_sdwa v3, v6 dst_sel:DWORD dst_unused:UNUSED_PAD src0_sel:WORD_1
	v_add_u32_e32 v62, 18, v0
	v_add_u32_e32 v63, 34, v0
	v_pk_fma_f32 v[6:7], v[46:47], v[64:65], v[26:27] op_sel_hi:[0,1,1]
	v_add_u32_e32 v61, 50, v0
	v_pk_fma_f32 v[4:5], v[46:47], v[4:5], v[32:33] op_sel_hi:[0,1,1]
	v_pk_fma_f32 v[2:3], v[46:47], v[2:3], v[30:31] op_sel_hi:[0,1,1]
	s_cbranch_execnz .LBB19_487
.LBB19_486:
	s_nop 5
	v_mov_b64_e32 v[2:3], v[30:31]
	v_mov_b64_e32 v[6:7], v[26:27]
	;; [unrolled: 1-line block ×4, first 2 shown]
	v_mov_b32_e32 v61, v60
	v_mov_b32_e32 v59, v58
	;; [unrolled: 1-line block ×6, first 2 shown]
	v_mov_b64_e32 v[4:5], v[32:33]
	v_mov_b64_e32 v[8:9], v[28:29]
	;; [unrolled: 1-line block ×4, first 2 shown]
.LBB19_487:
	v_add_f32_e32 v1, 0x40051340, v10
	v_max_f32_e32 v18, v47, v47
	v_max_f32_e32 v1, v18, v1
	v_cmp_gt_u32_e64 s[38:39], s50, v0
	v_or_b32_e32 v18, 1, v0
	v_add_f32_e32 v19, 0x40051340, v11
	v_cndmask_b32_e64 v1, v47, v1, s[38:39]
	v_max_f32_e32 v20, v1, v1
	v_max_f32_e32 v19, v20, v19
	v_cmp_gt_u32_e64 s[24:25], s50, v18
	v_or_b32_e32 v18, 2, v0
	v_cmp_gt_u32_e64 s[26:27], s50, v18
	v_cndmask_b32_e64 v1, v1, v19, s[24:25]
	v_add_f32_e32 v19, 0x40051340, v12
	v_max_f32_e32 v20, v1, v1
	v_max_f32_e32 v19, v20, v19
	v_cndmask_b32_e64 v1, v1, v19, s[26:27]
	v_or_b32_e32 v18, 3, v129
	v_add_f32_e32 v19, 0x40051340, v13
	v_max_f32_e32 v20, v1, v1
	v_max_f32_e32 v19, v20, v19
	v_cmp_gt_u32_e64 s[22:23], s50, v18
	v_add_f32_e32 v18, 0x40051340, v14
	v_cmp_gt_u32_e64 s[18:19], s50, v49
	v_cndmask_b32_e64 v1, v1, v19, s[22:23]
	v_max_f32_e32 v19, v1, v1
	v_max_f32_e32 v18, v19, v18
	v_cndmask_b32_e64 v1, v1, v18, s[18:19]
	v_add_u32_e32 v18, 17, v0
	v_add_f32_e32 v19, 0x40051340, v15
	v_max_f32_e32 v20, v1, v1
	v_max_f32_e32 v19, v20, v19
	v_cmp_gt_u32_e64 s[20:21], s50, v18
	v_add_f32_e32 v18, 0x40051340, v16
	v_cmp_gt_u32_e64 s[14:15], s50, v62
	v_cndmask_b32_e64 v1, v1, v19, s[20:21]
	v_max_f32_e32 v19, v1, v1
	v_max_f32_e32 v18, v19, v18
	v_cndmask_b32_e64 v1, v1, v18, s[14:15]
	v_add_u32_e32 v18, 19, v0
	;; [unrolled: 11-line block ×5, first 2 shown]
	v_add_f32_e32 v19, 0x40051340, v3
	v_max_f32_e32 v20, v1, v1
	v_max_f32_e32 v19, v20, v19
	v_cmp_gt_u32_e64 s[40:41], s50, v18
	v_add_f32_e32 v18, 0x40051340, v4
	v_cmp_gt_u32_e32 vcc, s50, v61
	v_cndmask_b32_e64 v1, v1, v19, s[40:41]
	v_max_f32_e32 v19, v1, v1
	v_max_f32_e32 v18, v19, v18
	v_cndmask_b32_e32 v1, v1, v18, vcc
	v_add_u32_e32 v0, 51, v0
	v_add_f32_e32 v18, 0x40051340, v5
	v_max_f32_e32 v19, v1, v1
	v_max_f32_e32 v18, v19, v18
	v_cmp_gt_u32_e64 s[0:1], s50, v0
	s_mov_b64 s[44:45], src_private_base
	v_add_u32_e32 v27, 0x80, v53
	v_cndmask_b32_e64 v0, v1, v18, s[0:1]
	v_mbcnt_hi_u32_b32 v1, -1, v66
	v_and_b32_e32 v18, 64, v1
	v_add_u32_e32 v18, 64, v18
	v_xor_b32_e32 v19, 32, v1
	v_cmp_lt_i32_e64 s[2:3], v19, v18
	v_add_u32_e32 v26, 0x1e00, v50
	s_mov_b32 s33, 0
	v_cndmask_b32_e64 v19, v1, v19, s[2:3]
	v_lshlrev_b32_e32 v31, 2, v19
	ds_bpermute_b32 v19, v31, v0
	v_max_f32_e32 v0, v0, v0
	s_waitcnt lgkmcnt(0)
	v_max_f32_e32 v19, v19, v19
	v_max_f32_e32 v0, v0, v19
	v_xor_b32_e32 v19, 16, v1
	v_cmp_lt_i32_e64 s[2:3], v19, v18
	v_mov_b32_e32 v18, 0
	v_mov_b32_e32 v20, v18
	v_cndmask_b32_e64 v1, v1, v19, s[2:3]
	v_lshlrev_b32_e32 v46, 2, v1
	ds_bpermute_b32 v1, v46, v0
	s_mul_hi_i32 s3, s46, s52
	s_mul_i32 s2, s46, s52
	s_lshl_b64 s[2:3], s[2:3], 2
	s_add_u32 s42, s43, s2
	s_addc_u32 s43, s58, s3
	v_mov_b32_e32 v19, v18
	v_mov_b32_e32 v21, v18
	scratch_store_dwordx4 off, v[18:21], off
	s_and_saveexec_b64 s[46:47], s[36:37]
	s_cbranch_execz .LBB19_489
; %bb.488:
	v_mul_lo_u32 v20, s52, v57
	v_and_b32_e32 v19, 4, v128
	v_ashrrev_i32_e32 v21, 31, v20
	v_lshlrev_b32_e32 v24, 2, v19
	v_lshl_add_u64 v[20:21], v[20:21], 2, s[42:43]
	v_mov_b32_e32 v25, v18
	v_lshl_add_u64 v[20:21], v[20:21], 0, v[24:25]
	s_mov_b64 s[2:3], 0xc0
	v_lshl_add_u64 v[20:21], v[20:21], 0, s[2:3]
	v_mov_b32_e32 v19, s45
	v_cmp_gt_i32_e64 s[2:3], s50, v57
	s_nop 1
	v_cndmask_b32_e64 v21, v19, v21, s[2:3]
	v_mov_b32_e32 v19, 0
	v_cndmask_b32_e64 v20, v19, v20, s[2:3]
	flat_load_dwordx4 v[20:23], v[20:21]
	v_mul_u32_u24_e32 v19, 0xf0, v57
	v_add3_u32 v19, 0, v19, v24
	s_waitcnt vmcnt(0) lgkmcnt(0)
	ds_write_b128 v19, v[20:23] offset:192
.LBB19_489:
	s_or_b64 exec, exec, s[46:47]
	s_waitcnt lgkmcnt(0)
	v_max_f32_e32 v1, v1, v1
	v_max_f32_e32 v0, v0, v0
	;; [unrolled: 1-line block ×3, first 2 shown]
	v_sub_f32_e32 v0, v10, v30
	s_mov_b32 s44, 0x3fb8aa3b
	v_mul_f32_e32 v1, 0x3fb8aa3b, v0
	v_fma_f32 v10, v0, s44, -v1
	v_rndne_f32_e32 v19, v1
	v_fmac_f32_e32 v10, 0x32a5705f, v0
	v_sub_f32_e32 v1, v1, v19
	v_add_f32_e32 v1, v1, v10
	v_exp_f32_e32 v1, v1
	v_cvt_i32_f32_e32 v10, v19
	s_mov_b32 s36, 0xc2ce8ed0
	v_cmp_ngt_f32_e64 s[2:3], s36, v0
	s_mov_b32 s37, 0x42b17218
	v_ldexp_f32 v1, v1, v10
	v_sub_f32_e32 v10, v11, v30
	v_mul_f32_e32 v11, 0x3fb8aa3b, v10
	v_fma_f32 v20, v10, s44, -v11
	v_rndne_f32_e32 v21, v11
	v_fmac_f32_e32 v20, 0x32a5705f, v10
	v_sub_f32_e32 v11, v11, v21
	v_add_f32_e32 v11, v11, v20
	v_exp_f32_e32 v11, v11
	v_cvt_i32_f32_e32 v20, v21
	v_cndmask_b32_e64 v1, 0, v1, s[2:3]
	v_mov_b32_e32 v19, 0x7f800000
	v_cmp_nlt_f32_e64 s[2:3], s37, v0
	v_sub_f32_e32 v12, v12, v30
	v_mov_b32_e32 v55, v18
	v_cndmask_b32_e64 v0, v19, v1, s[2:3]
	v_ldexp_f32 v1, v11, v20
	v_mul_f32_e32 v11, 0x3fb8aa3b, v12
	v_fma_f32 v20, v12, s44, -v11
	v_rndne_f32_e32 v21, v11
	v_fmac_f32_e32 v20, 0x32a5705f, v12
	v_sub_f32_e32 v11, v11, v21
	v_add_f32_e32 v11, v11, v20
	v_exp_f32_e32 v11, v11
	v_cvt_i32_f32_e32 v21, v21
	v_cmp_ngt_f32_e64 s[2:3], s36, v10
	v_mov_b32_e32 v28, s45
	v_mov_b32_e32 v29, 0
	v_cndmask_b32_e64 v1, 0, v1, s[2:3]
	v_cmp_nlt_f32_e64 s[2:3], s37, v10
	v_ldexp_f32 v10, v11, v21
	v_mov_b32_e32 v35, v18
	v_cndmask_b32_e64 v20, v19, v1, s[2:3]
	v_cmp_ngt_f32_e64 s[2:3], s36, v12
	v_sub_f32_e32 v6, v6, v30
	v_mul_f32_e32 v32, 0x3fb8aa3b, v6
	v_cndmask_b32_e64 v21, 0, v10, s[2:3]
	v_mul_lo_u32 v10, s52, v56
	v_ashrrev_i32_e32 v11, 31, v10
	v_lshl_add_u64 v[10:11], v[10:11], 2, s[42:43]
	v_lshl_add_u64 v[10:11], v[10:11], 0, v[54:55]
	s_mov_b64 s[2:3], 0x80
	v_lshl_add_u64 v[10:11], v[10:11], 0, s[2:3]
	v_cndmask_b32_e64 v11, v28, v11, s[34:35]
	v_cndmask_b32_e64 v10, v29, v10, s[34:35]
	flat_load_dwordx4 v[54:57], v[10:11]
	v_sub_f32_e32 v11, v13, v30
	v_mul_f32_e32 v10, 0x3fb8aa3b, v11
	v_fma_f32 v13, v11, s44, -v10
	v_rndne_f32_e32 v22, v10
	v_fmac_f32_e32 v13, 0x32a5705f, v11
	v_sub_f32_e32 v10, v10, v22
	v_add_f32_e32 v10, v10, v13
	v_exp_f32_e32 v13, v10
	v_cvt_i32_f32_e32 v22, v22
	v_cmp_nlt_f32_e64 s[2:3], s37, v12
	v_mov_b32_e32 v10, s33
	v_fma_f32 v33, v6, s44, -v32
	v_cndmask_b32_e64 v21, v19, v21, s[2:3]
	v_cndmask_b32_e64 v12, v10, v21, s[26:27]
	v_ldexp_f32 v10, v13, v22
	v_sub_f32_e32 v13, v14, v30
	v_mul_f32_e32 v14, 0x3fb8aa3b, v13
	v_fma_f32 v22, v13, s44, -v14
	v_rndne_f32_e32 v23, v14
	v_fmac_f32_e32 v22, 0x32a5705f, v13
	v_sub_f32_e32 v14, v14, v23
	v_add_f32_e32 v14, v14, v22
	v_exp_f32_e32 v14, v14
	v_cvt_i32_f32_e32 v23, v23
	v_cmp_ngt_f32_e64 s[2:3], s36, v11
	v_fmac_f32_e32 v33, 0x32a5705f, v6
	v_sub_f32_e32 v7, v7, v30
	v_cndmask_b32_e64 v10, 0, v10, s[2:3]
	v_cmp_nlt_f32_e64 s[2:3], s37, v11
	v_sub_f32_e32 v11, v15, v30
	v_sub_f32_e32 v8, v8, v30
	v_cndmask_b32_e64 v22, v19, v10, s[2:3]
	v_ldexp_f32 v10, v14, v23
	v_mul_f32_e32 v14, 0x3fb8aa3b, v11
	v_fma_f32 v15, v11, s44, -v14
	v_rndne_f32_e32 v23, v14
	v_fmac_f32_e32 v15, 0x32a5705f, v11
	v_sub_f32_e32 v14, v14, v23
	v_add_f32_e32 v14, v14, v15
	v_exp_f32_e32 v14, v14
	v_cvt_i32_f32_e32 v15, v23
	v_cmp_ngt_f32_e64 s[2:3], s36, v13
	v_sub_f32_e32 v9, v9, v30
	v_sub_f32_e32 v4, v4, v30
	v_cndmask_b32_e64 v10, 0, v10, s[2:3]
	v_cmp_nlt_f32_e64 s[2:3], s37, v13
	v_ldexp_f32 v13, v14, v15
	v_sub_f32_e32 v14, v16, v30
	v_mul_f32_e32 v15, 0x3fb8aa3b, v14
	v_fma_f32 v16, v14, s44, -v15
	v_rndne_f32_e32 v24, v15
	v_fmac_f32_e32 v16, 0x32a5705f, v14
	v_sub_f32_e32 v15, v15, v24
	v_add_f32_e32 v15, v15, v16
	v_exp_f32_e32 v15, v15
	v_cvt_i32_f32_e32 v16, v24
	v_cndmask_b32_e64 v23, v19, v10, s[2:3]
	v_cmp_ngt_f32_e64 s[2:3], s36, v11
	v_sub_f32_e32 v5, v5, v30
	v_or_b32_e32 v18, 2, v125
	v_cndmask_b32_e64 v13, 0, v13, s[2:3]
	v_cmp_nlt_f32_e64 s[2:3], s37, v11
	v_mul_u32_u24_e32 v18, 0xf0, v18
	v_mov_b32_e32 v1, s33
	v_cndmask_b32_e64 v24, v19, v13, s[2:3]
	v_ldexp_f32 v13, v15, v16
	v_sub_f32_e32 v15, v17, v30
	v_mul_f32_e32 v16, 0x3fb8aa3b, v15
	v_fma_f32 v17, v15, s44, -v16
	v_rndne_f32_e32 v25, v16
	v_fmac_f32_e32 v17, 0x32a5705f, v15
	v_sub_f32_e32 v16, v16, v25
	v_add_f32_e32 v16, v16, v17
	v_exp_f32_e32 v16, v16
	v_cvt_i32_f32_e32 v17, v25
	v_cmp_ngt_f32_e64 s[2:3], s36, v14
	v_cndmask_b32_e64 v0, 0, v0, s[38:39]
	v_cndmask_b32_e64 v1, v1, v20, s[24:25]
	;; [unrolled: 1-line block ×3, first 2 shown]
	v_cmp_nlt_f32_e64 s[2:3], s37, v14
	s_waitcnt vmcnt(0) lgkmcnt(0)
	ds_write_b128 v27, v[54:57]
	v_and_b32_e32 v27, 0xfc, v125
	v_cndmask_b32_e64 v25, v19, v13, s[2:3]
	v_ldexp_f32 v13, v16, v17
	v_lshl_add_u64 v[16:17], v[44:45], 2, s[42:43]
	v_lshl_add_u64 v[16:17], v[16:17], 0, v[34:35]
	v_cndmask_b32_e64 v17, v28, v17, s[30:31]
	v_cndmask_b32_e64 v16, v29, v16, s[30:31]
	flat_load_dwordx4 v[54:57], v[16:17]
	v_rndne_f32_e32 v16, v32
	v_sub_f32_e32 v17, v32, v16
	v_add_f32_e32 v17, v17, v33
	v_exp_f32_e32 v17, v17
	v_cvt_i32_f32_e32 v16, v16
	v_cmp_ngt_f32_e64 s[2:3], s36, v15
	v_mul_u32_u24_e32 v27, 0xf0, v27
	v_mov_b32_e32 v10, s33
	v_cndmask_b32_e64 v13, 0, v13, s[2:3]
	v_cmp_nlt_f32_e64 s[2:3], s37, v15
	v_mul_f32_e32 v15, 0x3fb8aa3b, v7
	v_mov_b32_e32 v11, s33
	v_cndmask_b32_e64 v44, v19, v13, s[2:3]
	v_ldexp_f32 v13, v17, v16
	v_fma_f32 v16, v7, s44, -v15
	v_rndne_f32_e32 v17, v15
	v_fmac_f32_e32 v16, 0x32a5705f, v7
	v_sub_f32_e32 v15, v15, v17
	v_add_f32_e32 v15, v15, v16
	v_exp_f32_e32 v15, v15
	v_cvt_i32_f32_e32 v16, v17
	v_cmp_ngt_f32_e64 s[2:3], s36, v6
	v_mov_b32_e32 v14, s33
	v_cndmask_b32_e64 v10, v10, v23, s[18:19]
	v_cndmask_b32_e64 v13, 0, v13, s[2:3]
	v_cmp_nlt_f32_e64 s[2:3], s37, v6
	v_cndmask_b32_e64 v11, v11, v24, s[20:21]
	v_cndmask_b32_e64 v14, v14, v25, s[14:15]
	;; [unrolled: 1-line block ×3, first 2 shown]
	v_ldexp_f32 v13, v15, v16
	v_mul_f32_e32 v15, 0x3fb8aa3b, v8
	v_fma_f32 v16, v8, s44, -v15
	v_rndne_f32_e32 v17, v15
	v_fmac_f32_e32 v16, 0x32a5705f, v8
	v_sub_f32_e32 v15, v15, v17
	v_add_f32_e32 v15, v15, v16
	v_exp_f32_e32 v15, v15
	v_cvt_i32_f32_e32 v16, v17
	v_cmp_ngt_f32_e64 s[2:3], s36, v7
	v_mov_b32_e32 v6, s33
	v_cndmask_b32_e64 v6, v6, v45, s[12:13]
	v_cndmask_b32_e64 v13, 0, v13, s[2:3]
	v_cmp_nlt_f32_e64 s[2:3], s37, v7
	v_mov_b32_e32 v7, s33
	v_add_f32_e32 v20, v20, v0
	v_cndmask_b32_e64 v48, v19, v13, s[2:3]
	v_ldexp_f32 v13, v15, v16
	v_mul_f32_e32 v15, 0x3fb8aa3b, v9
	v_fma_f32 v16, v9, s44, -v15
	v_rndne_f32_e32 v17, v15
	v_fmac_f32_e32 v16, 0x32a5705f, v9
	v_sub_f32_e32 v15, v15, v17
	v_add_f32_e32 v15, v15, v16
	v_exp_f32_e32 v15, v15
	v_cvt_i32_f32_e32 v16, v17
	v_cmp_ngt_f32_e64 s[2:3], s36, v8
	v_cndmask_b32_e64 v7, v7, v48, s[8:9]
	s_waitcnt vmcnt(0) lgkmcnt(0)
	ds_write_b128 v50, v[54:57]
	v_cndmask_b32_e64 v13, 0, v13, s[2:3]
	v_cmp_nlt_f32_e64 s[2:3], s37, v8
	v_add3_u32 v55, 0, v18, v124
	v_add3_u32 v56, 0, v27, v124
	v_cndmask_b32_e64 v49, v19, v13, s[2:3]
	v_ldexp_f32 v13, v15, v16
	v_sub_f32_e32 v15, v2, v30
	v_mul_f32_e32 v2, 0x3fb8aa3b, v15
	v_fma_f32 v16, v15, s44, -v2
	v_rndne_f32_e32 v17, v2
	v_fmac_f32_e32 v16, 0x32a5705f, v15
	v_sub_f32_e32 v2, v2, v17
	v_add_f32_e32 v2, v2, v16
	v_exp_f32_e32 v2, v2
	v_cvt_i32_f32_e32 v16, v17
	v_cmp_ngt_f32_e64 s[2:3], s36, v9
	v_mov_b32_e32 v8, s33
	v_cndmask_b32_e64 v8, v8, v49, s[10:11]
	v_cndmask_b32_e64 v13, 0, v13, s[2:3]
	v_cmp_nlt_f32_e64 s[2:3], s37, v9
	v_ldexp_f32 v2, v2, v16
	s_nop 0
	v_cndmask_b32_e64 v51, v19, v13, s[2:3]
	v_cmp_ngt_f32_e64 s[2:3], s36, v15
	v_sub_f32_e32 v13, v3, v30
	v_mul_f32_e32 v16, 0x3fb8aa3b, v13
	v_cndmask_b32_e64 v9, 0, v2, s[2:3]
	v_lshl_add_u64 v[2:3], v[42:43], 2, s[42:43]
	v_lshl_add_u64 v[2:3], v[2:3], 0, v[34:35]
	v_cndmask_b32_e64 v3, v28, v3, s[28:29]
	v_cndmask_b32_e64 v2, v29, v2, s[28:29]
	flat_load_dwordx4 v[32:35], v[2:3]
	v_fma_f32 v17, v13, s44, -v16
	v_rndne_f32_e32 v2, v16
	v_fmac_f32_e32 v17, 0x32a5705f, v13
	v_sub_f32_e32 v3, v16, v2
	v_add_f32_e32 v3, v3, v17
	v_exp_f32_e32 v3, v3
	v_cvt_i32_f32_e32 v16, v2
	v_cmp_nlt_f32_e64 s[2:3], s37, v15
	v_mov_b32_e32 v2, s33
	v_ldexp_f32 v3, v3, v16
	v_cndmask_b32_e64 v42, v19, v9, s[2:3]
	v_mul_f32_e32 v9, 0x3fb8aa3b, v4
	v_fma_f32 v15, v4, s44, -v9
	v_rndne_f32_e32 v16, v9
	v_fmac_f32_e32 v15, 0x32a5705f, v4
	v_sub_f32_e32 v9, v9, v16
	v_add_f32_e32 v9, v9, v15
	v_exp_f32_e32 v9, v9
	v_cvt_i32_f32_e32 v15, v16
	v_cmp_ngt_f32_e64 s[2:3], s36, v13
	v_cndmask_b32_e64 v2, v2, v42, s[6:7]
	v_ldexp_f32 v9, v9, v15
	v_cndmask_b32_e64 v3, 0, v3, s[2:3]
	v_cmp_nlt_f32_e64 s[2:3], s37, v13
	v_sub_f32_e32 v15, v47, v30
	s_waitcnt vmcnt(0) lgkmcnt(0)
	ds_write_b128 v26, v[32:35]
	v_cndmask_b32_e64 v43, v19, v3, s[2:3]
	v_cmp_ngt_f32_e64 s[2:3], s36, v4
	s_waitcnt lgkmcnt(0)
	s_barrier
	v_cndmask_b32_e64 v9, 0, v9, s[2:3]
	v_cmp_nlt_f32_e64 s[2:3], s37, v4
	v_mul_f32_e32 v4, 0x3fb8aa3b, v5
	v_rndne_f32_e32 v13, v4
	v_cndmask_b32_e64 v50, v19, v9, s[2:3]
	v_fma_f32 v9, v5, s44, -v4
	v_fmac_f32_e32 v9, 0x32a5705f, v5
	v_sub_f32_e32 v4, v4, v13
	v_add_f32_e32 v4, v4, v9
	v_exp_f32_e32 v9, v4
	v_mul_f32_e32 v4, 0x3fb8aa3b, v15
	v_fma_f32 v16, v15, s44, -v4
	v_rndne_f32_e32 v17, v4
	v_fmac_f32_e32 v16, 0x32a5705f, v15
	v_sub_f32_e32 v4, v4, v17
	v_add_f32_e32 v4, v4, v16
	v_cvt_i32_f32_e32 v13, v13
	v_exp_f32_e32 v16, v4
	v_cvt_i32_f32_e32 v17, v17
	v_cmp_ngt_f32_e64 s[2:3], s36, v15
	v_ldexp_f32 v9, v9, v13
	v_ldexp_f32 v13, v16, v17
	v_cndmask_b32_e64 v13, 0, v13, s[2:3]
	v_cmp_nlt_f32_e64 s[2:3], s37, v15
	v_or_b32_e32 v16, 3, v125
	v_mul_u32_u24_e32 v16, 0xf0, v16
	v_cndmask_b32_e64 v13, v19, v13, s[2:3]
	s_mov_b32 s2, 0xc1a00000
	v_cmp_le_f32_e64 s[2:3], s2, v15
	v_add3_u32 v57, 0, v16, v124
	ds_read_u16 v26, v55
	ds_read_u16 v60, v55 offset:32
	ds_read_u16 v28, v55 offset:3840
	;; [unrolled: 1-line block ×7, first 2 shown]
	ds_read_u16 v27, v57
	ds_read_u16 v66, v57 offset:32
	ds_read_u16 v67, v57 offset:64
	;; [unrolled: 1-line block ×4, first 2 shown]
	v_cndmask_b32_e64 v47, 0, v13, s[2:3]
	v_cvt_f16_f32_e32 v13, v47
	v_cmp_ngt_f32_e64 s[2:3], s36, v5
	v_mov_b32_e32 v15, s33
	v_cndmask_b32_e64 v15, v15, v22, s[22:23]
	v_cndmask_b32_e64 v9, 0, v9, s[2:3]
	v_cmp_nlt_f32_e64 s[2:3], s37, v5
	v_mul_u32_u24_e32 v54, 0x10001, v13
	v_pk_mul_f16 v17, v109, v54
	v_cndmask_b32_e64 v53, v19, v9, s[2:3]
	s_mov_b32 s2, 0x5040100
	v_pk_mul_f16 v19, v108, v54
	s_waitcnt lgkmcnt(4)
	v_perm_b32 v33, v27, v26, s2
	ds_read_u16 v26, v56 offset:240
	ds_read_u16 v27, v56
	ds_read_u16 v70, v56 offset:32
	ds_read_u16 v71, v56 offset:64
	;; [unrolled: 1-line block ×6, first 2 shown]
	s_waitcnt lgkmcnt(6)
	v_perm_b32 v32, v26, v27, s2
	v_cvt_f32_f16_e32 v16, v17
	v_cvt_f32_f16_sdwa v17, v17 dst_sel:DWORD dst_unused:UNUSED_PAD src0_sel:WORD_1
	v_cvt_f32_f16_e32 v18, v19
	v_cvt_f32_f16_sdwa v19, v19 dst_sel:DWORD dst_unused:UNUSED_PAD src0_sel:WORD_1
	v_cvt_pk_f16_f32 v27, v12, v15
	v_cvt_pk_f16_f32 v26, v0, v1
	ds_read_u16 v29, v56 offset:4080
	v_mov_b32_e32 v13, s33
	v_mfma_f32_16x16x16_f16 v[16:19], v[32:33], v[26:27], v[16:19]
	v_mov_b32_e32 v9, s33
	v_pk_mul_f16 v59, v107, v54
	v_pk_mul_f16 v58, v106, v54
	v_mov_b32_e32 v3, s33
	v_mov_b32_e32 v4, s33
	s_nop 2
	v_cvt_f16_f32_e32 v1, v16
	v_cvt_f16_f32_e32 v12, v17
	;; [unrolled: 1-line block ×4, first 2 shown]
	v_cvt_f32_f16_e32 v16, v1
	ds_read_u16 v1, v57 offset:3840
	ds_read_u16 v76, v57 offset:3872
	;; [unrolled: 1-line block ×6, first 2 shown]
	s_waitcnt lgkmcnt(5)
	v_perm_b32 v33, v1, v28, s2
	ds_read_u16 v1, v56 offset:3840
	ds_read_u16 v81, v56 offset:272
	;; [unrolled: 1-line block ×11, first 2 shown]
	s_waitcnt lgkmcnt(10)
	v_perm_b32 v32, v29, v1, s2
	v_cvt_f32_f16_e32 v17, v12
	v_cvt_f32_f16_e32 v18, v15
	;; [unrolled: 1-line block ×3, first 2 shown]
	v_cndmask_b32_e64 v1, v13, v44, s[16:17]
	v_cvt_pk_f16_f32 v29, v14, v1
	v_cvt_pk_f16_f32 v28, v10, v11
	v_mov_b32_e32 v5, s33
	v_cndmask_b32_e64 v3, v3, v43, s[40:41]
	v_mfma_f32_16x16x16_f16 v[10:13], v[32:33], v[28:29], v[16:19]
	v_cvt_pk_f16_f32 v32, v6, v7
	v_cndmask_b32_e32 v4, v4, v50, vcc
	v_cvt_pk_f16_f32 v34, v2, v3
	v_cndmask_b32_e64 v0, v0, v20, s[24:25]
	s_nop 3
	v_cvt_f16_f32_e32 v1, v10
	v_cvt_f16_f32_e32 v11, v11
	;; [unrolled: 1-line block ×4, first 2 shown]
	v_cvt_f32_f16_e32 v10, v1
	ds_read_u16 v1, v55 offset:7680
	ds_read_u16 v16, v55 offset:7712
	;; [unrolled: 1-line block ×10, first 2 shown]
	s_waitcnt lgkmcnt(6)
	v_perm_b32 v15, v14, v1, s2
	ds_read_u16 v1, v56 offset:7680
	ds_read_u16 v19, v56 offset:7712
	ds_read_u16 v96, v56 offset:7744
	ds_read_u16 v98, v56 offset:7776
	ds_read_u16 v99, v56 offset:4272
	ds_read_u16 v14, v56 offset:7920
	ds_read_u16 v100, v56 offset:7952
	ds_read_u16 v101, v56 offset:7984
	ds_read_u16 v102, v56 offset:8016
	ds_read_u16 v103, v56 offset:8048
	ds_read_u16 v104, v56 offset:7872
	s_waitcnt lgkmcnt(5)
	v_perm_b32 v14, v14, v1, s2
	v_cvt_f32_f16_e32 v11, v11
	v_cvt_f32_f16_e32 v12, v12
	;; [unrolled: 1-line block ×3, first 2 shown]
	v_cndmask_b32_e64 v1, v9, v51, s[4:5]
	v_cvt_pk_f16_f32 v33, v8, v1
	s_nop 1
	v_mfma_f32_16x16x16_f16 v[6:9], v[14:15], v[32:33], v[10:13]
	s_nop 7
	v_cvt_f16_f32_e32 v1, v6
	v_cvt_f16_f32_e32 v7, v7
	;; [unrolled: 1-line block ×4, first 2 shown]
	v_cvt_f32_f16_e32 v6, v1
	ds_read_u16 v1, v55 offset:11520
	ds_read_u16 v12, v55 offset:11552
	;; [unrolled: 1-line block ×12, first 2 shown]
	s_waitcnt lgkmcnt(7)
	v_perm_b32 v11, v10, v1, s2
	ds_read_u16 v1, v56 offset:11520
	ds_read_u16 v14, v56 offset:11552
	;; [unrolled: 1-line block ×15, first 2 shown]
	s_waitcnt lgkmcnt(7)
	v_perm_b32 v10, v10, v1, s2
	v_cvt_f32_f16_e32 v7, v7
	v_cvt_f32_f16_e32 v8, v8
	;; [unrolled: 1-line block ×3, first 2 shown]
	v_cndmask_b32_e64 v1, v5, v53, s[0:1]
	v_cvt_pk_f16_f32 v35, v4, v1
	s_nop 1
	v_mfma_f32_16x16x16_f16 v[2:5], v[10:11], v[34:35], v[6:9]
	v_perm_b32 v11, v66, v60, s2
	v_perm_b32 v10, v81, v70, s2
	s_nop 0
	v_cvt_f32_f16_e32 v6, v59
	v_cvt_f32_f16_sdwa v7, v59 dst_sel:DWORD dst_unused:UNUSED_PAD src0_sel:WORD_1
	v_cvt_f32_f16_e32 v8, v58
	v_cvt_f32_f16_sdwa v9, v58 dst_sel:DWORD dst_unused:UNUSED_PAD src0_sel:WORD_1
	ds_read_u16 v1, v55 offset:3872
	ds_read_u16 v58, v55 offset:3904
	;; [unrolled: 1-line block ×5, first 2 shown]
	v_mfma_f32_16x16x16_f16 v[6:9], v[10:11], v[26:27], v[6:9]
	s_waitcnt lgkmcnt(4)
	v_perm_b32 v11, v76, v1, s2
	v_perm_b32 v10, v88, v82, s2
	s_nop 4
	v_cvt_f16_f32_e32 v6, v6
	v_cvt_f16_f32_e32 v7, v7
	;; [unrolled: 1-line block ×4, first 2 shown]
	v_cvt_f32_f16_e32 v6, v6
	v_cvt_f32_f16_e32 v7, v7
	;; [unrolled: 1-line block ×4, first 2 shown]
	s_nop 1
	v_mfma_f32_16x16x16_f16 v[6:9], v[10:11], v[28:29], v[6:9]
	v_perm_b32 v11, v17, v16, s2
	v_perm_b32 v10, v100, v19, s2
	v_pk_mul_f16 v16, v139, v54
	v_pk_mul_f16 v17, v138, v54
	s_nop 3
	v_cvt_f16_f32_e32 v1, v6
	v_cvt_f16_f32_e32 v7, v7
	;; [unrolled: 1-line block ×4, first 2 shown]
	v_cvt_f32_f16_e32 v6, v1
	v_cvt_f32_f16_e32 v7, v7
	;; [unrolled: 1-line block ×4, first 2 shown]
	v_perm_b32 v19, v68, v62, s2
	s_nop 0
	v_mfma_f32_16x16x16_f16 v[6:9], v[10:11], v[32:33], v[6:9]
	v_perm_b32 v11, v13, v12, s2
	v_perm_b32 v10, v15, v14, s2
	v_pk_mul_f16 v13, v140, v54
	v_perm_b32 v15, v67, v61, s2
	s_nop 3
	v_cvt_f16_f32_e32 v1, v6
	v_cvt_f16_f32_e32 v7, v7
	;; [unrolled: 1-line block ×4, first 2 shown]
	v_cvt_f32_f16_e32 v6, v1
	v_cvt_f32_f16_e32 v7, v7
	;; [unrolled: 1-line block ×4, first 2 shown]
	v_pk_mul_f16 v1, v141, v54
	v_perm_b32 v14, v83, v71, s2
	v_mfma_f32_16x16x16_f16 v[6:9], v[10:11], v[34:35], v[6:9]
	v_cvt_f32_f16_e32 v10, v1
	v_cvt_f32_f16_sdwa v11, v1 dst_sel:DWORD dst_unused:UNUSED_PAD src0_sel:WORD_1
	v_cvt_f32_f16_e32 v12, v13
	v_cvt_f32_f16_sdwa v13, v13 dst_sel:DWORD dst_unused:UNUSED_PAD src0_sel:WORD_1
	ds_read_u16 v1, v56 offset:3904
	ds_read_u16 v61, v56 offset:3936
	;; [unrolled: 1-line block ×4, first 2 shown]
	v_mfma_f32_16x16x16_f16 v[10:13], v[14:15], v[26:27], v[10:13]
	s_waitcnt lgkmcnt(7)
	v_perm_b32 v15, v77, v58, s2
	s_waitcnt lgkmcnt(3)
	v_perm_b32 v14, v89, v1, s2
	ds_read_u16 v1, v55 offset:7744
	ds_read_u16 v58, v55 offset:7776
	;; [unrolled: 1-line block ×4, first 2 shown]
	v_cvt_f16_f32_e32 v10, v10
	v_cvt_f16_f32_e32 v11, v11
	v_cvt_f16_f32_e32 v12, v12
	v_cvt_f16_f32_e32 v13, v13
	v_cvt_f32_f16_e32 v10, v10
	v_cvt_f32_f16_e32 v11, v11
	;; [unrolled: 1-line block ×4, first 2 shown]
	s_nop 1
	v_mfma_f32_16x16x16_f16 v[10:13], v[14:15], v[28:29], v[10:13]
	s_waitcnt lgkmcnt(3)
	v_perm_b32 v15, v18, v1, s2
	v_perm_b32 v14, v101, v96, s2
	;; [unrolled: 1-line block ×3, first 2 shown]
	s_nop 3
	v_cvt_f16_f32_e32 v10, v10
	v_cvt_f16_f32_e32 v11, v11
	;; [unrolled: 1-line block ×4, first 2 shown]
	v_cvt_f32_f16_e32 v10, v10
	v_cvt_f32_f16_e32 v11, v11
	v_cvt_f32_f16_e32 v12, v12
	v_cvt_f32_f16_e32 v13, v13
	s_nop 1
	v_mfma_f32_16x16x16_f16 v[10:13], v[14:15], v[32:33], v[10:13]
	v_perm_b32 v15, v108, v106, s2
	v_perm_b32 v14, v133, v124, s2
	s_nop 5
	v_cvt_f16_f32_e32 v1, v10
	v_cvt_f16_f32_e32 v11, v11
	;; [unrolled: 1-line block ×4, first 2 shown]
	v_cvt_f32_f16_e32 v10, v1
	v_cvt_f32_f16_e32 v11, v11
	;; [unrolled: 1-line block ×4, first 2 shown]
	ds_read_u16 v1, v57 offset:128
	ds_read_u16 v77, v57 offset:160
	v_mfma_f32_16x16x16_f16 v[10:13], v[14:15], v[34:35], v[10:13]
	v_cvt_f32_f16_e32 v14, v16
	v_cvt_f32_f16_sdwa v15, v16 dst_sel:DWORD dst_unused:UNUSED_PAD src0_sel:WORD_1
	v_cvt_f32_f16_e32 v16, v17
	v_cvt_f32_f16_sdwa v17, v17 dst_sel:DWORD dst_unused:UNUSED_PAD src0_sel:WORD_1
	ds_read_u16 v62, v56 offset:4176
	ds_read_u16 v68, v56 offset:4208
	;; [unrolled: 1-line block ×4, first 2 shown]
	v_mfma_f32_16x16x16_f16 v[14:17], v[18:19], v[26:27], v[14:17]
	v_perm_b32 v19, v78, v59, s2
	s_waitcnt lgkmcnt(3)
	v_perm_b32 v18, v62, v61, s2
	ds_read_u16 v61, v56 offset:7808
	ds_read_u16 v62, v56 offset:7840
	;; [unrolled: 1-line block ×3, first 2 shown]
	s_nop 1
	v_cvt_f16_f32_e32 v14, v14
	v_cvt_f16_f32_e32 v15, v15
	;; [unrolled: 1-line block ×4, first 2 shown]
	v_cvt_f32_f16_e32 v14, v14
	v_cvt_f32_f16_e32 v15, v15
	;; [unrolled: 1-line block ×4, first 2 shown]
	ds_read_u16 v56, v55 offset:11616
	ds_read_u16 v82, v55 offset:11648
	ds_read_u16 v55, v55 offset:11680
	v_mfma_f32_16x16x16_f16 v[14:17], v[18:19], v[28:29], v[14:17]
	v_perm_b32 v19, v92, v58, s2
	v_perm_b32 v18, v102, v98, s2
	v_pk_mul_f16 v57, v135, v54
	s_nop 4
	v_cvt_f16_f32_e32 v14, v14
	v_cvt_f16_f32_e32 v15, v15
	;; [unrolled: 1-line block ×4, first 2 shown]
	v_cvt_f32_f16_e32 v14, v14
	v_cvt_f32_f16_e32 v15, v15
	;; [unrolled: 1-line block ×4, first 2 shown]
	v_pk_mul_f16 v59, v134, v54
	s_waitcnt lgkmcnt(0)
	v_mfma_f32_16x16x16_f16 v[14:17], v[18:19], v[32:33], v[14:17]
	v_perm_b32 v19, v109, v56, s2
	v_perm_b32 v18, v136, v125, s2
	v_cvt_f32_f16_e32 v56, v57
	v_cvt_f32_f16_sdwa v57, v57 dst_sel:DWORD dst_unused:UNUSED_PAD src0_sel:WORD_1
	s_nop 3
	v_cvt_f16_f32_e32 v14, v14
	v_cvt_f16_f32_e32 v15, v15
	;; [unrolled: 1-line block ×4, first 2 shown]
	v_cvt_f32_f16_e32 v14, v14
	v_cvt_f32_f16_e32 v15, v15
	;; [unrolled: 1-line block ×5, first 2 shown]
	v_cvt_f32_f16_sdwa v59, v59 dst_sel:DWORD dst_unused:UNUSED_PAD src0_sel:WORD_1
	v_mfma_f32_16x16x16_f16 v[14:17], v[18:19], v[34:35], v[14:17]
	v_perm_b32 v19, v1, v63, s2
	v_perm_b32 v18, v85, v73, s2
	v_add_f32_e32 v1, v0, v21
	v_cndmask_b32_e64 v63, v0, v1, s[26:27]
	v_mfma_f32_16x16x16_f16 v[18:21], v[18:19], v[26:27], v[56:59]
	v_add_f32_e32 v22, v63, v22
	v_cndmask_b32_e64 v22, v63, v22, s[22:23]
	v_add_f32_e32 v23, v23, v22
	s_nop 4
	v_cvt_f16_f32_e32 v0, v18
	v_cvt_f16_f32_e32 v1, v19
	;; [unrolled: 1-line block ×4, first 2 shown]
	v_cvt_f32_f16_e32 v18, v0
	v_cvt_f32_f16_e32 v19, v1
	v_perm_b32 v1, v79, v60, s2
	v_perm_b32 v0, v68, v67, s2
	v_cvt_f32_f16_e32 v20, v20
	v_cvt_f32_f16_e32 v21, v21
	v_cndmask_b32_e64 v22, v22, v23, s[18:19]
	v_add_f32_e32 v23, v24, v22
	v_mfma_f32_16x16x16_f16 v[18:21], v[0:1], v[28:29], v[18:21]
	v_cndmask_b32_e64 v56, v22, v23, s[20:21]
	v_add_f32_e32 v57, v25, v56
	v_pk_mul_f16 v23, v131, v54
	v_pk_mul_f16 v25, v130, v54
	s_nop 3
	v_cvt_f16_f32_e32 v0, v18
	v_cvt_f16_f32_e32 v1, v19
	;; [unrolled: 1-line block ×4, first 2 shown]
	v_cvt_f32_f16_e32 v18, v0
	v_cvt_f32_f16_e32 v19, v1
	v_perm_b32 v1, v93, v71, s2
	v_perm_b32 v0, v103, v61, s2
	v_cvt_f32_f16_e32 v20, v20
	v_cvt_f32_f16_e32 v21, v21
	;; [unrolled: 1-line block ×3, first 2 shown]
	v_cvt_f32_f16_sdwa v23, v23 dst_sel:DWORD dst_unused:UNUSED_PAD src0_sel:WORD_1
	v_mfma_f32_16x16x16_f16 v[18:21], v[0:1], v[32:33], v[18:21]
	v_cvt_f32_f16_e32 v24, v25
	v_cvt_f32_f16_sdwa v25, v25 dst_sel:DWORD dst_unused:UNUSED_PAD src0_sel:WORD_1
	v_cndmask_b32_e64 v56, v56, v57, s[14:15]
	v_add_f32_e32 v44, v44, v56
	s_nop 3
	v_cvt_f16_f32_e32 v0, v18
	v_cvt_f16_f32_e32 v1, v19
	;; [unrolled: 1-line block ×4, first 2 shown]
	v_cvt_f32_f16_e32 v18, v0
	v_cvt_f32_f16_e32 v19, v1
	v_perm_b32 v1, v110, v82, s2
	v_perm_b32 v0, v137, v128, s2
	v_cvt_f32_f16_e32 v20, v20
	v_cvt_f32_f16_e32 v21, v21
	v_cndmask_b32_e64 v44, v56, v44, s[16:17]
	v_add_f32_e32 v45, v45, v44
	v_mfma_f32_16x16x16_f16 v[18:21], v[0:1], v[34:35], v[18:21]
	v_perm_b32 v1, v77, v64, s2
	v_perm_b32 v0, v86, v74, s2
	v_cndmask_b32_e64 v44, v44, v45, s[12:13]
	v_add_f32_e32 v45, v48, v44
	v_mfma_f32_16x16x16_f16 v[22:25], v[0:1], v[26:27], v[22:25]
	v_cndmask_b32_e64 v44, v44, v45, s[8:9]
	v_add_f32_e32 v45, v49, v44
	v_pk_mul_f16 v48, v127, v54
	s_nop 4
	v_cvt_f16_f32_e32 v0, v22
	v_cvt_f16_f32_e32 v1, v23
	;; [unrolled: 1-line block ×4, first 2 shown]
	v_cvt_f32_f16_e32 v22, v0
	v_cvt_f32_f16_e32 v23, v1
	v_perm_b32 v1, v81, v66, s2
	v_perm_b32 v0, v72, v70, s2
	v_cvt_f32_f16_e32 v24, v24
	v_cvt_f32_f16_e32 v25, v25
	v_pk_mul_f16 v49, v126, v54
	v_cvt_f32_f16_e32 v54, v48
	v_mfma_f32_16x16x16_f16 v[22:25], v[0:1], v[28:29], v[22:25]
	v_cvt_f32_f16_e32 v56, v49
	v_cvt_f32_f16_sdwa v57, v49 dst_sel:DWORD dst_unused:UNUSED_PAD src0_sel:WORD_1
	v_cndmask_b32_e64 v44, v44, v45, s[10:11]
	v_add_f32_e32 v45, v51, v44
	s_nop 3
	v_cvt_f16_f32_e32 v0, v22
	v_cvt_f16_f32_e32 v1, v23
	;; [unrolled: 1-line block ×4, first 2 shown]
	v_cvt_f32_f16_e32 v22, v0
	v_cvt_f32_f16_e32 v23, v1
	v_perm_b32 v1, v94, v76, s2
	v_perm_b32 v0, v78, v62, s2
	v_cvt_f32_f16_e32 v24, v24
	v_cvt_f32_f16_e32 v25, v25
	v_cndmask_b32_e64 v44, v44, v45, s[4:5]
	v_add_f32_e32 v42, v42, v44
	v_mfma_f32_16x16x16_f16 v[22:25], v[0:1], v[32:33], v[22:25]
	v_cndmask_b32_e64 v42, v44, v42, s[6:7]
	s_barrier
	s_nop 5
	v_cvt_f16_f32_e32 v0, v22
	v_cvt_f16_f32_e32 v1, v23
	;; [unrolled: 1-line block ×4, first 2 shown]
	v_cvt_f32_f16_e32 v22, v0
	v_cvt_f32_f16_e32 v23, v1
	v_perm_b32 v1, v111, v55, s2
	v_perm_b32 v0, v142, v129, s2
	v_cvt_f32_f16_e32 v24, v24
	v_cvt_f32_f16_e32 v25, v25
	v_cvt_f32_f16_sdwa v55, v48 dst_sel:DWORD dst_unused:UNUSED_PAD src0_sel:WORD_1
	s_barrier
	v_mfma_f32_16x16x16_f16 v[22:25], v[0:1], v[34:35], v[22:25]
	v_perm_b32 v1, v80, v65, s2
	v_perm_b32 v0, v87, v75, s2
	s_nop 1
	v_mfma_f32_16x16x16_f16 v[54:57], v[0:1], v[26:27], v[54:57]
	s_nop 7
	v_cvt_f16_f32_e32 v0, v54
	v_cvt_f16_f32_e32 v1, v55
	v_cvt_f16_f32_e32 v26, v56
	v_cvt_f16_f32_e32 v27, v57
	v_cvt_f32_f16_e32 v54, v0
	v_cvt_f32_f16_e32 v55, v1
	v_perm_b32 v1, v95, v91, s2
	v_perm_b32 v0, v99, v90, s2
	v_cvt_f32_f16_e32 v56, v26
	v_cvt_f32_f16_e32 v57, v27
	v_add_f32_e32 v26, v43, v42
	v_cndmask_b32_e64 v42, v42, v26, s[40:41]
	v_mfma_f32_16x16x16_f16 v[26:29], v[0:1], v[28:29], v[54:57]
	v_add_f32_e32 v43, v50, v42
	v_cndmask_b32_e32 v42, v42, v43, vcc
	v_add_f32_e32 v43, v53, v42
	v_cndmask_b32_e64 v42, v42, v43, s[0:1]
	s_nop 3
	v_cvt_f16_f32_e32 v0, v26
	v_cvt_f16_f32_e32 v1, v27
	;; [unrolled: 1-line block ×4, first 2 shown]
	v_cvt_f32_f16_e32 v26, v0
	v_cvt_f32_f16_e32 v27, v1
	v_perm_b32 v1, v113, v107, s2
	v_perm_b32 v0, v132, v104, s2
	v_cvt_f32_f16_e32 v28, v28
	v_cvt_f32_f16_e32 v29, v29
	v_fmac_f32_e32 v42, v105, v47
	ds_bpermute_b32 v31, v31, v42
	v_mfma_f32_16x16x16_f16 v[26:29], v[0:1], v[32:33], v[26:29]
	v_cmp_gt_u32_e32 vcc, 16, v123
	s_nop 6
	v_cvt_f16_f32_e32 v0, v26
	v_cvt_f16_f32_e32 v1, v27
	;; [unrolled: 1-line block ×4, first 2 shown]
	v_cvt_f32_f16_e32 v26, v0
	v_cvt_f32_f16_e32 v27, v1
	v_perm_b32 v1, v112, v69, s2
	v_perm_b32 v0, v143, v144, s2
	v_cvt_f32_f16_e32 v28, v28
	v_cvt_f32_f16_e32 v29, v29
	s_movk_i32 s2, 0xf0
	s_nop 0
	v_mfma_f32_16x16x16_f16 v[26:29], v[0:1], v[34:35], v[26:29]
	s_waitcnt lgkmcnt(0)
	v_add_f32_e32 v0, v42, v31
	ds_bpermute_b32 v1, v46, v0
	s_and_saveexec_b64 s[0:1], vcc
	v_readlane_b32 s8, v254, 32
	v_readlane_b32 s14, v254, 38
	;; [unrolled: 1-line block ×5, first 2 shown]
	s_mov_b64 s[14:15], s[22:23]
	v_readlane_b32 s9, v254, 33
	v_readlane_b32 s10, v254, 34
	;; [unrolled: 1-line block ×11, first 2 shown]
	s_cbranch_execz .LBB19_491
; %bb.490:
	s_add_i32 s3, s49, s48
	s_lshl_b32 s4, s3, 6
	s_mov_b32 s5, 0
	s_lshl_b64 s[4:5], s[4:5], 3
	s_add_u32 s4, s14, s4
	v_or_b32_e32 v31, v145, v123
	s_addc_u32 s5, s15, s5
	v_lshlrev_b32_e32 v32, 3, v31
	s_waitcnt lgkmcnt(0)
	v_add_f32_e32 v31, v0, v1
	global_store_dwordx2 v32, v[30:31], s[4:5]
.LBB19_491:
	s_or_b64 exec, exec, s[0:1]
	v_readlane_b32 s4, v254, 8
	v_readlane_b32 s5, v254, 9
	s_load_dword s0, s[4:5], 0x0
	s_load_dword s3, s[4:5], 0x10
	s_waitcnt lgkmcnt(0)
	v_cvt_pk_f16_f32 v1, v2, v3
	v_cvt_pk_f16_f32 v3, v6, v7
	;; [unrolled: 1-line block ×3, first 2 shown]
	v_or_b32_e32 v14, v145, v36
	s_lshr_b32 s3, s3, 16
	s_cmp_lg_u32 s3, 0
	s_cselect_b64 s[4:5], -1, 0
	s_cmp_lg_u64 s[4:5], 0
	s_addc_u32 s0, s0, 0
	v_mul_u32_u24_e32 v14, 0xf0, v14
	s_mov_b32 s1, 0
	s_lshl_b32 s0, s0, 7
	v_cvt_pk_f16_f32 v0, v4, v5
	v_cvt_pk_f16_f32 v2, v8, v9
	v_add3_u32 v14, 0, v14, v41
	s_lshl_b64 s[4:5], s[0:1], 3
	v_cvt_pk_f16_f32 v4, v12, v13
	v_cvt_pk_f16_f32 v5, v10, v11
	;; [unrolled: 1-line block ×9, first 2 shown]
	s_add_u32 s3, s14, s4
	s_mul_i32 s0, s48, 0xe00
	ds_write2_b32 v14, v1, v0 offset1:1
	ds_write2_b32 v14, v3, v2 offset0:8 offset1:9
	ds_write2_b32 v14, v5, v4 offset0:16 offset1:17
	;; [unrolled: 1-line block ×6, first 2 shown]
	v_mad_u32_u24 v2, v39, s2, v97
	s_addc_u32 s4, s15, s5
	s_lshl_b64 s[0:1], s[0:1], 3
	v_add_u32_e32 v6, 0x80, v2
	s_add_u32 s0, s3, s0
	s_waitcnt lgkmcnt(0)
	s_barrier
	ds_read2st64_b32 v[0:1], v6 offset0:7 offset1:22
	v_and_b32_e32 v3, 15, v39
	s_movk_i32 s3, 0x1ff0
	v_and_or_b32 v4, v114, s3, v3
	v_and_or_b32 v5, v115, s3, v3
	;; [unrolled: 1-line block ×3, first 2 shown]
	v_and_b32_e32 v8, 15, v116
	s_movk_i32 s3, 0x3ff0
	v_and_or_b32 v9, v119, s3, v8
	v_and_or_b32 v10, v120, s3, v8
	;; [unrolled: 1-line block ×3, first 2 shown]
	v_mad_u32_u24 v3, v3, s2, v97
	v_mad_u32_u24 v7, v116, s2, v118
	;; [unrolled: 1-line block ×7, first 2 shown]
	ds_read_b32 v11, v2
	ds_read_b32 v12, v4
	;; [unrolled: 1-line block ×4, first 2 shown]
	ds_read_b32 v7, v7 offset:128
	ds_read_b32 v9, v9 offset:128
	;; [unrolled: 1-line block ×4, first 2 shown]
	s_waitcnt lgkmcnt(7)
	v_cvt_f32_f16_e32 v2, v11
	v_cvt_f32_f16_sdwa v3, v11 dst_sel:DWORD dst_unused:UNUSED_PAD src0_sel:WORD_1
	v_cvt_f32_f16_e32 v4, v0
	v_cvt_f32_f16_sdwa v5, v0 dst_sel:DWORD dst_unused:UNUSED_PAD src0_sel:WORD_1
	v_mul_u32_u24_e32 v11, 56, v39
	s_addc_u32 s1, s4, s1
	v_pk_add_f32 v[2:3], v[2:3], 0 op_sel_hi:[1,0]
	v_add_lshl_u32 v11, v11, v38, 3
	global_store_dwordx2 v11, v[2:3], s[0:1]
	v_pk_add_f32 v[2:3], v[4:5], 0 op_sel_hi:[1,0]
	global_store_dwordx2 v11, v[2:3], s[0:1] offset:3584
	s_waitcnt lgkmcnt(6)
	v_cvt_f32_f16_e32 v2, v12
	v_cvt_f32_f16_sdwa v3, v12 dst_sel:DWORD dst_unused:UNUSED_PAD src0_sel:WORD_1
	v_add_u32_e32 v4, 0x1c00, v11
	v_cvt_f32_f16_e32 v0, v1
	v_cvt_f32_f16_sdwa v1, v1 dst_sel:DWORD dst_unused:UNUSED_PAD src0_sel:WORD_1
	v_pk_add_f32 v[2:3], v[2:3], 0 op_sel_hi:[1,0]
	global_store_dwordx2 v4, v[2:3], s[0:1]
	s_waitcnt lgkmcnt(5)
	v_cvt_f32_f16_e32 v2, v13
	v_cvt_f32_f16_sdwa v3, v13 dst_sel:DWORD dst_unused:UNUSED_PAD src0_sel:WORD_1
	ds_read2st64_b32 v[4:5], v6 offset0:37 offset1:52
	v_add_u32_e32 v12, 0x2a00, v11
	v_pk_add_f32 v[0:1], v[0:1], 0 op_sel_hi:[1,0]
	global_store_dwordx2 v12, v[0:1], s[0:1]
	v_add_u32_e32 v6, 0x3800, v11
	v_pk_add_f32 v[0:1], v[2:3], 0 op_sel_hi:[1,0]
	global_store_dwordx2 v6, v[0:1], s[0:1]
	s_waitcnt lgkmcnt(0)
	v_cvt_f32_f16_e32 v0, v4
	v_cvt_f32_f16_sdwa v1, v4 dst_sel:DWORD dst_unused:UNUSED_PAD src0_sel:WORD_1
	v_cvt_f32_f16_e32 v2, v14
	v_cvt_f32_f16_sdwa v3, v14 dst_sel:DWORD dst_unused:UNUSED_PAD src0_sel:WORD_1
	v_add_u32_e32 v4, 0x4600, v11
	v_pk_add_f32 v[0:1], v[0:1], 0 op_sel_hi:[1,0]
	global_store_dwordx2 v4, v[0:1], s[0:1]
	v_add_u32_e32 v4, 0x5400, v11
	v_pk_add_f32 v[0:1], v[2:3], 0 op_sel_hi:[1,0]
	global_store_dwordx2 v4, v[0:1], s[0:1]
	v_cvt_f32_f16_e32 v0, v5
	v_cvt_f32_f16_sdwa v1, v5 dst_sel:DWORD dst_unused:UNUSED_PAD src0_sel:WORD_1
	v_cvt_f32_f16_e32 v2, v7
	v_cvt_f32_f16_sdwa v3, v7 dst_sel:DWORD dst_unused:UNUSED_PAD src0_sel:WORD_1
	v_add_u32_e32 v4, 0x6200, v11
	v_pk_add_f32 v[0:1], v[0:1], 0 op_sel_hi:[1,0]
	global_store_dwordx2 v4, v[0:1], s[0:1]
	v_pk_add_f32 v[0:1], v[2:3], 0 op_sel_hi:[1,0]
	v_cvt_f32_f16_e32 v2, v9
	v_cvt_f32_f16_sdwa v3, v9 dst_sel:DWORD dst_unused:UNUSED_PAD src0_sel:WORD_1
	v_mul_u32_u24_e32 v4, 56, v116
	v_add_lshl_u32 v6, v4, v36, 3
	global_store_dwordx2 v6, v[0:1], s[0:1] offset:256
	v_add_u32_e32 v4, 0x1c00, v6
	v_pk_add_f32 v[0:1], v[2:3], 0 op_sel_hi:[1,0]
	global_store_dwordx2 v4, v[0:1], s[0:1] offset:256
	v_add_u32_e32 v4, v121, v52
	v_add_u32_e32 v4, 0xc0, v4
	v_cvt_f32_f16_e32 v0, v10
	v_cvt_f32_f16_sdwa v1, v10 dst_sel:DWORD dst_unused:UNUSED_PAD src0_sel:WORD_1
	ds_read2st64_b32 v[4:5], v4 offset1:30
	v_cvt_f32_f16_e32 v2, v8
	v_cvt_f32_f16_sdwa v3, v8 dst_sel:DWORD dst_unused:UNUSED_PAD src0_sel:WORD_1
	v_add_u32_e32 v7, 0x3800, v6
	v_pk_add_f32 v[0:1], v[0:1], 0 op_sel_hi:[1,0]
	global_store_dwordx2 v7, v[0:1], s[0:1] offset:256
	v_pk_add_f32 v[0:1], v[2:3], 0 op_sel_hi:[1,0]
	s_waitcnt lgkmcnt(0)
	v_cvt_f32_f16_e32 v2, v4
	v_cvt_f32_f16_sdwa v3, v4 dst_sel:DWORD dst_unused:UNUSED_PAD src0_sel:WORD_1
	v_add_u32_e32 v6, 0x5400, v6
	global_store_dwordx2 v6, v[0:1], s[0:1] offset:256
	v_mul_u32_u24_e32 v0, 56, v37
	v_or_b32_e32 v4, v0, v40
	v_pk_add_f32 v[0:1], v[2:3], 0 op_sel_hi:[1,0]
	v_cvt_f32_f16_e32 v2, v5
	v_cvt_f32_f16_sdwa v3, v5 dst_sel:DWORD dst_unused:UNUSED_PAD src0_sel:WORD_1
	v_lshlrev_b32_e32 v4, 3, v4
	global_store_dwordx2 v4, v[0:1], s[0:1] offset:384
	v_add_u32_e32 v4, 0x3800, v4
	v_pk_add_f32 v[0:1], v[2:3], 0 op_sel_hi:[1,0]
	global_store_dwordx2 v4, v[0:1], s[0:1] offset:384
.LBB19_492:
	s_endpgm
.LBB19_493:
                                        ; implicit-def: $vgpr10_vgpr11_vgpr12_vgpr13
                                        ; implicit-def: $vgpr14_vgpr15_vgpr16_vgpr17
                                        ; implicit-def: $vgpr6_vgpr7_vgpr8_vgpr9
                                        ; implicit-def: $vgpr2_vgpr3_vgpr4_vgpr5
                                        ; implicit-def: $vgpr49
                                        ; implicit-def: $vgpr62
                                        ; implicit-def: $vgpr48
                                        ; implicit-def: $vgpr63
                                        ; implicit-def: $vgpr59
                                        ; implicit-def: $vgpr61
	s_branch .LBB19_486
	.section	.rodata,"a",@progbits
	.p2align	6, 0x0
	.amdhsa_kernel _ZL18flash_attn_ext_f16ILi112ELi112ELi64ELi1ELb0ELb0EEvPKcS1_S1_S1_S1_PKiPfP15HIP_vector_typeIfLj2EEffffjfiS5_IjLj3EEiiiiiiiiiiiliiliiiiil
		.amdhsa_group_segment_fixed_size 0
		.amdhsa_private_segment_fixed_size 240
		.amdhsa_kernarg_size 464
		.amdhsa_user_sgpr_count 2
		.amdhsa_user_sgpr_dispatch_ptr 0
		.amdhsa_user_sgpr_queue_ptr 0
		.amdhsa_user_sgpr_kernarg_segment_ptr 1
		.amdhsa_user_sgpr_dispatch_id 0
		.amdhsa_user_sgpr_kernarg_preload_length 0
		.amdhsa_user_sgpr_kernarg_preload_offset 0
		.amdhsa_user_sgpr_private_segment_size 0
		.amdhsa_uses_dynamic_stack 0
		.amdhsa_enable_private_segment 1
		.amdhsa_system_sgpr_workgroup_id_x 1
		.amdhsa_system_sgpr_workgroup_id_y 0
		.amdhsa_system_sgpr_workgroup_id_z 0
		.amdhsa_system_sgpr_workgroup_info 0
		.amdhsa_system_vgpr_workitem_id 1
		.amdhsa_next_free_vgpr 256
		.amdhsa_next_free_sgpr 100
		.amdhsa_accum_offset 256
		.amdhsa_reserve_vcc 1
		.amdhsa_float_round_mode_32 0
		.amdhsa_float_round_mode_16_64 0
		.amdhsa_float_denorm_mode_32 3
		.amdhsa_float_denorm_mode_16_64 3
		.amdhsa_dx10_clamp 1
		.amdhsa_ieee_mode 1
		.amdhsa_fp16_overflow 0
		.amdhsa_tg_split 0
		.amdhsa_exception_fp_ieee_invalid_op 0
		.amdhsa_exception_fp_denorm_src 0
		.amdhsa_exception_fp_ieee_div_zero 0
		.amdhsa_exception_fp_ieee_overflow 0
		.amdhsa_exception_fp_ieee_underflow 0
		.amdhsa_exception_fp_ieee_inexact 0
		.amdhsa_exception_int_div_zero 0
	.end_amdhsa_kernel
	.section	.text._ZL18flash_attn_ext_f16ILi112ELi112ELi64ELi1ELb0ELb0EEvPKcS1_S1_S1_S1_PKiPfP15HIP_vector_typeIfLj2EEffffjfiS5_IjLj3EEiiiiiiiiiiiliiliiiiil,"axG",@progbits,_ZL18flash_attn_ext_f16ILi112ELi112ELi64ELi1ELb0ELb0EEvPKcS1_S1_S1_S1_PKiPfP15HIP_vector_typeIfLj2EEffffjfiS5_IjLj3EEiiiiiiiiiiiliiliiiiil,comdat
.Lfunc_end19:
	.size	_ZL18flash_attn_ext_f16ILi112ELi112ELi64ELi1ELb0ELb0EEvPKcS1_S1_S1_S1_PKiPfP15HIP_vector_typeIfLj2EEffffjfiS5_IjLj3EEiiiiiiiiiiiliiliiiiil, .Lfunc_end19-_ZL18flash_attn_ext_f16ILi112ELi112ELi64ELi1ELb0ELb0EEvPKcS1_S1_S1_S1_PKiPfP15HIP_vector_typeIfLj2EEffffjfiS5_IjLj3EEiiiiiiiiiiiliiliiiiil
                                        ; -- End function
	.set _ZL18flash_attn_ext_f16ILi112ELi112ELi64ELi1ELb0ELb0EEvPKcS1_S1_S1_S1_PKiPfP15HIP_vector_typeIfLj2EEffffjfiS5_IjLj3EEiiiiiiiiiiiliiliiiiil.num_vgpr, 256
	.set _ZL18flash_attn_ext_f16ILi112ELi112ELi64ELi1ELb0ELb0EEvPKcS1_S1_S1_S1_PKiPfP15HIP_vector_typeIfLj2EEffffjfiS5_IjLj3EEiiiiiiiiiiiliiliiiiil.num_agpr, 0
	.set _ZL18flash_attn_ext_f16ILi112ELi112ELi64ELi1ELb0ELb0EEvPKcS1_S1_S1_S1_PKiPfP15HIP_vector_typeIfLj2EEffffjfiS5_IjLj3EEiiiiiiiiiiiliiliiiiil.numbered_sgpr, 100
	.set _ZL18flash_attn_ext_f16ILi112ELi112ELi64ELi1ELb0ELb0EEvPKcS1_S1_S1_S1_PKiPfP15HIP_vector_typeIfLj2EEffffjfiS5_IjLj3EEiiiiiiiiiiiliiliiiiil.num_named_barrier, 0
	.set _ZL18flash_attn_ext_f16ILi112ELi112ELi64ELi1ELb0ELb0EEvPKcS1_S1_S1_S1_PKiPfP15HIP_vector_typeIfLj2EEffffjfiS5_IjLj3EEiiiiiiiiiiiliiliiiiil.private_seg_size, 240
	.set _ZL18flash_attn_ext_f16ILi112ELi112ELi64ELi1ELb0ELb0EEvPKcS1_S1_S1_S1_PKiPfP15HIP_vector_typeIfLj2EEffffjfiS5_IjLj3EEiiiiiiiiiiiliiliiiiil.uses_vcc, 1
	.set _ZL18flash_attn_ext_f16ILi112ELi112ELi64ELi1ELb0ELb0EEvPKcS1_S1_S1_S1_PKiPfP15HIP_vector_typeIfLj2EEffffjfiS5_IjLj3EEiiiiiiiiiiiliiliiiiil.uses_flat_scratch, 0
	.set _ZL18flash_attn_ext_f16ILi112ELi112ELi64ELi1ELb0ELb0EEvPKcS1_S1_S1_S1_PKiPfP15HIP_vector_typeIfLj2EEffffjfiS5_IjLj3EEiiiiiiiiiiiliiliiiiil.has_dyn_sized_stack, 0
	.set _ZL18flash_attn_ext_f16ILi112ELi112ELi64ELi1ELb0ELb0EEvPKcS1_S1_S1_S1_PKiPfP15HIP_vector_typeIfLj2EEffffjfiS5_IjLj3EEiiiiiiiiiiiliiliiiiil.has_recursion, 0
	.set _ZL18flash_attn_ext_f16ILi112ELi112ELi64ELi1ELb0ELb0EEvPKcS1_S1_S1_S1_PKiPfP15HIP_vector_typeIfLj2EEffffjfiS5_IjLj3EEiiiiiiiiiiiliiliiiiil.has_indirect_call, 0
	.section	.AMDGPU.csdata,"",@progbits
; Kernel info:
; codeLenInByte = 75524
; TotalNumSgprs: 106
; NumVgprs: 256
; NumAgprs: 0
; TotalNumVgprs: 256
; ScratchSize: 240
; MemoryBound: 0
; FloatMode: 240
; IeeeMode: 1
; LDSByteSize: 0 bytes/workgroup (compile time only)
; SGPRBlocks: 13
; VGPRBlocks: 31
; NumSGPRsForWavesPerEU: 106
; NumVGPRsForWavesPerEU: 256
; AccumOffset: 256
; Occupancy: 2
; WaveLimiterHint : 0
; COMPUTE_PGM_RSRC2:SCRATCH_EN: 1
; COMPUTE_PGM_RSRC2:USER_SGPR: 2
; COMPUTE_PGM_RSRC2:TRAP_HANDLER: 0
; COMPUTE_PGM_RSRC2:TGID_X_EN: 1
; COMPUTE_PGM_RSRC2:TGID_Y_EN: 0
; COMPUTE_PGM_RSRC2:TGID_Z_EN: 0
; COMPUTE_PGM_RSRC2:TIDIG_COMP_CNT: 1
; COMPUTE_PGM_RSRC3_GFX90A:ACCUM_OFFSET: 63
; COMPUTE_PGM_RSRC3_GFX90A:TG_SPLIT: 0
	.section	.text._ZL18flash_attn_ext_f16ILi112ELi112ELi64ELi1ELb1ELb0EEvPKcS1_S1_S1_S1_PKiPfP15HIP_vector_typeIfLj2EEffffjfiS5_IjLj3EEiiiiiiiiiiiliiliiiiil,"axG",@progbits,_ZL18flash_attn_ext_f16ILi112ELi112ELi64ELi1ELb1ELb0EEvPKcS1_S1_S1_S1_PKiPfP15HIP_vector_typeIfLj2EEffffjfiS5_IjLj3EEiiiiiiiiiiiliiliiiiil,comdat
	.globl	_ZL18flash_attn_ext_f16ILi112ELi112ELi64ELi1ELb1ELb0EEvPKcS1_S1_S1_S1_PKiPfP15HIP_vector_typeIfLj2EEffffjfiS5_IjLj3EEiiiiiiiiiiiliiliiiiil ; -- Begin function _ZL18flash_attn_ext_f16ILi112ELi112ELi64ELi1ELb1ELb0EEvPKcS1_S1_S1_S1_PKiPfP15HIP_vector_typeIfLj2EEffffjfiS5_IjLj3EEiiiiiiiiiiiliiliiiiil
	.p2align	8
	.type	_ZL18flash_attn_ext_f16ILi112ELi112ELi64ELi1ELb1ELb0EEvPKcS1_S1_S1_S1_PKiPfP15HIP_vector_typeIfLj2EEffffjfiS5_IjLj3EEiiiiiiiiiiiliiliiiiil,@function
_ZL18flash_attn_ext_f16ILi112ELi112ELi64ELi1ELb1ELb0EEvPKcS1_S1_S1_S1_PKiPfP15HIP_vector_typeIfLj2EEffffjfiS5_IjLj3EEiiiiiiiiiiiliiliiiiil: ; @_ZL18flash_attn_ext_f16ILi112ELi112ELi64ELi1ELb1ELb0EEvPKcS1_S1_S1_S1_PKiPfP15HIP_vector_typeIfLj2EEffffjfiS5_IjLj3EEiiiiiiiiiiiliiliiiiil
; %bb.0:
	s_add_u32 s8, s0, 0xd0
	s_addc_u32 s9, s1, 0
	s_getpc_b64 s[0:1]
	s_add_u32 s0, s0, _ZL14no_device_codePKciS0_iS0_@rel32@lo+4
	s_addc_u32 s1, s1, _ZL14no_device_codePKciS0_iS0_@rel32@hi+12
	s_mov_b32 s32, 0
	s_swappc_b64 s[30:31], s[0:1]
	.section	.rodata,"a",@progbits
	.p2align	6, 0x0
	.amdhsa_kernel _ZL18flash_attn_ext_f16ILi112ELi112ELi64ELi1ELb1ELb0EEvPKcS1_S1_S1_S1_PKiPfP15HIP_vector_typeIfLj2EEffffjfiS5_IjLj3EEiiiiiiiiiiiliiliiiiil
		.amdhsa_group_segment_fixed_size 0
		.amdhsa_private_segment_fixed_size 16
		.amdhsa_kernarg_size 464
		.amdhsa_user_sgpr_count 2
		.amdhsa_user_sgpr_dispatch_ptr 0
		.amdhsa_user_sgpr_queue_ptr 0
		.amdhsa_user_sgpr_kernarg_segment_ptr 1
		.amdhsa_user_sgpr_dispatch_id 0
		.amdhsa_user_sgpr_kernarg_preload_length 0
		.amdhsa_user_sgpr_kernarg_preload_offset 0
		.amdhsa_user_sgpr_private_segment_size 0
		.amdhsa_uses_dynamic_stack 0
		.amdhsa_enable_private_segment 1
		.amdhsa_system_sgpr_workgroup_id_x 1
		.amdhsa_system_sgpr_workgroup_id_y 0
		.amdhsa_system_sgpr_workgroup_id_z 0
		.amdhsa_system_sgpr_workgroup_info 0
		.amdhsa_system_vgpr_workitem_id 0
		.amdhsa_next_free_vgpr 50
		.amdhsa_next_free_sgpr 34
		.amdhsa_accum_offset 52
		.amdhsa_reserve_vcc 1
		.amdhsa_float_round_mode_32 0
		.amdhsa_float_round_mode_16_64 0
		.amdhsa_float_denorm_mode_32 3
		.amdhsa_float_denorm_mode_16_64 3
		.amdhsa_dx10_clamp 1
		.amdhsa_ieee_mode 1
		.amdhsa_fp16_overflow 0
		.amdhsa_tg_split 0
		.amdhsa_exception_fp_ieee_invalid_op 0
		.amdhsa_exception_fp_denorm_src 0
		.amdhsa_exception_fp_ieee_div_zero 0
		.amdhsa_exception_fp_ieee_overflow 0
		.amdhsa_exception_fp_ieee_underflow 0
		.amdhsa_exception_fp_ieee_inexact 0
		.amdhsa_exception_int_div_zero 0
	.end_amdhsa_kernel
	.section	.text._ZL18flash_attn_ext_f16ILi112ELi112ELi64ELi1ELb1ELb0EEvPKcS1_S1_S1_S1_PKiPfP15HIP_vector_typeIfLj2EEffffjfiS5_IjLj3EEiiiiiiiiiiiliiliiiiil,"axG",@progbits,_ZL18flash_attn_ext_f16ILi112ELi112ELi64ELi1ELb1ELb0EEvPKcS1_S1_S1_S1_PKiPfP15HIP_vector_typeIfLj2EEffffjfiS5_IjLj3EEiiiiiiiiiiiliiliiiiil,comdat
.Lfunc_end20:
	.size	_ZL18flash_attn_ext_f16ILi112ELi112ELi64ELi1ELb1ELb0EEvPKcS1_S1_S1_S1_PKiPfP15HIP_vector_typeIfLj2EEffffjfiS5_IjLj3EEiiiiiiiiiiiliiliiiiil, .Lfunc_end20-_ZL18flash_attn_ext_f16ILi112ELi112ELi64ELi1ELb1ELb0EEvPKcS1_S1_S1_S1_PKiPfP15HIP_vector_typeIfLj2EEffffjfiS5_IjLj3EEiiiiiiiiiiiliiliiiiil
                                        ; -- End function
	.set _ZL18flash_attn_ext_f16ILi112ELi112ELi64ELi1ELb1ELb0EEvPKcS1_S1_S1_S1_PKiPfP15HIP_vector_typeIfLj2EEffffjfiS5_IjLj3EEiiiiiiiiiiiliiliiiiil.num_vgpr, max(0, .L_ZL14no_device_codePKciS0_iS0_.num_vgpr)
	.set _ZL18flash_attn_ext_f16ILi112ELi112ELi64ELi1ELb1ELb0EEvPKcS1_S1_S1_S1_PKiPfP15HIP_vector_typeIfLj2EEffffjfiS5_IjLj3EEiiiiiiiiiiiliiliiiiil.num_agpr, max(0, .L_ZL14no_device_codePKciS0_iS0_.num_agpr)
	.set _ZL18flash_attn_ext_f16ILi112ELi112ELi64ELi1ELb1ELb0EEvPKcS1_S1_S1_S1_PKiPfP15HIP_vector_typeIfLj2EEffffjfiS5_IjLj3EEiiiiiiiiiiiliiliiiiil.numbered_sgpr, max(33, .L_ZL14no_device_codePKciS0_iS0_.numbered_sgpr)
	.set _ZL18flash_attn_ext_f16ILi112ELi112ELi64ELi1ELb1ELb0EEvPKcS1_S1_S1_S1_PKiPfP15HIP_vector_typeIfLj2EEffffjfiS5_IjLj3EEiiiiiiiiiiiliiliiiiil.num_named_barrier, max(0, .L_ZL14no_device_codePKciS0_iS0_.num_named_barrier)
	.set _ZL18flash_attn_ext_f16ILi112ELi112ELi64ELi1ELb1ELb0EEvPKcS1_S1_S1_S1_PKiPfP15HIP_vector_typeIfLj2EEffffjfiS5_IjLj3EEiiiiiiiiiiiliiliiiiil.private_seg_size, 0+max(.L_ZL14no_device_codePKciS0_iS0_.private_seg_size)
	.set _ZL18flash_attn_ext_f16ILi112ELi112ELi64ELi1ELb1ELb0EEvPKcS1_S1_S1_S1_PKiPfP15HIP_vector_typeIfLj2EEffffjfiS5_IjLj3EEiiiiiiiiiiiliiliiiiil.uses_vcc, or(1, .L_ZL14no_device_codePKciS0_iS0_.uses_vcc)
	.set _ZL18flash_attn_ext_f16ILi112ELi112ELi64ELi1ELb1ELb0EEvPKcS1_S1_S1_S1_PKiPfP15HIP_vector_typeIfLj2EEffffjfiS5_IjLj3EEiiiiiiiiiiiliiliiiiil.uses_flat_scratch, or(0, .L_ZL14no_device_codePKciS0_iS0_.uses_flat_scratch)
	.set _ZL18flash_attn_ext_f16ILi112ELi112ELi64ELi1ELb1ELb0EEvPKcS1_S1_S1_S1_PKiPfP15HIP_vector_typeIfLj2EEffffjfiS5_IjLj3EEiiiiiiiiiiiliiliiiiil.has_dyn_sized_stack, or(0, .L_ZL14no_device_codePKciS0_iS0_.has_dyn_sized_stack)
	.set _ZL18flash_attn_ext_f16ILi112ELi112ELi64ELi1ELb1ELb0EEvPKcS1_S1_S1_S1_PKiPfP15HIP_vector_typeIfLj2EEffffjfiS5_IjLj3EEiiiiiiiiiiiliiliiiiil.has_recursion, or(0, .L_ZL14no_device_codePKciS0_iS0_.has_recursion)
	.set _ZL18flash_attn_ext_f16ILi112ELi112ELi64ELi1ELb1ELb0EEvPKcS1_S1_S1_S1_PKiPfP15HIP_vector_typeIfLj2EEffffjfiS5_IjLj3EEiiiiiiiiiiiliiliiiiil.has_indirect_call, or(0, .L_ZL14no_device_codePKciS0_iS0_.has_indirect_call)
	.section	.AMDGPU.csdata,"",@progbits
; Kernel info:
; codeLenInByte = 40
; TotalNumSgprs: 40
; NumVgprs: 50
; NumAgprs: 0
; TotalNumVgprs: 50
; ScratchSize: 16
; MemoryBound: 0
; FloatMode: 240
; IeeeMode: 1
; LDSByteSize: 0 bytes/workgroup (compile time only)
; SGPRBlocks: 4
; VGPRBlocks: 6
; NumSGPRsForWavesPerEU: 40
; NumVGPRsForWavesPerEU: 50
; AccumOffset: 52
; Occupancy: 8
; WaveLimiterHint : 1
; COMPUTE_PGM_RSRC2:SCRATCH_EN: 1
; COMPUTE_PGM_RSRC2:USER_SGPR: 2
; COMPUTE_PGM_RSRC2:TRAP_HANDLER: 0
; COMPUTE_PGM_RSRC2:TGID_X_EN: 1
; COMPUTE_PGM_RSRC2:TGID_Y_EN: 0
; COMPUTE_PGM_RSRC2:TGID_Z_EN: 0
; COMPUTE_PGM_RSRC2:TIDIG_COMP_CNT: 0
; COMPUTE_PGM_RSRC3_GFX90A:ACCUM_OFFSET: 12
; COMPUTE_PGM_RSRC3_GFX90A:TG_SPLIT: 0
	.section	.text._ZL33flash_attn_stream_k_fixup_uniformILi112ELi64ELi1EEvPfPK15HIP_vector_typeIfLj2EEiiiiiiS1_IjLj3EES5_S5_,"axG",@progbits,_ZL33flash_attn_stream_k_fixup_uniformILi112ELi64ELi1EEvPfPK15HIP_vector_typeIfLj2EEiiiiiiS1_IjLj3EES5_S5_,comdat
	.globl	_ZL33flash_attn_stream_k_fixup_uniformILi112ELi64ELi1EEvPfPK15HIP_vector_typeIfLj2EEiiiiiiS1_IjLj3EES5_S5_ ; -- Begin function _ZL33flash_attn_stream_k_fixup_uniformILi112ELi64ELi1EEvPfPK15HIP_vector_typeIfLj2EEiiiiiiS1_IjLj3EES5_S5_
	.p2align	8
	.type	_ZL33flash_attn_stream_k_fixup_uniformILi112ELi64ELi1EEvPfPK15HIP_vector_typeIfLj2EEiiiiiiS1_IjLj3EES5_S5_,@function
_ZL33flash_attn_stream_k_fixup_uniformILi112ELi64ELi1EEvPfPK15HIP_vector_typeIfLj2EEiiiiiiS1_IjLj3EES5_S5_: ; @_ZL33flash_attn_stream_k_fixup_uniformILi112ELi64ELi1EEvPfPK15HIP_vector_typeIfLj2EEiiiiiiS1_IjLj3EES5_S5_
; %bb.0:
	s_load_dwordx8 s[8:15], s[0:1], 0x1c
	s_load_dwordx2 s[6:7], s[0:1], 0x10
	s_load_dwordx4 s[16:19], s[0:1], 0x3c
	s_waitcnt lgkmcnt(0)
	s_mul_hi_u32 s5, s11, s2
	s_add_i32 s5, s2, s5
	s_lshr_b32 s5, s5, s12
	s_mul_i32 s11, s5, s13
	s_sub_i32 s12, s2, s11
	s_mul_hi_u32 s11, s12, s14
	s_add_i32 s11, s12, s11
	s_lshr_b32 s11, s11, s15
	s_mul_i32 s13, s11, s16
	s_sub_i32 s12, s12, s13
	;; [unrolled: 5-line block ×3, first 2 shown]
	s_lshl_b32 s12, s17, 6
	s_add_i32 s12, s12, s3
	s_cmp_lt_i32 s12, s6
	s_cselect_b64 s[12:13], -1, 0
	s_add_i32 s16, s16, s4
	s_cmp_lt_i32 s16, s9
	s_cselect_b64 s[14:15], -1, 0
	s_and_b64 s[12:13], s[12:13], s[14:15]
	s_andn2_b64 vcc, exec, s[12:13]
	s_cbranch_vccnz .LBB21_6
; %bb.1:
	s_load_dwordx4 s[12:15], s[0:1], 0x0
	s_mul_i32 s0, s5, s6
	s_mul_i32 s11, s11, s9
	s_add_i32 s0, s0, s3
	s_mul_i32 s1, s7, s17
	s_mul_i32 s0, s0, s7
	s_add_i32 s5, s16, s11
	s_mulk_i32 s1, 0x1c00
	s_add_i32 s0, s5, s0
	s_mulk_i32 s0, 0x70
	v_or_b32_e32 v1, s1, v0
	v_add_u32_e32 v4, s0, v1
	s_waitcnt lgkmcnt(0)
	v_mov_b32_e32 v2, s12
	v_mov_b32_e32 v3, s13
	v_ashrrev_i32_e32 v5, 31, v4
	v_lshl_add_u64 v[2:3], v[4:5], 2, v[2:3]
	global_load_dword v5, v[2:3], off
	s_mul_i32 s6, s10, s2
	s_add_i32 s7, s6, s10
	s_add_i32 s3, s3, s4
	s_lshl_b32 s0, s7, 6
	s_add_i32 s0, s3, s0
	s_sub_i32 s0, s0, 64
	s_ashr_i32 s1, s0, 31
	s_lshl_b64 s[0:1], s[0:1], 3
	s_add_u32 s0, s14, s0
	s_addc_u32 s1, s15, s1
	s_load_dword s9, s[0:1], 0x4
	s_add_i32 s4, s7, -2
	s_cmp_lt_i32 s4, s6
	s_cbranch_scc1 .LBB21_4
; %bb.2:
	s_lshl_b32 s4, s8, 8
	s_ashr_i32 s5, s4, 31
	s_lshl_b64 s[4:5], s[4:5], 2
	s_add_u32 s4, s14, s4
	s_addc_u32 s5, s15, s5
	s_load_dword s0, s[0:1], 0x0
	s_add_i32 s2, s2, 1
	s_mul_i32 s10, s10, s2
	s_mul_i32 s1, s3, 0x70
	s_lshl_b32 s2, s10, 6
	s_mulk_i32 s10, 0x1c00
	s_add_i32 s2, s3, s2
	s_lshl_b32 s3, s8, 6
	s_add_i32 s1, s1, s10
	s_add_i32 s2, s2, s3
	v_add_u32_e32 v0, s1, v0
	s_add_i32 s7, s7, -1
	s_addk_i32 s2, 0xff80
	v_add_u32_e32 v0, 0xffffc800, v0
	s_waitcnt lgkmcnt(0)
	v_mov_b32_e32 v7, s0
	v_mov_b32_e32 v4, s9
	s_mov_b32 s8, 0x3fb8aa3b
	s_mov_b32 s9, 0xc2ce8ed0
	;; [unrolled: 1-line block ×3, first 2 shown]
	v_mov_b32_e32 v6, 0x7f800000
	s_mov_b32 s11, 0xc1a00000
.LBB21_3:                               ; =>This Inner Loop Header: Depth=1
	v_ashrrev_i32_e32 v1, 31, v0
	v_lshl_add_u64 v[8:9], v[0:1], 2, s[4:5]
	global_load_dword v9, v[8:9], off
	s_ashr_i32 s3, s2, 31
	s_lshl_b64 s[0:1], s[2:3], 3
	s_add_u32 s0, s14, s0
	s_addc_u32 s1, s15, s1
	s_load_dwordx2 s[0:1], s[0:1], 0x0
	v_max_f32_e32 v1, v7, v7
	s_add_i32 s7, s7, -1
	s_sub_i32 s2, s2, 64
	v_add_u32_e32 v0, 0xffffe400, v0
	s_waitcnt lgkmcnt(0)
	v_max_f32_e64 v10, s0, s0
	v_max_f32_e32 v1, v1, v10
	v_sub_f32_e32 v11, s0, v1
	v_sub_f32_e32 v10, v7, v1
	v_mul_f32_e32 v12, 0x3fb8aa3b, v11
	v_mov_b32_e32 v7, v1
	v_mul_f32_e32 v1, 0x3fb8aa3b, v10
	v_fma_f32 v15, v11, s8, -v12
	v_rndne_f32_e32 v16, v12
	v_fma_f32 v13, v10, s8, -v1
	v_rndne_f32_e32 v14, v1
	v_fmac_f32_e32 v15, 0x32a5705f, v11
	v_sub_f32_e32 v12, v12, v16
	v_fmac_f32_e32 v13, 0x32a5705f, v10
	v_sub_f32_e32 v1, v1, v14
	v_add_f32_e32 v12, v12, v15
	v_cvt_i32_f32_e32 v16, v16
	v_add_f32_e32 v1, v1, v13
	v_exp_f32_e32 v12, v12
	v_cvt_i32_f32_e32 v14, v14
	v_exp_f32_e32 v1, v1
	v_cmp_ngt_f32_e32 vcc, s9, v11
	v_ldexp_f32 v12, v12, v16
	v_mov_b32_e32 v8, s1
	v_ldexp_f32 v1, v1, v14
	v_cmp_ngt_f32_e64 s[0:1], s9, v10
	v_cndmask_b32_e32 v12, 0, v12, vcc
	v_cmp_nlt_f32_e32 vcc, s10, v11
	v_cndmask_b32_e64 v1, 0, v1, s[0:1]
	v_cmp_nlt_f32_e64 s[0:1], s10, v10
	v_cndmask_b32_e32 v12, v6, v12, vcc
	v_cmp_le_f32_e32 vcc, s11, v11
	v_cndmask_b32_e64 v1, v6, v1, s[0:1]
	v_cmp_le_f32_e64 s[0:1], s11, v10
	v_cndmask_b32_e32 v12, 0, v12, vcc
	s_cmp_le_i32 s7, s6
	v_cndmask_b32_e64 v10, 0, v1, s[0:1]
	s_waitcnt vmcnt(0)
	v_pk_mul_f32 v[8:9], v[8:9], v[12:13] op_sel_hi:[1,0]
	s_nop 0
	v_pk_fma_f32 v[4:5], v[4:5], v[10:11], v[8:9] op_sel_hi:[1,0,1]
	s_cbranch_scc0 .LBB21_3
	s_branch .LBB21_5
.LBB21_4:
	s_waitcnt lgkmcnt(0)
	v_mov_b32_e32 v4, s9
.LBB21_5:
	s_waitcnt vmcnt(0)
	v_div_scale_f32 v0, s[0:1], v4, v4, v5
	v_rcp_f32_e32 v1, v0
	v_div_scale_f32 v6, vcc, v5, v4, v5
	v_fma_f32 v7, -v0, v1, 1.0
	v_fmac_f32_e32 v1, v7, v1
	v_mul_f32_e32 v7, v6, v1
	v_fma_f32 v8, -v0, v7, v6
	v_fmac_f32_e32 v7, v8, v1
	v_fma_f32 v0, -v0, v7, v6
	v_div_fmas_f32 v0, v0, v1, v7
	v_div_fixup_f32 v0, v0, v4, v5
	global_store_dword v[2:3], v0, off
.LBB21_6:
	s_endpgm
	.section	.rodata,"a",@progbits
	.p2align	6, 0x0
	.amdhsa_kernel _ZL33flash_attn_stream_k_fixup_uniformILi112ELi64ELi1EEvPfPK15HIP_vector_typeIfLj2EEiiiiiiS1_IjLj3EES5_S5_
		.amdhsa_group_segment_fixed_size 0
		.amdhsa_private_segment_fixed_size 0
		.amdhsa_kernarg_size 76
		.amdhsa_user_sgpr_count 2
		.amdhsa_user_sgpr_dispatch_ptr 0
		.amdhsa_user_sgpr_queue_ptr 0
		.amdhsa_user_sgpr_kernarg_segment_ptr 1
		.amdhsa_user_sgpr_dispatch_id 0
		.amdhsa_user_sgpr_kernarg_preload_length 0
		.amdhsa_user_sgpr_kernarg_preload_offset 0
		.amdhsa_user_sgpr_private_segment_size 0
		.amdhsa_uses_dynamic_stack 0
		.amdhsa_enable_private_segment 0
		.amdhsa_system_sgpr_workgroup_id_x 1
		.amdhsa_system_sgpr_workgroup_id_y 1
		.amdhsa_system_sgpr_workgroup_id_z 1
		.amdhsa_system_sgpr_workgroup_info 0
		.amdhsa_system_vgpr_workitem_id 0
		.amdhsa_next_free_vgpr 17
		.amdhsa_next_free_sgpr 20
		.amdhsa_accum_offset 20
		.amdhsa_reserve_vcc 1
		.amdhsa_float_round_mode_32 0
		.amdhsa_float_round_mode_16_64 0
		.amdhsa_float_denorm_mode_32 3
		.amdhsa_float_denorm_mode_16_64 3
		.amdhsa_dx10_clamp 1
		.amdhsa_ieee_mode 1
		.amdhsa_fp16_overflow 0
		.amdhsa_tg_split 0
		.amdhsa_exception_fp_ieee_invalid_op 0
		.amdhsa_exception_fp_denorm_src 0
		.amdhsa_exception_fp_ieee_div_zero 0
		.amdhsa_exception_fp_ieee_overflow 0
		.amdhsa_exception_fp_ieee_underflow 0
		.amdhsa_exception_fp_ieee_inexact 0
		.amdhsa_exception_int_div_zero 0
	.end_amdhsa_kernel
	.section	.text._ZL33flash_attn_stream_k_fixup_uniformILi112ELi64ELi1EEvPfPK15HIP_vector_typeIfLj2EEiiiiiiS1_IjLj3EES5_S5_,"axG",@progbits,_ZL33flash_attn_stream_k_fixup_uniformILi112ELi64ELi1EEvPfPK15HIP_vector_typeIfLj2EEiiiiiiS1_IjLj3EES5_S5_,comdat
.Lfunc_end21:
	.size	_ZL33flash_attn_stream_k_fixup_uniformILi112ELi64ELi1EEvPfPK15HIP_vector_typeIfLj2EEiiiiiiS1_IjLj3EES5_S5_, .Lfunc_end21-_ZL33flash_attn_stream_k_fixup_uniformILi112ELi64ELi1EEvPfPK15HIP_vector_typeIfLj2EEiiiiiiS1_IjLj3EES5_S5_
                                        ; -- End function
	.set _ZL33flash_attn_stream_k_fixup_uniformILi112ELi64ELi1EEvPfPK15HIP_vector_typeIfLj2EEiiiiiiS1_IjLj3EES5_S5_.num_vgpr, 17
	.set _ZL33flash_attn_stream_k_fixup_uniformILi112ELi64ELi1EEvPfPK15HIP_vector_typeIfLj2EEiiiiiiS1_IjLj3EES5_S5_.num_agpr, 0
	.set _ZL33flash_attn_stream_k_fixup_uniformILi112ELi64ELi1EEvPfPK15HIP_vector_typeIfLj2EEiiiiiiS1_IjLj3EES5_S5_.numbered_sgpr, 20
	.set _ZL33flash_attn_stream_k_fixup_uniformILi112ELi64ELi1EEvPfPK15HIP_vector_typeIfLj2EEiiiiiiS1_IjLj3EES5_S5_.num_named_barrier, 0
	.set _ZL33flash_attn_stream_k_fixup_uniformILi112ELi64ELi1EEvPfPK15HIP_vector_typeIfLj2EEiiiiiiS1_IjLj3EES5_S5_.private_seg_size, 0
	.set _ZL33flash_attn_stream_k_fixup_uniformILi112ELi64ELi1EEvPfPK15HIP_vector_typeIfLj2EEiiiiiiS1_IjLj3EES5_S5_.uses_vcc, 1
	.set _ZL33flash_attn_stream_k_fixup_uniformILi112ELi64ELi1EEvPfPK15HIP_vector_typeIfLj2EEiiiiiiS1_IjLj3EES5_S5_.uses_flat_scratch, 0
	.set _ZL33flash_attn_stream_k_fixup_uniformILi112ELi64ELi1EEvPfPK15HIP_vector_typeIfLj2EEiiiiiiS1_IjLj3EES5_S5_.has_dyn_sized_stack, 0
	.set _ZL33flash_attn_stream_k_fixup_uniformILi112ELi64ELi1EEvPfPK15HIP_vector_typeIfLj2EEiiiiiiS1_IjLj3EES5_S5_.has_recursion, 0
	.set _ZL33flash_attn_stream_k_fixup_uniformILi112ELi64ELi1EEvPfPK15HIP_vector_typeIfLj2EEiiiiiiS1_IjLj3EES5_S5_.has_indirect_call, 0
	.section	.AMDGPU.csdata,"",@progbits
; Kernel info:
; codeLenInByte = 816
; TotalNumSgprs: 26
; NumVgprs: 17
; NumAgprs: 0
; TotalNumVgprs: 17
; ScratchSize: 0
; MemoryBound: 0
; FloatMode: 240
; IeeeMode: 1
; LDSByteSize: 0 bytes/workgroup (compile time only)
; SGPRBlocks: 3
; VGPRBlocks: 2
; NumSGPRsForWavesPerEU: 26
; NumVGPRsForWavesPerEU: 17
; AccumOffset: 20
; Occupancy: 8
; WaveLimiterHint : 0
; COMPUTE_PGM_RSRC2:SCRATCH_EN: 0
; COMPUTE_PGM_RSRC2:USER_SGPR: 2
; COMPUTE_PGM_RSRC2:TRAP_HANDLER: 0
; COMPUTE_PGM_RSRC2:TGID_X_EN: 1
; COMPUTE_PGM_RSRC2:TGID_Y_EN: 1
; COMPUTE_PGM_RSRC2:TGID_Z_EN: 1
; COMPUTE_PGM_RSRC2:TIDIG_COMP_CNT: 0
; COMPUTE_PGM_RSRC3_GFX90A:ACCUM_OFFSET: 4
; COMPUTE_PGM_RSRC3_GFX90A:TG_SPLIT: 0
	.section	.text._ZL33flash_attn_stream_k_fixup_generalILi112ELi64ELi1EEvPfPK15HIP_vector_typeIfLj2EEiiiiS1_IjLj3EES5_S5_S5_,"axG",@progbits,_ZL33flash_attn_stream_k_fixup_generalILi112ELi64ELi1EEvPfPK15HIP_vector_typeIfLj2EEiiiiS1_IjLj3EES5_S5_S5_,comdat
	.globl	_ZL33flash_attn_stream_k_fixup_generalILi112ELi64ELi1EEvPfPK15HIP_vector_typeIfLj2EEiiiiS1_IjLj3EES5_S5_S5_ ; -- Begin function _ZL33flash_attn_stream_k_fixup_generalILi112ELi64ELi1EEvPfPK15HIP_vector_typeIfLj2EEiiiiS1_IjLj3EES5_S5_S5_
	.p2align	8
	.type	_ZL33flash_attn_stream_k_fixup_generalILi112ELi64ELi1EEvPfPK15HIP_vector_typeIfLj2EEiiiiS1_IjLj3EES5_S5_S5_,@function
_ZL33flash_attn_stream_k_fixup_generalILi112ELi64ELi1EEvPfPK15HIP_vector_typeIfLj2EEiiiiS1_IjLj3EES5_S5_S5_: ; @_ZL33flash_attn_stream_k_fixup_generalILi112ELi64ELi1EEvPfPK15HIP_vector_typeIfLj2EEiiiiS1_IjLj3EES5_S5_S5_
; %bb.0:
	s_load_dwordx4 s[8:11], s[0:1], 0x10
	s_load_dword s22, s[0:1], 0x50
	s_mov_b32 s12, 0
	s_waitcnt lgkmcnt(0)
	s_mul_hi_i32 s13, s11, s2
	s_cmp_lg_u64 s[12:13], 0
	s_mul_i32 s5, s11, s2
	s_cbranch_scc0 .LBB22_20
; %bb.1:
	s_add_u32 s6, s22, 0
	s_addc_u32 s7, 0, 0
	s_xor_b64 s[6:7], s[6:7], 0
	v_cvt_f32_u32_e32 v1, s6
	v_cvt_f32_u32_e32 v2, s7
	s_sub_u32 s12, 0, s6
	s_subb_u32 s18, 0, s7
	v_fmamk_f32 v1, v2, 0x4f800000, v1
	v_rcp_f32_e32 v1, v1
	s_nop 0
	v_mul_f32_e32 v1, 0x5f7ffffc, v1
	v_mul_f32_e32 v2, 0x2f800000, v1
	v_trunc_f32_e32 v2, v2
	v_fmamk_f32 v1, v2, 0xcf800000, v1
	v_cvt_u32_f32_e32 v2, v2
	v_cvt_u32_f32_e32 v1, v1
	v_readfirstlane_b32 s19, v2
	v_readfirstlane_b32 s14, v1
	s_mul_i32 s15, s12, s19
	s_mul_hi_u32 s21, s12, s14
	s_mul_i32 s20, s18, s14
	s_add_i32 s15, s21, s15
	s_add_i32 s15, s15, s20
	s_mul_i32 s23, s12, s14
	s_mul_i32 s21, s14, s15
	s_mul_hi_u32 s24, s14, s23
	s_mul_hi_u32 s20, s14, s15
	s_add_u32 s21, s24, s21
	s_addc_u32 s20, 0, s20
	s_mul_hi_u32 s25, s19, s23
	s_mul_i32 s23, s19, s23
	s_add_u32 s21, s21, s23
	s_mul_hi_u32 s24, s19, s15
	s_addc_u32 s20, s20, s25
	s_addc_u32 s21, s24, 0
	s_mul_i32 s15, s19, s15
	s_add_u32 s15, s20, s15
	s_addc_u32 s20, 0, s21
	s_add_u32 s21, s14, s15
	s_cselect_b64 s[14:15], -1, 0
	s_cmp_lg_u64 s[14:15], 0
	s_addc_u32 s19, s19, s20
	s_mul_i32 s14, s12, s19
	s_mul_hi_u32 s15, s12, s21
	s_add_i32 s14, s15, s14
	s_mul_i32 s18, s18, s21
	s_add_i32 s14, s14, s18
	s_mul_i32 s12, s12, s21
	s_mul_hi_u32 s18, s19, s12
	s_mul_i32 s20, s19, s12
	s_mul_i32 s24, s21, s14
	s_mul_hi_u32 s12, s21, s12
	s_mul_hi_u32 s23, s21, s14
	s_add_u32 s12, s12, s24
	s_addc_u32 s23, 0, s23
	s_add_u32 s12, s12, s20
	s_mul_hi_u32 s15, s19, s14
	s_addc_u32 s12, s23, s18
	s_addc_u32 s15, s15, 0
	s_mul_i32 s14, s19, s14
	s_add_u32 s12, s12, s14
	s_addc_u32 s18, 0, s15
	s_add_u32 s20, s21, s12
	s_cselect_b64 s[14:15], -1, 0
	s_cmp_lg_u64 s[14:15], 0
	s_addc_u32 s18, s19, s18
	s_ashr_i32 s14, s13, 31
	s_add_u32 s12, s5, s14
	s_mov_b32 s15, s14
	s_addc_u32 s13, s13, s14
	s_xor_b64 s[12:13], s[12:13], s[14:15]
	s_mul_i32 s21, s12, s18
	s_mul_hi_u32 s23, s12, s20
	s_mul_hi_u32 s19, s12, s18
	s_add_u32 s21, s23, s21
	s_addc_u32 s19, 0, s19
	s_mul_hi_u32 s24, s13, s20
	s_mul_i32 s20, s13, s20
	s_add_u32 s20, s21, s20
	s_mul_hi_u32 s23, s13, s18
	s_addc_u32 s19, s19, s24
	s_addc_u32 s20, s23, 0
	s_mul_i32 s18, s13, s18
	s_add_u32 s23, s19, s18
	s_addc_u32 s24, 0, s20
	s_mul_i32 s18, s6, s24
	s_mul_hi_u32 s19, s6, s23
	s_add_i32 s18, s19, s18
	s_mul_i32 s19, s7, s23
	s_add_i32 s25, s18, s19
	s_sub_i32 s20, s13, s25
	s_mul_i32 s18, s6, s23
	s_sub_u32 s12, s12, s18
	s_cselect_b64 s[18:19], -1, 0
	s_cmp_lg_u64 s[18:19], 0
	s_subb_u32 s26, s20, s7
	s_sub_u32 s27, s12, s6
	s_cselect_b64 s[20:21], -1, 0
	s_cmp_lg_u64 s[20:21], 0
	s_subb_u32 s20, s26, 0
	s_cmp_ge_u32 s20, s7
	s_cselect_b32 s21, -1, 0
	s_cmp_ge_u32 s27, s6
	s_cselect_b32 s26, -1, 0
	s_cmp_eq_u32 s20, s7
	s_cselect_b32 s20, s26, s21
	s_add_u32 s21, s23, 1
	s_addc_u32 s26, s24, 0
	s_add_u32 s27, s23, 2
	s_addc_u32 s28, s24, 0
	s_cmp_lg_u32 s20, 0
	s_cselect_b32 s20, s27, s21
	s_cselect_b32 s21, s28, s26
	s_cmp_lg_u64 s[18:19], 0
	s_subb_u32 s13, s13, s25
	s_cmp_ge_u32 s13, s7
	s_cselect_b32 s18, -1, 0
	s_cmp_ge_u32 s12, s6
	s_cselect_b32 s6, -1, 0
	s_cmp_eq_u32 s13, s7
	s_cselect_b32 s6, s6, s18
	s_cmp_lg_u32 s6, 0
	s_cselect_b32 s7, s21, s24
	s_cselect_b32 s6, s20, s23
	s_xor_b64 s[12:13], s[14:15], 0
	s_xor_b64 s[6:7], s[6:7], s[12:13]
	s_sub_u32 s6, s6, s12
	s_load_dwordx4 s[12:15], s[0:1], 0x44
	s_cbranch_execnz .LBB22_3
.LBB22_2:
	v_cvt_f32_u32_e32 v1, s22
	s_sub_i32 s6, 0, s22
	v_rcp_iflag_f32_e32 v1, v1
	s_nop 0
	v_mul_f32_e32 v1, 0x4f7ffffe, v1
	v_cvt_u32_f32_e32 v1, v1
	s_nop 0
	v_readfirstlane_b32 s7, v1
	s_mul_i32 s6, s6, s7
	s_mul_hi_u32 s6, s7, s6
	s_add_i32 s7, s7, s6
	s_mul_hi_u32 s6, s5, s7
	s_waitcnt lgkmcnt(0)
	s_mul_i32 s15, s6, s22
	s_sub_i32 s5, s5, s15
	s_add_i32 s7, s6, 1
	s_sub_i32 s15, s5, s22
	s_cmp_ge_u32 s5, s22
	s_cselect_b32 s6, s7, s6
	s_cselect_b32 s5, s15, s5
	s_add_i32 s7, s6, 1
	s_cmp_ge_u32 s5, s22
	s_cselect_b32 s6, s7, s6
.LBB22_3:
	s_add_i32 s5, s2, 1
	s_mul_hi_i32 s21, s11, s5
	s_mov_b32 s20, 0
	s_cmp_lg_u64 s[20:21], 0
	s_mul_i32 s5, s11, s5
	s_cbranch_scc0 .LBB22_21
; %bb.4:
	s_add_u32 s16, s22, 0
	s_addc_u32 s17, 0, 0
	s_xor_b64 s[18:19], s[16:17], 0
	v_cvt_f32_u32_e32 v1, s18
	v_cvt_f32_u32_e32 v2, s19
	s_sub_u32 s7, 0, s18
	s_waitcnt lgkmcnt(0)
	s_subb_u32 s15, 0, s19
	v_fmamk_f32 v1, v2, 0x4f800000, v1
	v_rcp_f32_e32 v1, v1
	s_nop 0
	v_mul_f32_e32 v1, 0x5f7ffffc, v1
	v_mul_f32_e32 v2, 0x2f800000, v1
	v_trunc_f32_e32 v2, v2
	v_fmamk_f32 v1, v2, 0xcf800000, v1
	v_cvt_u32_f32_e32 v2, v2
	v_cvt_u32_f32_e32 v1, v1
	v_readfirstlane_b32 s20, v2
	v_readfirstlane_b32 s23, v1
	s_mul_i32 s24, s7, s20
	s_mul_hi_u32 s26, s7, s23
	s_mul_i32 s25, s15, s23
	s_add_i32 s24, s26, s24
	s_add_i32 s24, s24, s25
	s_mul_i32 s27, s7, s23
	s_mul_i32 s26, s23, s24
	s_mul_hi_u32 s28, s23, s27
	s_mul_hi_u32 s25, s23, s24
	s_add_u32 s26, s28, s26
	s_addc_u32 s25, 0, s25
	s_mul_hi_u32 s29, s20, s27
	s_mul_i32 s27, s20, s27
	s_add_u32 s26, s26, s27
	s_mul_hi_u32 s28, s20, s24
	s_addc_u32 s25, s25, s29
	s_addc_u32 s26, s28, 0
	s_mul_i32 s24, s20, s24
	s_add_u32 s24, s25, s24
	s_addc_u32 s26, 0, s26
	s_add_u32 s23, s23, s24
	s_cselect_b64 s[24:25], -1, 0
	s_cmp_lg_u64 s[24:25], 0
	s_addc_u32 s20, s20, s26
	s_mul_i32 s24, s7, s20
	s_mul_hi_u32 s25, s7, s23
	s_add_i32 s24, s25, s24
	s_mul_i32 s15, s15, s23
	s_add_i32 s24, s24, s15
	s_mul_i32 s7, s7, s23
	s_mul_hi_u32 s25, s20, s7
	s_mul_i32 s26, s20, s7
	s_mul_i32 s28, s23, s24
	s_mul_hi_u32 s7, s23, s7
	s_mul_hi_u32 s27, s23, s24
	s_add_u32 s7, s7, s28
	s_addc_u32 s27, 0, s27
	s_add_u32 s7, s7, s26
	s_mul_hi_u32 s15, s20, s24
	s_addc_u32 s7, s27, s25
	s_addc_u32 s15, s15, 0
	s_mul_i32 s24, s20, s24
	s_add_u32 s7, s7, s24
	s_addc_u32 s15, 0, s15
	s_add_u32 s7, s23, s7
	s_cselect_b64 s[24:25], -1, 0
	s_cmp_lg_u64 s[24:25], 0
	s_addc_u32 s15, s20, s15
	s_ashr_i32 s24, s21, 31
	s_add_u32 s20, s5, s24
	s_mov_b32 s25, s24
	s_addc_u32 s21, s21, s24
	s_xor_b64 s[20:21], s[20:21], s[24:25]
	s_mul_i32 s26, s20, s15
	s_mul_hi_u32 s27, s20, s7
	s_mul_hi_u32 s23, s20, s15
	s_add_u32 s26, s27, s26
	s_addc_u32 s23, 0, s23
	s_mul_hi_u32 s28, s21, s7
	s_mul_i32 s7, s21, s7
	s_add_u32 s7, s26, s7
	s_mul_hi_u32 s27, s21, s15
	s_addc_u32 s7, s23, s28
	s_addc_u32 s23, s27, 0
	s_mul_i32 s15, s21, s15
	s_add_u32 s7, s7, s15
	s_addc_u32 s15, 0, s23
	s_mul_i32 s23, s18, s15
	s_mul_hi_u32 s26, s18, s7
	s_add_i32 s23, s26, s23
	s_mul_i32 s26, s19, s7
	s_add_i32 s23, s23, s26
	s_sub_i32 s28, s21, s23
	s_mul_i32 s26, s18, s7
	s_sub_u32 s20, s20, s26
	s_cselect_b64 s[26:27], -1, 0
	s_cmp_lg_u64 s[26:27], 0
	s_subb_u32 s30, s28, s19
	s_sub_u32 s31, s20, s18
	s_cselect_b64 s[28:29], -1, 0
	s_cmp_lg_u64 s[28:29], 0
	s_subb_u32 s28, s30, 0
	s_cmp_ge_u32 s28, s19
	s_cselect_b32 s29, -1, 0
	s_cmp_ge_u32 s31, s18
	s_cselect_b32 s30, -1, 0
	s_cmp_eq_u32 s28, s19
	s_cselect_b32 s28, s30, s29
	s_add_u32 s29, s7, 1
	s_addc_u32 s30, s15, 0
	s_add_u32 s31, s7, 2
	s_addc_u32 s33, s15, 0
	s_cmp_lg_u32 s28, 0
	s_cselect_b32 s28, s31, s29
	s_cselect_b32 s29, s33, s30
	s_cmp_lg_u64 s[26:27], 0
	s_subb_u32 s21, s21, s23
	s_cmp_ge_u32 s21, s19
	s_cselect_b32 s23, -1, 0
	s_cmp_ge_u32 s20, s18
	s_cselect_b32 s18, -1, 0
	s_cmp_eq_u32 s21, s19
	s_cselect_b32 s18, s18, s23
	s_cmp_lg_u32 s18, 0
	s_cselect_b32 s19, s29, s15
	s_cselect_b32 s18, s28, s7
	s_xor_b64 s[20:21], s[24:25], 0
	s_xor_b64 s[18:19], s[18:19], s[20:21]
	s_sub_u32 s18, s18, s20
	s_cbranch_execnz .LBB22_6
.LBB22_5:
	v_cvt_f32_u32_e32 v1, s22
	s_sub_i32 s7, 0, s22
	v_rcp_iflag_f32_e32 v1, v1
	s_nop 0
	v_mul_f32_e32 v1, 0x4f7ffffe, v1
	v_cvt_u32_f32_e32 v1, v1
	s_waitcnt lgkmcnt(0)
	v_readfirstlane_b32 s15, v1
	s_mul_i32 s7, s7, s15
	s_mul_hi_u32 s7, s15, s7
	s_add_i32 s15, s15, s7
	s_mul_hi_u32 s7, s5, s15
	s_mul_i32 s16, s7, s22
	s_sub_i32 s5, s5, s16
	s_add_i32 s15, s7, 1
	s_sub_i32 s16, s5, s22
	s_cmp_ge_u32 s5, s22
	s_cselect_b32 s7, s15, s7
	s_cselect_b32 s5, s16, s5
	s_add_i32 s15, s7, 1
	s_cmp_ge_u32 s5, s22
	s_cselect_b32 s18, s15, s7
.LBB22_6:
	s_cmp_eq_u32 s6, s18
	s_waitcnt lgkmcnt(0)
	s_mul_hi_u32 s5, s6, s12
	s_cselect_b64 s[16:17], -1, 0
	s_add_i32 s5, s5, s6
	s_lshr_b32 s7, s5, s13
	s_mul_i32 s5, s7, s14
	s_cmp_eq_u32 s5, s6
	s_mul_hi_u32 s5, s18, s12
	s_cselect_b64 s[20:21], -1, 0
	s_add_i32 s5, s5, s18
	s_lshr_b32 s5, s5, s13
	s_cmp_eq_u32 s7, s5
	s_mul_i32 s5, s5, s14
	s_cselect_b64 s[24:25], -1, 0
	s_cmp_lg_u32 s5, s18
	s_cselect_b64 s[18:19], -1, 0
	s_and_b64 s[18:19], s[24:25], s[18:19]
	s_or_b64 s[16:17], s[16:17], s[20:21]
	s_or_b64 s[16:17], s[16:17], s[18:19]
	s_and_b64 vcc, exec, s[16:17]
	s_cbranch_vccnz .LBB22_23
; %bb.7:
	s_load_dwordx8 s[24:31], s[0:1], 0x20
	s_load_dword s5, s[0:1], 0x40
	s_waitcnt lgkmcnt(0)
	s_mul_hi_u32 s15, s6, s24
	s_add_i32 s15, s15, s6
	s_lshr_b32 s20, s15, s25
	s_mul_i32 s15, s20, s26
	s_sub_i32 s15, s6, s15
	s_mul_hi_u32 s16, s15, s27
	s_add_i32 s16, s15, s16
	s_lshr_b32 s21, s16, s28
	s_mul_i32 s16, s21, s29
	s_sub_i32 s15, s15, s16
	;; [unrolled: 5-line block ×3, first 2 shown]
	s_mul_hi_u32 s15, s5, s12
	s_add_i32 s5, s5, s15
	s_lshr_b32 s23, s5, s13
	s_lshl_b32 s5, s23, 6
	s_add_i32 s5, s5, s3
	s_cmp_lt_i32 s5, s8
	s_cselect_b64 s[16:17], -1, 0
	s_add_i32 s24, s24, s4
	s_cmp_lt_i32 s24, s10
	s_cselect_b64 s[18:19], -1, 0
	s_and_b64 s[16:17], s[16:17], s[18:19]
	s_andn2_b64 vcc, exec, s[16:17]
	s_cbranch_vccnz .LBB22_23
; %bb.8:
	s_load_dwordx4 s[16:19], s[0:1], 0x0
	s_mov_b32 s0, 0
	s_add_i32 s15, s3, s4
	s_lshl_b32 s4, s22, 8
	s_mov_b32 s5, s0
	s_lshl_b64 s[4:5], s[4:5], 2
	s_waitcnt lgkmcnt(0)
	s_add_u32 s4, s18, s4
	s_mul_i32 s1, s20, s8
	s_addc_u32 s5, s19, s5
	s_mul_i32 s21, s21, s10
	s_add_i32 s1, s1, s3
	s_mul_i32 s1, s1, s9
	s_add_i32 s3, s24, s21
	;; [unrolled: 2-line block ×3, first 2 shown]
	s_mulk_i32 s8, 0x1c00
	s_mulk_i32 s1, 0x70
	s_add_i32 s8, s8, s1
	v_add_u32_e32 v4, s8, v0
	v_mov_b32_e32 v2, s16
	v_mov_b32_e32 v3, s17
	v_ashrrev_i32_e32 v5, 31, v4
	v_lshl_add_u64 v[2:3], v[4:5], 2, v[2:3]
	global_load_dword v1, v[2:3], off
	v_cvt_f32_u32_e32 v4, s22
	s_lshl_b32 s1, s2, 6
	s_add_i32 s8, s1, s15
	s_ashr_i32 s9, s8, 31
	s_lshl_b64 s[8:9], s[8:9], 3
	v_rcp_iflag_f32_e32 v4, v4
	s_add_u32 s8, s18, s8
	s_addc_u32 s9, s19, s9
	s_load_dwordx2 s[8:9], s[8:9], 0x0
	v_mul_f32_e32 v4, 0x4f7ffffe, v4
	v_cvt_u32_f32_e32 v7, v4
	s_mul_i32 s1, s15, 0x70
	s_add_i32 s21, s2, -1
	v_add_u32_e32 v6, s1, v0
	s_waitcnt lgkmcnt(0)
	v_mov_b32_e32 v0, s9
	v_mov_b32_e32 v9, s8
	s_mov_b32 s10, 0x3fb8aa3b
	s_mov_b32 s20, 0xc2ce8ed0
	;; [unrolled: 1-line block ×4, first 2 shown]
	v_mov_b32_e32 v8, 0x7f800000
	s_mul_hi_i32 s1, s21, s11
	s_cmp_lg_u64 s[0:1], 0
	s_mul_i32 s16, s21, s11
	s_cbranch_scc0 .LBB22_19
.LBB22_9:
	s_add_u32 s2, s22, 0
	s_addc_u32 s3, 0, 0
	s_xor_b64 s[2:3], s[2:3], 0
	v_cvt_f32_u32_e32 v4, s2
	v_cvt_f32_u32_e32 v5, s3
	s_sub_u32 s17, 0, s2
	s_subb_u32 s25, 0, s3
	v_fmac_f32_e32 v4, 0x4f800000, v5
	v_rcp_f32_e32 v4, v4
	s_nop 0
	v_mul_f32_e32 v4, 0x5f7ffffc, v4
	v_mul_f32_e32 v5, 0x2f800000, v4
	v_trunc_f32_e32 v5, v5
	v_fmac_f32_e32 v4, 0xcf800000, v5
	v_cvt_u32_f32_e32 v5, v5
	v_cvt_u32_f32_e32 v4, v4
	v_readfirstlane_b32 s26, v5
	v_readfirstlane_b32 s8, v4
	s_mul_i32 s9, s17, s26
	s_mul_hi_u32 s28, s17, s8
	s_mul_i32 s27, s25, s8
	s_add_i32 s9, s28, s9
	s_mul_i32 s29, s17, s8
	s_add_i32 s9, s9, s27
	s_mul_i32 s28, s8, s9
	s_mul_hi_u32 s30, s8, s29
	s_mul_hi_u32 s27, s8, s9
	s_add_u32 s28, s30, s28
	s_addc_u32 s27, 0, s27
	s_mul_hi_u32 s31, s26, s29
	s_mul_i32 s29, s26, s29
	s_add_u32 s28, s28, s29
	s_mul_hi_u32 s30, s26, s9
	s_addc_u32 s27, s27, s31
	s_addc_u32 s28, s30, 0
	s_mul_i32 s9, s26, s9
	s_add_u32 s9, s27, s9
	s_addc_u32 s27, 0, s28
	s_add_u32 s28, s8, s9
	s_cselect_b64 s[8:9], -1, 0
	s_cmp_lg_u64 s[8:9], 0
	s_addc_u32 s26, s26, s27
	s_mul_i32 s8, s17, s26
	s_mul_hi_u32 s9, s17, s28
	s_add_i32 s8, s9, s8
	s_mul_i32 s25, s25, s28
	s_add_i32 s8, s8, s25
	s_mul_i32 s17, s17, s28
	s_mul_hi_u32 s25, s26, s17
	s_mul_i32 s27, s26, s17
	s_mul_i32 s30, s28, s8
	s_mul_hi_u32 s17, s28, s17
	s_mul_hi_u32 s29, s28, s8
	s_add_u32 s17, s17, s30
	s_addc_u32 s29, 0, s29
	s_add_u32 s17, s17, s27
	s_mul_hi_u32 s9, s26, s8
	s_addc_u32 s17, s29, s25
	s_addc_u32 s9, s9, 0
	s_mul_i32 s8, s26, s8
	s_add_u32 s8, s17, s8
	s_addc_u32 s17, 0, s9
	s_add_u32 s25, s28, s8
	s_cselect_b64 s[8:9], -1, 0
	s_cmp_lg_u64 s[8:9], 0
	s_addc_u32 s17, s26, s17
	s_ashr_i32 s8, s1, 31
	s_add_u32 s26, s16, s8
	s_mov_b32 s9, s8
	s_addc_u32 s27, s1, s8
	s_xor_b64 s[26:27], s[26:27], s[8:9]
	s_mul_i32 s28, s26, s17
	s_mul_hi_u32 s29, s26, s25
	s_mul_hi_u32 s1, s26, s17
	s_add_u32 s28, s29, s28
	s_addc_u32 s1, 0, s1
	s_mul_hi_u32 s30, s27, s25
	s_mul_i32 s25, s27, s25
	s_add_u32 s25, s28, s25
	s_mul_hi_u32 s29, s27, s17
	s_addc_u32 s1, s1, s30
	s_addc_u32 s25, s29, 0
	s_mul_i32 s17, s27, s17
	s_add_u32 s1, s1, s17
	s_addc_u32 s17, 0, s25
	s_mul_i32 s25, s2, s17
	s_mul_hi_u32 s28, s2, s1
	s_add_i32 s25, s28, s25
	s_mul_i32 s28, s3, s1
	s_add_i32 s25, s25, s28
	s_sub_i32 s30, s27, s25
	s_mul_i32 s28, s2, s1
	s_sub_u32 s26, s26, s28
	s_cselect_b64 s[28:29], -1, 0
	s_cmp_lg_u64 s[28:29], 0
	s_subb_u32 s33, s30, s3
	s_sub_u32 s34, s26, s2
	s_cselect_b64 s[30:31], -1, 0
	s_cmp_lg_u64 s[30:31], 0
	s_subb_u32 s30, s33, 0
	s_cmp_ge_u32 s30, s3
	s_cselect_b32 s31, -1, 0
	s_cmp_ge_u32 s34, s2
	s_cselect_b32 s33, -1, 0
	s_cmp_eq_u32 s30, s3
	s_cselect_b32 s30, s33, s31
	s_add_u32 s31, s1, 1
	s_addc_u32 s33, s17, 0
	s_add_u32 s34, s1, 2
	s_addc_u32 s35, s17, 0
	s_cmp_lg_u32 s30, 0
	s_cselect_b32 s30, s34, s31
	s_cselect_b32 s31, s35, s33
	s_cmp_lg_u64 s[28:29], 0
	s_subb_u32 s25, s27, s25
	s_cmp_ge_u32 s25, s3
	s_cselect_b32 s27, -1, 0
	s_cmp_ge_u32 s26, s2
	s_cselect_b32 s2, -1, 0
	s_cmp_eq_u32 s25, s3
	s_cselect_b32 s2, s2, s27
	s_cmp_lg_u32 s2, 0
	s_cselect_b32 s3, s31, s17
	s_cselect_b32 s2, s30, s1
	s_xor_b64 s[8:9], s[8:9], 0
	s_xor_b64 s[2:3], s[2:3], s[8:9]
	s_sub_u32 s8, s2, s8
	s_cbranch_execnz .LBB22_11
.LBB22_10:
	s_sub_i32 s1, 0, s22
	v_readfirstlane_b32 s2, v7
	s_mul_i32 s1, s1, s2
	s_mul_hi_u32 s1, s2, s1
	s_add_i32 s2, s2, s1
	s_mul_hi_u32 s1, s16, s2
	s_mul_i32 s3, s1, s22
	s_sub_i32 s3, s16, s3
	s_add_i32 s2, s1, 1
	s_sub_i32 s8, s3, s22
	s_cmp_ge_u32 s3, s22
	s_cselect_b32 s1, s2, s1
	s_cselect_b32 s3, s8, s3
	s_add_i32 s2, s1, 1
	s_cmp_ge_u32 s3, s22
	s_cselect_b32 s8, s2, s1
.LBB22_11:
	s_cmp_lg_u32 s6, s8
	s_cbranch_scc0 .LBB22_15
; %bb.12:
	s_add_i32 s1, s21, s22
	s_lshl_b32 s1, s1, 6
	s_add_i32 s2, s1, s15
	s_mov_b32 s3, s0
	s_lshl_b64 s[2:3], s[2:3], 3
	s_add_u32 s16, s18, s2
	s_mul_hi_u32 s1, s8, s12
	s_addc_u32 s17, s19, s3
	s_add_i32 s1, s1, s8
	s_lshr_b32 s1, s1, s13
	s_mul_i32 s2, s1, s14
	s_cmp_eq_u32 s2, s8
	s_cselect_b64 s[2:3], -1, 0
	s_cmp_lt_u32 s1, s7
	s_cselect_b64 s[26:27], -1, 0
	s_or_b64 s[26:27], s[26:27], s[2:3]
	s_mov_b64 s[2:3], -1
	s_and_b64 vcc, exec, s[26:27]
	s_mov_b32 s1, s21
	s_mov_b32 s25, s6
	s_cbranch_vccnz .LBB22_14
; %bb.13:
	s_add_i32 s1, s21, -1
	s_mov_b64 s[2:3], 0
	s_mov_b32 s25, s8
.LBB22_14:
	s_mul_i32 s8, s21, 0x1c00
	v_add_u32_e32 v4, s8, v6
	v_ashrrev_i32_e32 v5, 31, v4
	v_lshl_add_u64 v[4:5], v[4:5], 2, s[4:5]
	global_load_dword v5, v[4:5], off
	s_load_dwordx2 s[8:9], s[16:17], 0x0
	v_max_f32_e32 v4, v9, v9
	s_waitcnt lgkmcnt(0)
	v_max_f32_e64 v10, s8, s8
	v_max_f32_e32 v10, v4, v10
	v_sub_f32_e32 v11, v9, v10
	v_sub_f32_e32 v13, s8, v10
	v_mul_f32_e32 v4, 0x3fb8aa3b, v11
	v_mul_f32_e32 v12, 0x3fb8aa3b, v13
	v_fma_f32 v14, v11, s10, -v4
	v_rndne_f32_e32 v15, v4
	v_fma_f32 v16, v13, s10, -v12
	v_rndne_f32_e32 v17, v12
	v_fmac_f32_e32 v14, 0x32a5705f, v11
	v_sub_f32_e32 v4, v4, v15
	v_fmac_f32_e32 v16, 0x32a5705f, v13
	v_sub_f32_e32 v12, v12, v17
	v_add_f32_e32 v4, v4, v14
	v_cvt_i32_f32_e32 v15, v15
	v_add_f32_e32 v12, v12, v16
	v_exp_f32_e32 v14, v4
	v_cvt_i32_f32_e32 v17, v17
	v_exp_f32_e32 v12, v12
	v_cmp_ngt_f32_e32 vcc, s20, v11
	v_ldexp_f32 v14, v14, v15
	v_mov_b32_e32 v4, s9
	v_ldexp_f32 v12, v12, v17
	v_cndmask_b32_e32 v14, 0, v14, vcc
	v_cmp_ngt_f32_e32 vcc, s20, v13
	s_nop 1
	v_cndmask_b32_e32 v12, 0, v12, vcc
	v_cmp_nlt_f32_e32 vcc, s23, v11
	s_nop 1
	v_cndmask_b32_e32 v14, v8, v14, vcc
	v_cmp_nlt_f32_e32 vcc, s23, v13
	s_nop 1
	v_cndmask_b32_e32 v15, v8, v12, vcc
	v_cmp_le_f32_e32 vcc, s24, v11
	s_nop 1
	v_cndmask_b32_e32 v12, 0, v14, vcc
	v_cmp_le_f32_e32 vcc, s24, v13
	s_nop 1
	v_cndmask_b32_e32 v14, 0, v15, vcc
	s_waitcnt vmcnt(0)
	v_pk_mul_f32 v[4:5], v[4:5], v[14:15] op_sel_hi:[1,0]
	s_nop 0
	v_pk_fma_f32 v[4:5], v[0:1], v[12:13], v[4:5] op_sel_hi:[1,0,1]
	s_cbranch_execz .LBB22_16
	s_branch .LBB22_17
.LBB22_15:
                                        ; implicit-def: $vgpr4_vgpr5
                                        ; implicit-def: $sgpr2_sgpr3
                                        ; implicit-def: $vgpr10
                                        ; implicit-def: $sgpr1
                                        ; implicit-def: $sgpr25
.LBB22_16:
	s_add_i32 s1, s21, -1
	s_mov_b64 s[2:3], 0
	s_mov_b32 s25, s6
	v_mov_b32_e32 v10, v9
	s_waitcnt vmcnt(0)
	v_mov_b64_e32 v[4:5], v[0:1]
.LBB22_17:
	s_andn2_b64 vcc, exec, s[2:3]
	s_cbranch_vccz .LBB22_22
; %bb.18:
	s_mov_b32 s6, s25
	s_mov_b32 s21, s1
	v_mov_b32_e32 v9, v10
	s_waitcnt vmcnt(0)
	v_mov_b64_e32 v[0:1], v[4:5]
	s_mul_hi_i32 s1, s21, s11
	s_cmp_lg_u64 s[0:1], 0
	s_mul_i32 s16, s21, s11
	s_cbranch_scc1 .LBB22_9
.LBB22_19:
                                        ; implicit-def: $sgpr8_sgpr9
	s_branch .LBB22_10
.LBB22_20:
                                        ; implicit-def: $sgpr6_sgpr7
	s_load_dwordx4 s[12:15], s[0:1], 0x44
	s_branch .LBB22_2
.LBB22_21:
                                        ; implicit-def: $sgpr18_sgpr19
	s_branch .LBB22_5
.LBB22_22:
	v_div_scale_f32 v0, s[0:1], v4, v4, v5
	s_waitcnt vmcnt(0)
	v_rcp_f32_e32 v1, v0
	v_div_scale_f32 v6, vcc, v5, v4, v5
	v_fma_f32 v7, -v0, v1, 1.0
	v_fmac_f32_e32 v1, v7, v1
	v_mul_f32_e32 v7, v6, v1
	v_fma_f32 v8, -v0, v7, v6
	v_fmac_f32_e32 v7, v8, v1
	v_fma_f32 v0, -v0, v7, v6
	v_div_fmas_f32 v0, v0, v1, v7
	v_div_fixup_f32 v0, v0, v4, v5
	global_store_dword v[2:3], v0, off
.LBB22_23:
	s_endpgm
	.section	.rodata,"a",@progbits
	.p2align	6, 0x0
	.amdhsa_kernel _ZL33flash_attn_stream_k_fixup_generalILi112ELi64ELi1EEvPfPK15HIP_vector_typeIfLj2EEiiiiS1_IjLj3EES5_S5_S5_
		.amdhsa_group_segment_fixed_size 0
		.amdhsa_private_segment_fixed_size 0
		.amdhsa_kernarg_size 336
		.amdhsa_user_sgpr_count 2
		.amdhsa_user_sgpr_dispatch_ptr 0
		.amdhsa_user_sgpr_queue_ptr 0
		.amdhsa_user_sgpr_kernarg_segment_ptr 1
		.amdhsa_user_sgpr_dispatch_id 0
		.amdhsa_user_sgpr_kernarg_preload_length 0
		.amdhsa_user_sgpr_kernarg_preload_offset 0
		.amdhsa_user_sgpr_private_segment_size 0
		.amdhsa_uses_dynamic_stack 0
		.amdhsa_enable_private_segment 0
		.amdhsa_system_sgpr_workgroup_id_x 1
		.amdhsa_system_sgpr_workgroup_id_y 1
		.amdhsa_system_sgpr_workgroup_id_z 1
		.amdhsa_system_sgpr_workgroup_info 0
		.amdhsa_system_vgpr_workitem_id 0
		.amdhsa_next_free_vgpr 18
		.amdhsa_next_free_sgpr 36
		.amdhsa_accum_offset 20
		.amdhsa_reserve_vcc 1
		.amdhsa_float_round_mode_32 0
		.amdhsa_float_round_mode_16_64 0
		.amdhsa_float_denorm_mode_32 3
		.amdhsa_float_denorm_mode_16_64 3
		.amdhsa_dx10_clamp 1
		.amdhsa_ieee_mode 1
		.amdhsa_fp16_overflow 0
		.amdhsa_tg_split 0
		.amdhsa_exception_fp_ieee_invalid_op 0
		.amdhsa_exception_fp_denorm_src 0
		.amdhsa_exception_fp_ieee_div_zero 0
		.amdhsa_exception_fp_ieee_overflow 0
		.amdhsa_exception_fp_ieee_underflow 0
		.amdhsa_exception_fp_ieee_inexact 0
		.amdhsa_exception_int_div_zero 0
	.end_amdhsa_kernel
	.section	.text._ZL33flash_attn_stream_k_fixup_generalILi112ELi64ELi1EEvPfPK15HIP_vector_typeIfLj2EEiiiiS1_IjLj3EES5_S5_S5_,"axG",@progbits,_ZL33flash_attn_stream_k_fixup_generalILi112ELi64ELi1EEvPfPK15HIP_vector_typeIfLj2EEiiiiS1_IjLj3EES5_S5_S5_,comdat
.Lfunc_end22:
	.size	_ZL33flash_attn_stream_k_fixup_generalILi112ELi64ELi1EEvPfPK15HIP_vector_typeIfLj2EEiiiiS1_IjLj3EES5_S5_S5_, .Lfunc_end22-_ZL33flash_attn_stream_k_fixup_generalILi112ELi64ELi1EEvPfPK15HIP_vector_typeIfLj2EEiiiiS1_IjLj3EES5_S5_S5_
                                        ; -- End function
	.set _ZL33flash_attn_stream_k_fixup_generalILi112ELi64ELi1EEvPfPK15HIP_vector_typeIfLj2EEiiiiS1_IjLj3EES5_S5_S5_.num_vgpr, 18
	.set _ZL33flash_attn_stream_k_fixup_generalILi112ELi64ELi1EEvPfPK15HIP_vector_typeIfLj2EEiiiiS1_IjLj3EES5_S5_S5_.num_agpr, 0
	.set _ZL33flash_attn_stream_k_fixup_generalILi112ELi64ELi1EEvPfPK15HIP_vector_typeIfLj2EEiiiiS1_IjLj3EES5_S5_S5_.numbered_sgpr, 36
	.set _ZL33flash_attn_stream_k_fixup_generalILi112ELi64ELi1EEvPfPK15HIP_vector_typeIfLj2EEiiiiS1_IjLj3EES5_S5_S5_.num_named_barrier, 0
	.set _ZL33flash_attn_stream_k_fixup_generalILi112ELi64ELi1EEvPfPK15HIP_vector_typeIfLj2EEiiiiS1_IjLj3EES5_S5_S5_.private_seg_size, 0
	.set _ZL33flash_attn_stream_k_fixup_generalILi112ELi64ELi1EEvPfPK15HIP_vector_typeIfLj2EEiiiiS1_IjLj3EES5_S5_S5_.uses_vcc, 1
	.set _ZL33flash_attn_stream_k_fixup_generalILi112ELi64ELi1EEvPfPK15HIP_vector_typeIfLj2EEiiiiS1_IjLj3EES5_S5_S5_.uses_flat_scratch, 0
	.set _ZL33flash_attn_stream_k_fixup_generalILi112ELi64ELi1EEvPfPK15HIP_vector_typeIfLj2EEiiiiS1_IjLj3EES5_S5_S5_.has_dyn_sized_stack, 0
	.set _ZL33flash_attn_stream_k_fixup_generalILi112ELi64ELi1EEvPfPK15HIP_vector_typeIfLj2EEiiiiS1_IjLj3EES5_S5_S5_.has_recursion, 0
	.set _ZL33flash_attn_stream_k_fixup_generalILi112ELi64ELi1EEvPfPK15HIP_vector_typeIfLj2EEiiiiS1_IjLj3EES5_S5_S5_.has_indirect_call, 0
	.section	.AMDGPU.csdata,"",@progbits
; Kernel info:
; codeLenInByte = 2936
; TotalNumSgprs: 42
; NumVgprs: 18
; NumAgprs: 0
; TotalNumVgprs: 18
; ScratchSize: 0
; MemoryBound: 0
; FloatMode: 240
; IeeeMode: 1
; LDSByteSize: 0 bytes/workgroup (compile time only)
; SGPRBlocks: 5
; VGPRBlocks: 2
; NumSGPRsForWavesPerEU: 42
; NumVGPRsForWavesPerEU: 18
; AccumOffset: 20
; Occupancy: 8
; WaveLimiterHint : 0
; COMPUTE_PGM_RSRC2:SCRATCH_EN: 0
; COMPUTE_PGM_RSRC2:USER_SGPR: 2
; COMPUTE_PGM_RSRC2:TRAP_HANDLER: 0
; COMPUTE_PGM_RSRC2:TGID_X_EN: 1
; COMPUTE_PGM_RSRC2:TGID_Y_EN: 1
; COMPUTE_PGM_RSRC2:TGID_Z_EN: 1
; COMPUTE_PGM_RSRC2:TIDIG_COMP_CNT: 0
; COMPUTE_PGM_RSRC3_GFX90A:ACCUM_OFFSET: 4
; COMPUTE_PGM_RSRC3_GFX90A:TG_SPLIT: 0
	.section	.text._ZL26flash_attn_combine_resultsILi112EEvPKfPK15HIP_vector_typeIfLj2EEPfi,"axG",@progbits,_ZL26flash_attn_combine_resultsILi112EEvPKfPK15HIP_vector_typeIfLj2EEPfi,comdat
	.globl	_ZL26flash_attn_combine_resultsILi112EEvPKfPK15HIP_vector_typeIfLj2EEPfi ; -- Begin function _ZL26flash_attn_combine_resultsILi112EEvPKfPK15HIP_vector_typeIfLj2EEPfi
	.p2align	8
	.type	_ZL26flash_attn_combine_resultsILi112EEvPKfPK15HIP_vector_typeIfLj2EEPfi,@function
_ZL26flash_attn_combine_resultsILi112EEvPKfPK15HIP_vector_typeIfLj2EEPfi: ; @_ZL26flash_attn_combine_resultsILi112EEvPKfPK15HIP_vector_typeIfLj2EEPfi
; %bb.0:
	s_load_dwordx2 s[6:7], s[0:1], 0x20
	s_load_dword s23, s[0:1], 0x18
	s_load_dwordx4 s[16:19], s[0:1], 0x0
	s_load_dwordx2 s[14:15], s[0:1], 0x10
	s_waitcnt lgkmcnt(0)
	s_mul_i32 s0, s6, s4
	s_add_i32 s0, s0, s2
	s_mul_i32 s22, s0, s7
	s_add_i32 s22, s22, s3
	s_lshl_b32 s12, s23, 1
	s_mul_i32 s2, s22, s23
	v_cmp_gt_i32_e32 vcc, s12, v0
	s_and_saveexec_b64 s[0:1], vcc
	s_cbranch_execz .LBB23_13
; %bb.1:
	v_xad_u32 v1, v0, -1, s12
	s_movk_i32 s4, 0x6f
	s_ashr_i32 s3, s2, 31
	v_cmp_lt_u32_e32 vcc, s4, v1
	s_mov_b64 s[6:7], -1
	v_mov_b32_e32 v2, v0
	s_and_saveexec_b64 s[4:5], vcc
	s_cbranch_execz .LBB23_10
; %bb.2:
	v_lshrrev_b32_e32 v1, 4, v1
	s_mov_b32 s6, 0x24924925
	v_mul_hi_u32 v6, v1, s6
	s_lshl_b64 s[6:7], s[2:3], 3
	v_add_u32_e32 v2, -1, v6
	s_add_u32 s6, s18, s6
	v_add_u32_e32 v1, 0x70, v0
	v_lshrrev_b32_e32 v3, 1, v2
	s_addc_u32 s7, s19, s7
	v_add_u32_e32 v7, 1, v3
	v_cmp_lt_u32_e32 vcc, 13, v2
	v_mov_b32_e32 v4, 0
	v_mov_b64_e32 v[2:3], v[0:1]
	s_and_saveexec_b64 s[8:9], vcc
	s_cbranch_execz .LBB23_6
; %bb.3:
	v_and_b32_e32 v8, -8, v7
	s_mov_b32 s13, 0
	v_lshl_add_u32 v9, v0, 2, 0
	s_mov_b64 s[10:11], 0
	v_mov_b32_e32 v5, 0
	v_mov_b64_e32 v[2:3], v[0:1]
.LBB23_4:                               ; =>This Inner Loop Header: Depth=1
	v_mov_b32_e32 v4, v2
	v_lshl_add_u64 v[24:25], v[4:5], 2, s[6:7]
	v_mov_b32_e32 v4, v3
	v_add_u32_e32 v10, 0xe0, v3
	v_mov_b32_e32 v11, v5
	v_lshl_add_u64 v[26:27], v[4:5], 2, s[6:7]
	v_add_u32_e32 v4, 0xe0, v2
	v_lshl_add_u64 v[10:11], v[10:11], 2, s[6:7]
	global_load_dword v1, v[24:25], off
	v_lshl_add_u64 v[24:25], v[4:5], 2, s[6:7]
	v_add_u32_e32 v4, 0x1c0, v2
	global_load_dword v28, v[26:27], off
	global_load_dword v29, v[24:25], off
	;; [unrolled: 1-line block ×3, first 2 shown]
	v_lshl_add_u64 v[10:11], v[4:5], 2, s[6:7]
	v_add_u32_e32 v4, 0x2a0, v2
	v_add_u32_e32 v12, 0x1c0, v3
	v_mov_b32_e32 v13, v5
	v_add_u32_e32 v14, 0x2a0, v3
	v_mov_b32_e32 v15, v5
	v_lshl_add_u64 v[24:25], v[4:5], 2, s[6:7]
	v_add_u32_e32 v4, 0x380, v2
	v_lshl_add_u64 v[12:13], v[12:13], 2, s[6:7]
	v_lshl_add_u64 v[14:15], v[14:15], 2, s[6:7]
	global_load_dword v26, v[10:11], off
	global_load_dword v27, v[12:13], off
	;; [unrolled: 1-line block ×4, first 2 shown]
	v_lshl_add_u64 v[10:11], v[4:5], 2, s[6:7]
	v_add_u32_e32 v4, 0x460, v2
	v_add_u32_e32 v16, 0x380, v3
	v_mov_b32_e32 v17, v5
	v_add_u32_e32 v18, 0x460, v3
	v_mov_b32_e32 v19, v5
	v_lshl_add_u64 v[12:13], v[4:5], 2, s[6:7]
	v_add_u32_e32 v4, 0x540, v2
	v_add_u32_e32 v20, 0x540, v3
	v_mov_b32_e32 v21, v5
	v_add_u32_e32 v22, 0x620, v3
	v_mov_b32_e32 v23, v5
	v_lshl_add_u64 v[16:17], v[16:17], 2, s[6:7]
	v_lshl_add_u64 v[18:19], v[18:19], 2, s[6:7]
	global_load_dword v14, v[10:11], off
	global_load_dword v15, v[16:17], off
	;; [unrolled: 1-line block ×4, first 2 shown]
	v_lshl_add_u64 v[10:11], v[4:5], 2, s[6:7]
	v_add_u32_e32 v4, 0x620, v2
	v_lshl_add_u64 v[20:21], v[20:21], 2, s[6:7]
	v_lshl_add_u64 v[22:23], v[22:23], 2, s[6:7]
	;; [unrolled: 1-line block ×3, first 2 shown]
	global_load_dword v16, v[10:11], off
	global_load_dword v17, v[20:21], off
	;; [unrolled: 1-line block ×4, first 2 shown]
	v_add_u32_e32 v8, -8, v8
	s_add_i32 s13, s13, 16
	v_cmp_eq_u32_e32 vcc, 0, v8
	v_add_u32_e32 v10, 0x200, v9
	v_add_u32_e32 v11, 0x600, v9
	;; [unrolled: 1-line block ×8, first 2 shown]
	v_mov_b32_e32 v4, s13
	s_or_b64 s[10:11], vcc, s[10:11]
	v_add_u32_e32 v2, 0x700, v2
	s_waitcnt vmcnt(14)
	ds_write2_b32 v9, v1, v28 offset1:112
	v_add_u32_e32 v9, 0x1c00, v9
	s_waitcnt vmcnt(12)
	ds_write2_b32 v10, v29, v30 offset0:96 offset1:208
	s_waitcnt vmcnt(10)
	ds_write2_b32 v11, v26, v27 offset0:64 offset1:176
	;; [unrolled: 2-line block ×7, first 2 shown]
	s_andn2_b64 exec, exec, s[10:11]
	s_cbranch_execnz .LBB23_4
; %bb.5:
	s_or_b64 exec, exec, s[10:11]
.LBB23_6:
	s_or_b64 exec, exec, s[8:9]
	v_and_b32_e32 v1, 7, v7
	v_cmp_ne_u32_e32 vcc, 0, v1
	s_and_saveexec_b64 s[8:9], vcc
	s_cbranch_execz .LBB23_9
; %bb.7:
	s_movk_i32 s10, 0x1c0
	v_mul_lo_u32 v4, v4, s10
	v_lshlrev_b32_e32 v5, 2, v0
	v_add3_u32 v7, v4, v5, 0
	s_mov_b64 s[10:11], 0
	v_mov_b32_e32 v5, 0
.LBB23_8:                               ; =>This Inner Loop Header: Depth=1
	v_mov_b32_e32 v4, v2
	v_lshl_add_u64 v[8:9], v[4:5], 2, s[6:7]
	v_mov_b32_e32 v4, v3
	v_lshl_add_u64 v[10:11], v[4:5], 2, s[6:7]
	global_load_dword v4, v[8:9], off
	global_load_dword v12, v[10:11], off
	v_add_u32_e32 v1, -1, v1
	v_cmp_eq_u32_e32 vcc, 0, v1
	v_add_u32_e32 v2, 0xe0, v2
	v_add_u32_e32 v3, 0xe0, v3
	s_or_b64 s[10:11], vcc, s[10:11]
	s_waitcnt vmcnt(0)
	ds_write2_b32 v7, v4, v12 offset1:112
	v_add_u32_e32 v7, 0x380, v7
	s_andn2_b64 exec, exec, s[10:11]
	s_cbranch_execnz .LBB23_8
.LBB23_9:
	s_or_b64 exec, exec, s[8:9]
	v_add_u32_e32 v1, 1, v6
	v_and_b32_e32 v4, 0x7fffffe, v1
	s_movk_i32 s6, 0x70
	v_mad_u64_u32 v[2:3], s[6:7], v4, s6, v[0:1]
	v_cmp_ne_u32_e32 vcc, v1, v4
	s_orn2_b64 s[6:7], vcc, exec
.LBB23_10:
	s_or_b64 exec, exec, s[4:5]
	s_and_b64 exec, exec, s[6:7]
	s_cbranch_execz .LBB23_13
; %bb.11:
	s_lshl_b64 s[4:5], s[2:3], 3
	s_add_u32 s4, s18, s4
	v_mov_b32_e32 v3, 0
	s_addc_u32 s5, s19, s5
	v_lshl_add_u64 v[4:5], v[2:3], 2, s[4:5]
	v_lshl_add_u32 v1, v2, 2, 0
	s_mov_b64 s[4:5], 0
	s_mov_b64 s[6:7], 0x1c0
.LBB23_12:                              ; =>This Inner Loop Header: Depth=1
	global_load_dword v3, v[4:5], off
	v_add_u32_e32 v2, 0x70, v2
	v_cmp_le_i32_e32 vcc, s12, v2
	v_lshl_add_u64 v[4:5], v[4:5], 0, s[6:7]
	s_or_b64 s[4:5], vcc, s[4:5]
	s_waitcnt vmcnt(0)
	ds_write_b32 v1, v3
	v_add_u32_e32 v1, 0x1c0, v1
	s_andn2_b64 exec, exec, s[4:5]
	s_cbranch_execnz .LBB23_12
.LBB23_13:
	s_or_b64 exec, exec, s[0:1]
	v_mov_b32_e32 v1, 0
	s_waitcnt lgkmcnt(0)
	s_barrier
	ds_read_b32 v1, v1
	s_cmp_lt_i32 s23, 2
	s_cbranch_scc1 .LBB23_21
; %bb.14:
	s_cmp_eq_u32 s23, 2
	s_cbranch_scc1 .LBB23_18
; %bb.15:
	s_add_i32 s3, s23, -1
	s_and_b32 s4, s3, -2
	s_add_i32 s6, 0, 8
	s_mov_b32 s5, 2
	s_waitcnt lgkmcnt(0)
	v_mov_b32_e32 v4, v1
.LBB23_16:                              ; =>This Inner Loop Header: Depth=1
	v_mov_b32_e32 v2, v1
	v_mov_b32_e32 v1, s6
	;; [unrolled: 1-line block ×3, first 2 shown]
	ds_read2_b32 v[4:5], v1 offset1:2
	s_cmp_lg_u32 s4, s5
	s_cselect_b64 s[8:9], -1, 0
	v_max_f32_e32 v1, v3, v3
	v_max_f32_e32 v6, v2, v2
	s_waitcnt lgkmcnt(0)
	v_cmp_u_f32_e32 vcc, v5, v5
	v_max_f32_e32 v7, v5, v5
	v_max_f32_e32 v8, v4, v4
	v_cndmask_b32_e64 v5, 0, 1, vcc
	v_cmp_u_f32_e32 vcc, v4, v4
	v_readfirstlane_b32 s0, v5
	s_lshl_b32 s0, s0, 1
	v_cndmask_b32_e64 v9, 0, 1, vcc
	v_max_f32_e32 v4, v1, v7
	v_readfirstlane_b32 s1, v9
	s_or_b32 s0, s1, s0
	s_and_b32 s7, s0, 3
	s_cmp_lg_u32 s7, 0
	s_cselect_b64 s[0:1], -1, 0
	s_cmp_eq_u32 s7, 0
	s_cselect_b64 s[10:11], -1, 0
	s_and_b64 s[8:9], s[10:11], s[8:9]
	v_max_f32_e32 v1, v6, v8
	s_add_i32 s5, s5, 2
	s_add_i32 s6, s6, 16
	s_and_b64 vcc, exec, s[8:9]
	s_cbranch_vccnz .LBB23_16
; %bb.17:
	s_add_i32 s5, s5, -4
	s_and_b64 s[6:7], s[0:1], exec
	s_cselect_b32 s5, s5, s3
	s_or_b32 s5, s5, 1
	v_cndmask_b32_e64 v1, v1, v2, s[0:1]
	v_cndmask_b32_e64 v2, v4, v3, s[0:1]
	s_cmp_lg_u32 s3, s4
	v_max_f32_e32 v2, v2, v2
	v_max_f32_e32 v1, v1, v1
	s_cselect_b64 s[6:7], -1, 0
	v_max_f32_e32 v1, v1, v2
	s_or_b64 s[0:1], s[6:7], s[0:1]
	s_and_b64 vcc, exec, s[0:1]
	s_cbranch_vccnz .LBB23_19
	s_branch .LBB23_21
.LBB23_18:
	s_mov_b32 s5, 1
	s_cbranch_execz .LBB23_21
.LBB23_19:
	s_lshl_b32 s1, s5, 3
	s_sub_i32 s0, s23, s5
	s_add_i32 s1, s1, 0
.LBB23_20:                              ; =>This Inner Loop Header: Depth=1
	v_mov_b32_e32 v2, s1
	ds_read_b32 v2, v2
	s_waitcnt lgkmcnt(1)
	v_max_f32_e32 v1, v1, v1
	s_add_i32 s0, s0, -1
	s_add_i32 s1, s1, 8
	s_cmp_eq_u32 s0, 0
	s_waitcnt lgkmcnt(0)
	v_max_f32_e32 v2, v2, v2
	v_max_f32_e32 v1, v1, v2
	s_cbranch_scc0 .LBB23_20
.LBB23_21:
	s_cmp_lt_i32 s23, 1
	s_cbranch_scc1 .LBB23_26
; %bb.22:
	s_mul_i32 s18, s2, 0x70
	s_ashr_i32 s19, s18, 31
	s_cmp_lt_u32 s23, 8
	s_cbranch_scc1 .LBB23_27
; %bb.23:
	s_lshl_b64 s[0:1], s[18:19], 2
	s_add_u32 s20, s16, s0
	v_mov_b32_e32 v7, 0
	s_addc_u32 s21, s17, s1
	s_and_b32 s24, s23, 0x7ffffff8
	v_add_u32_e32 v4, 0x1c0, v0
	s_mov_b32 s25, 0
	s_mov_b32 s26, 0x3fb8aa3b
	s_mov_b32 s27, 0xc2ce8ed0
	s_mov_b32 s28, 0x42b17218
	v_mov_b32_e32 v8, 0x7f800000
	s_mov_b32 s29, 0
	v_mov_b32_e32 v2, v7
	v_mov_b32_e32 v3, v7
.LBB23_24:                              ; =>This Inner Loop Header: Depth=1
	v_add_u32_e32 v6, 0xfffffe40, v4
	v_mov_b32_e32 v9, s25
	v_lshl_add_u64 v[26:27], v[6:7], 2, s[20:21]
	v_add_u32_e32 v6, 0xfffffeb0, v4
	ds_read2_b64 v[10:13], v9 offset1:1
	ds_read2_b64 v[14:17], v9 offset0:2 offset1:3
	ds_read2_b64 v[18:21], v9 offset0:4 offset1:5
	;; [unrolled: 1-line block ×3, first 2 shown]
	v_lshl_add_u64 v[30:31], v[6:7], 2, s[20:21]
	v_add_u32_e32 v6, 0xffffff20, v4
	global_load_dword v33, v[26:27], off
	global_load_dword v35, v[30:31], off
	v_lshl_add_u64 v[26:27], v[6:7], 2, s[20:21]
	v_add_u32_e32 v6, 0xffffff90, v4
	v_mov_b32_e32 v5, v7
	v_lshl_add_u64 v[30:31], v[6:7], 2, s[20:21]
	v_add_u32_e32 v6, 0x70, v4
	v_lshl_add_u64 v[28:29], v[4:5], 2, s[20:21]
	global_load_dword v37, v[26:27], off
	global_load_dword v39, v[30:31], off
	;; [unrolled: 1-line block ×3, first 2 shown]
	v_lshl_add_u64 v[26:27], v[6:7], 2, s[20:21]
	v_add_u32_e32 v6, 0xe0, v4
	s_waitcnt lgkmcnt(3)
	v_mov_b32_e32 v32, v11
	v_sub_f32_e32 v9, v12, v1
	v_mov_b32_e32 v34, v13
	global_load_dword v11, v[26:27], off
	v_lshl_add_u64 v[12:13], v[6:7], 2, s[20:21]
	v_add_u32_e32 v6, 0x150, v4
	s_waitcnt lgkmcnt(2)
	v_mov_b32_e32 v36, v15
	global_load_dword v15, v[12:13], off
	v_lshl_add_u64 v[12:13], v[6:7], 2, s[20:21]
	v_mov_b32_e32 v38, v17
	global_load_dword v17, v[12:13], off
	v_sub_f32_e32 v5, v10, v1
	s_waitcnt lgkmcnt(1)
	v_mov_b32_e32 v40, v19
	v_sub_f32_e32 v19, v20, v1
	s_waitcnt lgkmcnt(0)
	v_sub_f32_e32 v20, v22, v1
	v_mul_f32_e32 v22, 0x3fb8aa3b, v5
	v_sub_f32_e32 v28, v14, v1
	v_sub_f32_e32 v29, v16, v1
	v_mov_b32_e32 v14, v23
	v_mul_f32_e32 v23, 0x3fb8aa3b, v9
	v_fma_f32 v6, v5, s26, -v22
	v_rndne_f32_e32 v42, v22
	v_sub_f32_e32 v18, v18, v1
	v_mov_b32_e32 v10, v21
	v_sub_f32_e32 v21, v24, v1
	v_mov_b32_e32 v16, v25
	v_mul_f32_e32 v24, 0x3fb8aa3b, v28
	v_mul_f32_e32 v25, 0x3fb8aa3b, v29
	v_fma_f32 v43, v9, s26, -v23
	v_rndne_f32_e32 v44, v23
	v_fmac_f32_e32 v6, 0x32a5705f, v5
	v_sub_f32_e32 v12, v22, v42
	v_mul_f32_e32 v26, 0x3fb8aa3b, v18
	v_mul_f32_e32 v27, 0x3fb8aa3b, v19
	;; [unrolled: 1-line block ×3, first 2 shown]
	v_fma_f32 v45, v28, s26, -v24
	v_rndne_f32_e32 v46, v24
	v_fma_f32 v47, v29, s26, -v25
	v_rndne_f32_e32 v48, v25
	v_fmac_f32_e32 v43, 0x32a5705f, v9
	v_sub_f32_e32 v22, v23, v44
	v_add_f32_e32 v6, v12, v6
	v_fma_f32 v49, v18, s26, -v26
	v_rndne_f32_e32 v50, v26
	v_fma_f32 v51, v19, s26, -v27
	v_rndne_f32_e32 v52, v27
	;; [unrolled: 2-line block ×3, first 2 shown]
	v_cvt_i32_f32_e32 v13, v42
	v_fmac_f32_e32 v45, 0x32a5705f, v28
	v_sub_f32_e32 v24, v24, v46
	v_fmac_f32_e32 v47, 0x32a5705f, v29
	v_sub_f32_e32 v25, v25, v48
	v_add_f32_e32 v12, v22, v43
	v_exp_f32_e32 v6, v6
	v_cvt_i32_f32_e32 v23, v44
	v_fmac_f32_e32 v49, 0x32a5705f, v18
	v_sub_f32_e32 v26, v26, v50
	v_fmac_f32_e32 v51, 0x32a5705f, v19
	v_sub_f32_e32 v27, v27, v52
	;; [unrolled: 2-line block ×3, first 2 shown]
	v_add_f32_e32 v22, v24, v45
	v_add_f32_e32 v24, v25, v47
	v_exp_f32_e32 v12, v12
	v_mul_f32_e32 v31, 0x3fb8aa3b, v21
	v_cvt_i32_f32_e32 v42, v46
	v_cvt_i32_f32_e32 v44, v48
	v_add_f32_e32 v25, v26, v49
	v_add_f32_e32 v26, v27, v51
	;; [unrolled: 1-line block ×3, first 2 shown]
	v_exp_f32_e32 v22, v22
	v_exp_f32_e32 v24, v24
	v_fma_f32 v55, v21, s26, -v31
	v_rndne_f32_e32 v56, v31
	v_cvt_i32_f32_e32 v46, v50
	v_cvt_i32_f32_e32 v48, v52
	v_cvt_i32_f32_e32 v50, v54
	v_exp_f32_e32 v25, v25
	v_exp_f32_e32 v26, v26
	;; [unrolled: 1-line block ×3, first 2 shown]
	v_fmac_f32_e32 v55, 0x32a5705f, v21
	v_sub_f32_e32 v31, v31, v56
	v_ldexp_f32 v6, v6, v13
	v_cmp_ngt_f32_e64 s[12:13], s27, v5
	v_add_f32_e32 v30, v31, v55
	v_ldexp_f32 v12, v12, v23
	v_cmp_ngt_f32_e32 vcc, s27, v9
	v_cndmask_b32_e64 v6, 0, v6, s[12:13]
	v_cmp_nlt_f32_e64 s[12:13], s28, v5
	v_cvt_i32_f32_e32 v52, v56
	v_exp_f32_e32 v30, v30
	v_ldexp_f32 v13, v22, v42
	v_cmp_ngt_f32_e64 s[0:1], s27, v28
	v_ldexp_f32 v22, v24, v44
	v_cmp_ngt_f32_e64 s[2:3], s27, v29
	v_cndmask_b32_e32 v12, 0, v12, vcc
	v_cmp_nlt_f32_e32 vcc, s28, v9
	v_cndmask_b32_e64 v6, v8, v6, s[12:13]
	v_ldexp_f32 v23, v25, v46
	v_cmp_ngt_f32_e64 s[4:5], s27, v18
	v_ldexp_f32 v24, v26, v48
	v_cmp_ngt_f32_e64 s[6:7], s27, v19
	;; [unrolled: 2-line block ×3, first 2 shown]
	v_cndmask_b32_e64 v9, 0, v13, s[0:1]
	v_cmp_nlt_f32_e64 s[0:1], s28, v28
	v_cndmask_b32_e64 v13, 0, v22, s[2:3]
	v_cndmask_b32_e32 v12, v8, v12, vcc
	s_waitcnt vmcnt(7)
	v_pk_fma_f32 v[2:3], v[6:7], v[32:33], v[2:3] op_sel_hi:[0,1,1]
	v_cmp_nlt_f32_e64 s[2:3], s28, v29
	v_cndmask_b32_e64 v22, 0, v23, s[4:5]
	v_cmp_nlt_f32_e64 s[4:5], s28, v18
	v_cndmask_b32_e64 v23, 0, v24, s[6:7]
	;; [unrolled: 2-line block ×3, first 2 shown]
	v_cndmask_b32_e64 v18, v8, v9, s[0:1]
	s_waitcnt vmcnt(6)
	v_pk_fma_f32 v[2:3], v[12:13], v[34:35], v[2:3] op_sel_hi:[0,1,1]
	v_cmp_nlt_f32_e64 s[8:9], s28, v20
	v_cndmask_b32_e64 v20, v8, v13, s[2:3]
	s_waitcnt vmcnt(5)
	v_pk_fma_f32 v[2:3], v[18:19], v[36:37], v[2:3] op_sel_hi:[0,1,1]
	v_ldexp_f32 v26, v30, v52
	v_cmp_ngt_f32_e64 s[10:11], s27, v21
	v_cndmask_b32_e64 v22, v8, v22, s[4:5]
	s_waitcnt vmcnt(4)
	v_pk_fma_f32 v[2:3], v[20:21], v[38:39], v[2:3] op_sel_hi:[0,1,1]
	v_cndmask_b32_e64 v25, 0, v26, s[10:11]
	v_cndmask_b32_e64 v24, v8, v23, s[6:7]
	s_waitcnt vmcnt(3)
	v_pk_fma_f32 v[2:3], v[22:23], v[40:41], v[2:3] op_sel_hi:[0,1,1]
	v_cmp_nlt_f32_e64 s[10:11], s28, v21
	v_cndmask_b32_e64 v26, v8, v19, s[8:9]
	s_waitcnt vmcnt(2)
	v_pk_fma_f32 v[2:3], v[24:25], v[10:11], v[2:3] op_sel_hi:[0,1,1]
	s_add_i32 s29, s29, 8
	s_add_i32 s25, s25, 64
	v_cndmask_b32_e64 v28, v8, v25, s[10:11]
	s_waitcnt vmcnt(1)
	v_pk_fma_f32 v[2:3], v[26:27], v[14:15], v[2:3] op_sel_hi:[0,1,1]
	s_cmp_eq_u32 s24, s29
	v_add_u32_e32 v4, 0x380, v4
	s_waitcnt vmcnt(0)
	v_pk_fma_f32 v[2:3], v[28:29], v[16:17], v[2:3] op_sel_hi:[0,1,1]
	s_cbranch_scc0 .LBB23_24
; %bb.25:
	s_and_b32 s2, s23, 7
	s_cmp_eq_u32 s2, 0
	s_cbranch_scc0 .LBB23_28
	s_branch .LBB23_30
.LBB23_26:
	s_waitcnt lgkmcnt(0)
	v_mov_b32_e32 v1, 0x7fc00000
	s_branch .LBB23_31
.LBB23_27:
	v_mov_b32_e32 v2, 0
	s_mov_b32 s24, 0
	v_mov_b32_e32 v3, v2
	s_and_b32 s2, s23, 7
	s_cmp_eq_u32 s2, 0
	s_cbranch_scc1 .LBB23_30
.LBB23_28:
	s_lshl_b64 s[0:1], s[18:19], 2
	s_mul_i32 s3, s24, 0x70
	s_add_u32 s0, s16, s0
	v_add_u32_e32 v4, s3, v0
	v_mov_b32_e32 v5, 0
	s_addc_u32 s1, s17, s1
	v_lshl_add_u64 v[4:5], v[4:5], 2, s[0:1]
	s_lshl_b32 s0, s24, 3
	s_add_i32 s3, s0, 0
	s_mov_b32 s4, 0x3fb8aa3b
	s_mov_b32 s5, 0xc2ce8ed0
	;; [unrolled: 1-line block ×3, first 2 shown]
	v_mov_b32_e32 v6, 0x7f800000
	s_mov_b64 s[0:1], 0x1c0
.LBB23_29:                              ; =>This Inner Loop Header: Depth=1
	global_load_dword v9, v[4:5], off
	v_mov_b32_e32 v7, s3
	ds_read_b64 v[10:11], v7
	s_add_i32 s3, s3, 8
	s_add_i32 s2, s2, -1
	v_lshl_add_u64 v[4:5], v[4:5], 0, s[0:1]
	s_cmp_lg_u32 s2, 0
	s_waitcnt lgkmcnt(0)
	v_sub_f32_e32 v7, v10, v1
	v_mul_f32_e32 v8, 0x3fb8aa3b, v7
	v_fma_f32 v10, v7, s4, -v8
	v_rndne_f32_e32 v12, v8
	v_fmac_f32_e32 v10, 0x32a5705f, v7
	v_sub_f32_e32 v8, v8, v12
	v_add_f32_e32 v8, v8, v10
	v_cvt_i32_f32_e32 v12, v12
	v_exp_f32_e32 v10, v8
	v_cmp_ngt_f32_e32 vcc, s5, v7
	v_mov_b32_e32 v8, v11
	v_ldexp_f32 v10, v10, v12
	v_cndmask_b32_e32 v10, 0, v10, vcc
	v_cmp_nlt_f32_e32 vcc, s6, v7
	s_nop 1
	v_cndmask_b32_e32 v10, v6, v10, vcc
	s_waitcnt vmcnt(0)
	v_pk_fma_f32 v[2:3], v[10:11], v[8:9], v[2:3] op_sel_hi:[0,1,1]
	s_cbranch_scc1 .LBB23_29
.LBB23_30:
	s_waitcnt lgkmcnt(0)
	v_div_scale_f32 v1, s[0:1], v2, v2, v3
	v_rcp_f32_e32 v4, v1
	v_div_scale_f32 v5, vcc, v3, v2, v3
	v_fma_f32 v6, -v1, v4, 1.0
	v_fmac_f32_e32 v4, v6, v4
	v_mul_f32_e32 v6, v5, v4
	v_fma_f32 v7, -v1, v6, v5
	v_fmac_f32_e32 v6, v7, v4
	v_fma_f32 v1, -v1, v6, v5
	v_div_fmas_f32 v1, v1, v4, v6
	v_div_fixup_f32 v1, v1, v2, v3
.LBB23_31:
	s_mul_i32 s0, s22, 0x70
	s_ashr_i32 s1, s0, 31
	s_lshl_b64 s[0:1], s[0:1], 2
	s_add_u32 s0, s14, s0
	s_addc_u32 s1, s15, s1
	v_lshlrev_b32_e32 v0, 2, v0
	global_store_dword v0, v1, s[0:1]
	s_endpgm
	.section	.rodata,"a",@progbits
	.p2align	6, 0x0
	.amdhsa_kernel _ZL26flash_attn_combine_resultsILi112EEvPKfPK15HIP_vector_typeIfLj2EEPfi
		.amdhsa_group_segment_fixed_size 0
		.amdhsa_private_segment_fixed_size 0
		.amdhsa_kernarg_size 288
		.amdhsa_user_sgpr_count 2
		.amdhsa_user_sgpr_dispatch_ptr 0
		.amdhsa_user_sgpr_queue_ptr 0
		.amdhsa_user_sgpr_kernarg_segment_ptr 1
		.amdhsa_user_sgpr_dispatch_id 0
		.amdhsa_user_sgpr_kernarg_preload_length 0
		.amdhsa_user_sgpr_kernarg_preload_offset 0
		.amdhsa_user_sgpr_private_segment_size 0
		.amdhsa_uses_dynamic_stack 0
		.amdhsa_enable_private_segment 0
		.amdhsa_system_sgpr_workgroup_id_x 1
		.amdhsa_system_sgpr_workgroup_id_y 1
		.amdhsa_system_sgpr_workgroup_id_z 1
		.amdhsa_system_sgpr_workgroup_info 0
		.amdhsa_system_vgpr_workitem_id 0
		.amdhsa_next_free_vgpr 57
		.amdhsa_next_free_sgpr 30
		.amdhsa_accum_offset 60
		.amdhsa_reserve_vcc 1
		.amdhsa_float_round_mode_32 0
		.amdhsa_float_round_mode_16_64 0
		.amdhsa_float_denorm_mode_32 3
		.amdhsa_float_denorm_mode_16_64 3
		.amdhsa_dx10_clamp 1
		.amdhsa_ieee_mode 1
		.amdhsa_fp16_overflow 0
		.amdhsa_tg_split 0
		.amdhsa_exception_fp_ieee_invalid_op 0
		.amdhsa_exception_fp_denorm_src 0
		.amdhsa_exception_fp_ieee_div_zero 0
		.amdhsa_exception_fp_ieee_overflow 0
		.amdhsa_exception_fp_ieee_underflow 0
		.amdhsa_exception_fp_ieee_inexact 0
		.amdhsa_exception_int_div_zero 0
	.end_amdhsa_kernel
	.section	.text._ZL26flash_attn_combine_resultsILi112EEvPKfPK15HIP_vector_typeIfLj2EEPfi,"axG",@progbits,_ZL26flash_attn_combine_resultsILi112EEvPKfPK15HIP_vector_typeIfLj2EEPfi,comdat
.Lfunc_end23:
	.size	_ZL26flash_attn_combine_resultsILi112EEvPKfPK15HIP_vector_typeIfLj2EEPfi, .Lfunc_end23-_ZL26flash_attn_combine_resultsILi112EEvPKfPK15HIP_vector_typeIfLj2EEPfi
                                        ; -- End function
	.set _ZL26flash_attn_combine_resultsILi112EEvPKfPK15HIP_vector_typeIfLj2EEPfi.num_vgpr, 57
	.set _ZL26flash_attn_combine_resultsILi112EEvPKfPK15HIP_vector_typeIfLj2EEPfi.num_agpr, 0
	.set _ZL26flash_attn_combine_resultsILi112EEvPKfPK15HIP_vector_typeIfLj2EEPfi.numbered_sgpr, 30
	.set _ZL26flash_attn_combine_resultsILi112EEvPKfPK15HIP_vector_typeIfLj2EEPfi.num_named_barrier, 0
	.set _ZL26flash_attn_combine_resultsILi112EEvPKfPK15HIP_vector_typeIfLj2EEPfi.private_seg_size, 0
	.set _ZL26flash_attn_combine_resultsILi112EEvPKfPK15HIP_vector_typeIfLj2EEPfi.uses_vcc, 1
	.set _ZL26flash_attn_combine_resultsILi112EEvPKfPK15HIP_vector_typeIfLj2EEPfi.uses_flat_scratch, 0
	.set _ZL26flash_attn_combine_resultsILi112EEvPKfPK15HIP_vector_typeIfLj2EEPfi.has_dyn_sized_stack, 0
	.set _ZL26flash_attn_combine_resultsILi112EEvPKfPK15HIP_vector_typeIfLj2EEPfi.has_recursion, 0
	.set _ZL26flash_attn_combine_resultsILi112EEvPKfPK15HIP_vector_typeIfLj2EEPfi.has_indirect_call, 0
	.section	.AMDGPU.csdata,"",@progbits
; Kernel info:
; codeLenInByte = 3040
; TotalNumSgprs: 36
; NumVgprs: 57
; NumAgprs: 0
; TotalNumVgprs: 57
; ScratchSize: 0
; MemoryBound: 0
; FloatMode: 240
; IeeeMode: 1
; LDSByteSize: 0 bytes/workgroup (compile time only)
; SGPRBlocks: 4
; VGPRBlocks: 7
; NumSGPRsForWavesPerEU: 36
; NumVGPRsForWavesPerEU: 57
; AccumOffset: 60
; Occupancy: 8
; WaveLimiterHint : 0
; COMPUTE_PGM_RSRC2:SCRATCH_EN: 0
; COMPUTE_PGM_RSRC2:USER_SGPR: 2
; COMPUTE_PGM_RSRC2:TRAP_HANDLER: 0
; COMPUTE_PGM_RSRC2:TGID_X_EN: 1
; COMPUTE_PGM_RSRC2:TGID_Y_EN: 1
; COMPUTE_PGM_RSRC2:TGID_Z_EN: 1
; COMPUTE_PGM_RSRC2:TIDIG_COMP_CNT: 0
; COMPUTE_PGM_RSRC3_GFX90A:ACCUM_OFFSET: 14
; COMPUTE_PGM_RSRC3_GFX90A:TG_SPLIT: 0
	.section	.text._ZL18flash_attn_ext_f16ILi128ELi128ELi64ELi1ELb0ELb0EEvPKcS1_S1_S1_S1_PKiPfP15HIP_vector_typeIfLj2EEffffjfiS5_IjLj3EEiiiiiiiiiiiliiliiiiil,"axG",@progbits,_ZL18flash_attn_ext_f16ILi128ELi128ELi64ELi1ELb0ELb0EEvPKcS1_S1_S1_S1_PKiPfP15HIP_vector_typeIfLj2EEffffjfiS5_IjLj3EEiiiiiiiiiiiliiliiiiil,comdat
	.globl	_ZL18flash_attn_ext_f16ILi128ELi128ELi64ELi1ELb0ELb0EEvPKcS1_S1_S1_S1_PKiPfP15HIP_vector_typeIfLj2EEffffjfiS5_IjLj3EEiiiiiiiiiiiliiliiiiil ; -- Begin function _ZL18flash_attn_ext_f16ILi128ELi128ELi64ELi1ELb0ELb0EEvPKcS1_S1_S1_S1_PKiPfP15HIP_vector_typeIfLj2EEffffjfiS5_IjLj3EEiiiiiiiiiiiliiliiiiil
	.p2align	8
	.type	_ZL18flash_attn_ext_f16ILi128ELi128ELi64ELi1ELb0ELb0EEvPKcS1_S1_S1_S1_PKiPfP15HIP_vector_typeIfLj2EEffffjfiS5_IjLj3EEiiiiiiiiiiiliiliiiiil,@function
_ZL18flash_attn_ext_f16ILi128ELi128ELi64ELi1ELb0ELb0EEvPKcS1_S1_S1_S1_PKiPfP15HIP_vector_typeIfLj2EEffffjfiS5_IjLj3EEiiiiiiiiiiiliiliiiiil: ; @_ZL18flash_attn_ext_f16ILi128ELi128ELi64ELi1ELb0ELb0EEvPKcS1_S1_S1_S1_PKiPfP15HIP_vector_typeIfLj2EEffffjfiS5_IjLj3EEiiiiiiiiiiiliiliiiiil
; %bb.0:
	s_load_dwordx2 s[10:11], s[0:1], 0x80
	s_load_dwordx4 s[68:71], s[0:1], 0x64
	s_mov_b32 s23, s2
	v_mov_b32_e32 v3, v0
                                        ; implicit-def: $vgpr254 : SGPR spill to VGPR lane
	s_load_dword s24, s[0:1], 0xd0
	s_waitcnt lgkmcnt(0)
	s_abs_i32 s2, s11
	v_cvt_f32_u32_e32 v0, s2
	s_sub_i32 s6, 0, s2
	s_abs_i32 s5, s69
	s_xor_b32 s3, s69, s11
	v_rcp_iflag_f32_e32 v0, v0
	s_ashr_i32 s3, s3, 31
	s_mov_b32 s4, 0
	v_mul_f32_e32 v0, 0x4f7ffffe, v0
	v_cvt_u32_f32_e32 v0, v0
	s_nop 0
	v_readfirstlane_b32 s7, v0
	s_mul_i32 s6, s6, s7
	s_mul_hi_u32 s6, s7, s6
	s_add_i32 s7, s7, s6
	s_mul_hi_u32 s6, s5, s7
	s_mul_i32 s7, s6, s2
	s_sub_i32 s5, s5, s7
	s_add_i32 s8, s6, 1
	s_sub_i32 s7, s5, s2
	s_cmp_ge_u32 s5, s2
	s_cselect_b32 s6, s8, s6
	s_cselect_b32 s5, s7, s5
	s_add_i32 s7, s6, 1
	s_cmp_ge_u32 s5, s2
	s_cselect_b32 s2, s7, s6
	s_add_i32 s5, s10, 63
	s_xor_b32 s2, s2, s3
	s_ashr_i32 s6, s5, 31
	s_sub_i32 s3, s2, s3
	s_lshr_b32 s2, s6, 26
	s_add_i32 s5, s5, s2
	s_add_i32 s2, s68, 63
	s_lshr_b32 s2, s2, 6
	s_ashr_i32 s5, s5, 6
	v_writelane_b32 v254, s2, 0
	v_writelane_b32 v254, s5, 1
	s_mul_i32 s2, s2, s5
	v_writelane_b32 v254, s3, 2
	v_writelane_b32 v254, s2, 3
	s_mul_i32 s3, s2, s3
	s_mov_b32 s2, s10
	v_writelane_b32 v254, s2, 4
	s_nop 1
	v_writelane_b32 v254, s3, 5
	s_mul_i32 s2, s3, s11
	s_mul_i32 s8, s2, s70
	v_writelane_b32 v254, s3, 6
	s_ashr_i32 s9, s8, 31
	v_writelane_b32 v254, s2, 7
	s_mul_i32 s2, s9, s23
	s_mul_hi_u32 s3, s8, s23
	s_add_i32 s5, s3, s2
	s_add_u32 s2, s0, 0xd0
	s_addc_u32 s3, s1, 0
	v_writelane_b32 v254, s2, 8
	s_cmp_lg_u64 s[4:5], 0
	s_mul_i32 s4, s8, s23
	v_writelane_b32 v254, s3, 9
	s_cbranch_scc0 .LBB24_2
; %bb.1:
	s_add_u32 s2, s24, 0
	s_addc_u32 s3, 0, 0
	s_xor_b64 s[6:7], s[2:3], 0
	v_cvt_f32_u32_e32 v0, s6
	v_cvt_f32_u32_e32 v1, s7
	s_sub_u32 s12, 0, s6
	s_subb_u32 s13, 0, s7
	s_mov_b64 s[2:3], 0
	v_fmamk_f32 v0, v1, 0x4f800000, v0
	v_rcp_f32_e32 v0, v0
	s_nop 0
	v_mul_f32_e32 v0, 0x5f7ffffc, v0
	v_mul_f32_e32 v1, 0x2f800000, v0
	v_trunc_f32_e32 v1, v1
	v_fmamk_f32 v0, v1, 0xcf800000, v0
	v_cvt_u32_f32_e32 v1, v1
	v_cvt_u32_f32_e32 v0, v0
	v_readfirstlane_b32 s14, v1
	v_readfirstlane_b32 s10, v0
	s_mul_i32 s11, s12, s14
	s_mul_hi_u32 s16, s12, s10
	s_mul_i32 s15, s13, s10
	s_add_i32 s11, s16, s11
	s_add_i32 s11, s11, s15
	s_mul_i32 s17, s12, s10
	s_mul_i32 s16, s10, s11
	s_mul_hi_u32 s18, s10, s17
	s_mul_hi_u32 s15, s10, s11
	s_add_u32 s16, s18, s16
	s_addc_u32 s15, 0, s15
	s_mul_hi_u32 s19, s14, s17
	s_mul_i32 s17, s14, s17
	s_add_u32 s16, s16, s17
	s_mul_hi_u32 s18, s14, s11
	s_addc_u32 s15, s15, s19
	s_addc_u32 s16, s18, 0
	s_mul_i32 s11, s14, s11
	s_add_u32 s11, s15, s11
	s_addc_u32 s15, 0, s16
	s_add_u32 s16, s10, s11
	s_cselect_b64 s[10:11], -1, 0
	s_cmp_lg_u64 s[10:11], 0
	s_addc_u32 s14, s14, s15
	s_mul_i32 s10, s12, s14
	s_mul_hi_u32 s11, s12, s16
	s_add_i32 s10, s11, s10
	s_mul_i32 s13, s13, s16
	s_add_i32 s10, s10, s13
	s_mul_i32 s12, s12, s16
	s_mul_hi_u32 s13, s14, s12
	s_mul_i32 s15, s14, s12
	s_mul_i32 s18, s16, s10
	s_mul_hi_u32 s12, s16, s12
	s_mul_hi_u32 s17, s16, s10
	s_add_u32 s12, s12, s18
	s_addc_u32 s17, 0, s17
	s_add_u32 s12, s12, s15
	s_mul_hi_u32 s11, s14, s10
	s_addc_u32 s12, s17, s13
	s_addc_u32 s11, s11, 0
	s_mul_i32 s10, s14, s10
	s_add_u32 s10, s12, s10
	s_addc_u32 s12, 0, s11
	s_add_u32 s15, s16, s10
	s_cselect_b64 s[10:11], -1, 0
	s_cmp_lg_u64 s[10:11], 0
	s_addc_u32 s14, s14, s12
	s_ashr_i32 s10, s5, 31
	s_add_u32 s12, s4, s10
	s_mov_b32 s11, s10
	s_addc_u32 s13, s5, s10
	s_xor_b64 s[12:13], s[12:13], s[10:11]
	s_mul_i32 s16, s12, s14
	s_mul_hi_u32 s17, s12, s15
	s_mul_hi_u32 s5, s12, s14
	s_add_u32 s16, s17, s16
	s_addc_u32 s5, 0, s5
	s_mul_hi_u32 s18, s13, s15
	s_mul_i32 s15, s13, s15
	s_add_u32 s15, s16, s15
	s_mul_hi_u32 s17, s13, s14
	s_addc_u32 s5, s5, s18
	s_addc_u32 s15, s17, 0
	s_mul_i32 s14, s13, s14
	s_add_u32 s5, s5, s14
	s_addc_u32 s18, 0, s15
	s_mul_i32 s14, s6, s18
	s_mul_hi_u32 s15, s6, s5
	s_add_i32 s14, s15, s14
	s_mul_i32 s15, s7, s5
	s_add_i32 s19, s14, s15
	s_sub_i32 s16, s13, s19
	s_mul_i32 s14, s6, s5
	s_sub_u32 s12, s12, s14
	s_cselect_b64 s[14:15], -1, 0
	s_cmp_lg_u64 s[14:15], 0
	s_subb_u32 s20, s16, s7
	s_sub_u32 s21, s12, s6
	s_cselect_b64 s[16:17], -1, 0
	s_cmp_lg_u64 s[16:17], 0
	s_subb_u32 s16, s20, 0
	s_cmp_ge_u32 s16, s7
	s_cselect_b32 s17, -1, 0
	s_cmp_ge_u32 s21, s6
	s_cselect_b32 s20, -1, 0
	s_cmp_eq_u32 s16, s7
	s_cselect_b32 s16, s20, s17
	s_add_u32 s17, s5, 1
	s_addc_u32 s20, s18, 0
	s_add_u32 s21, s5, 2
	s_addc_u32 s22, s18, 0
	s_cmp_lg_u32 s16, 0
	s_cselect_b32 s16, s21, s17
	s_cselect_b32 s17, s22, s20
	s_cmp_lg_u64 s[14:15], 0
	s_subb_u32 s13, s13, s19
	s_cmp_ge_u32 s13, s7
	s_cselect_b32 s14, -1, 0
	s_cmp_ge_u32 s12, s6
	s_cselect_b32 s6, -1, 0
	s_cmp_eq_u32 s13, s7
	s_cselect_b32 s6, s6, s14
	s_cmp_lg_u32 s6, 0
	s_cselect_b32 s7, s17, s18
	s_cselect_b32 s6, s16, s5
	s_xor_b64 s[10:11], s[10:11], 0
	s_xor_b64 s[6:7], s[6:7], s[10:11]
	s_sub_u32 s98, s6, s10
	s_branch .LBB24_3
.LBB24_2:
	s_mov_b64 s[2:3], -1
                                        ; implicit-def: $sgpr98_sgpr99
.LBB24_3:
	s_load_dwordx2 s[6:7], s[0:1], 0x74
	v_cvt_f32_u32_e32 v1, s24
	s_andn2_b64 vcc, exec, s[2:3]
	s_waitcnt lgkmcnt(0)
	v_writelane_b32 v254, s6, 10
	s_nop 1
	v_writelane_b32 v254, s7, 11
	s_cbranch_vccnz .LBB24_5
; %bb.4:
	v_rcp_iflag_f32_e32 v0, v1
	s_sub_i32 s2, 0, s24
	v_mul_f32_e32 v0, 0x4f7ffffe, v0
	v_cvt_u32_f32_e32 v0, v0
	s_nop 0
	v_readfirstlane_b32 s3, v0
	s_mul_i32 s2, s2, s3
	s_mul_hi_u32 s2, s3, s2
	s_add_i32 s3, s3, s2
	s_mul_hi_u32 s2, s4, s3
	s_mul_i32 s5, s2, s24
	s_sub_i32 s4, s4, s5
	s_add_i32 s3, s2, 1
	s_sub_i32 s5, s4, s24
	s_cmp_ge_u32 s4, s24
	s_cselect_b32 s2, s3, s2
	s_cselect_b32 s4, s5, s4
	s_add_i32 s3, s2, 1
	s_cmp_ge_u32 s4, s24
	s_cselect_b32 s98, s3, s2
.LBB24_5:
	s_add_i32 s2, s23, 1
	s_mul_i32 s3, s9, s2
	s_mul_hi_u32 s4, s8, s2
	s_add_i32 s7, s4, s3
	s_mov_b32 s6, 0
	s_cmp_lg_u64 s[6:7], 0
	s_mul_i32 s6, s8, s2
	s_cbranch_scc0 .LBB24_7
; %bb.6:
	s_add_u32 s2, s24, 0
	s_addc_u32 s3, 0, 0
	s_xor_b64 s[4:5], s[2:3], 0
	v_cvt_f32_u32_e32 v0, s4
	v_cvt_f32_u32_e32 v2, s5
	s_sub_u32 s10, 0, s4
	s_subb_u32 s11, 0, s5
	s_mov_b64 s[2:3], 0
	v_fmamk_f32 v0, v2, 0x4f800000, v0
	v_rcp_f32_e32 v0, v0
	s_nop 0
	v_mul_f32_e32 v0, 0x5f7ffffc, v0
	v_mul_f32_e32 v2, 0x2f800000, v0
	v_trunc_f32_e32 v2, v2
	v_fmamk_f32 v0, v2, 0xcf800000, v0
	v_cvt_u32_f32_e32 v2, v2
	v_cvt_u32_f32_e32 v0, v0
	v_readfirstlane_b32 s12, v2
	v_readfirstlane_b32 s8, v0
	s_mul_i32 s9, s10, s12
	s_mul_hi_u32 s14, s10, s8
	s_mul_i32 s13, s11, s8
	s_add_i32 s9, s14, s9
	s_add_i32 s9, s9, s13
	s_mul_i32 s15, s10, s8
	s_mul_i32 s14, s8, s9
	s_mul_hi_u32 s16, s8, s15
	s_mul_hi_u32 s13, s8, s9
	s_add_u32 s14, s16, s14
	s_addc_u32 s13, 0, s13
	s_mul_hi_u32 s17, s12, s15
	s_mul_i32 s15, s12, s15
	s_add_u32 s14, s14, s15
	s_mul_hi_u32 s16, s12, s9
	s_addc_u32 s13, s13, s17
	s_addc_u32 s14, s16, 0
	s_mul_i32 s9, s12, s9
	s_add_u32 s9, s13, s9
	s_addc_u32 s13, 0, s14
	s_add_u32 s14, s8, s9
	s_cselect_b64 s[8:9], -1, 0
	s_cmp_lg_u64 s[8:9], 0
	s_addc_u32 s12, s12, s13
	s_mul_i32 s8, s10, s12
	s_mul_hi_u32 s9, s10, s14
	s_add_i32 s8, s9, s8
	s_mul_i32 s11, s11, s14
	s_add_i32 s8, s8, s11
	s_mul_i32 s10, s10, s14
	s_mul_hi_u32 s11, s12, s10
	s_mul_i32 s13, s12, s10
	s_mul_i32 s16, s14, s8
	s_mul_hi_u32 s10, s14, s10
	s_mul_hi_u32 s15, s14, s8
	s_add_u32 s10, s10, s16
	s_addc_u32 s15, 0, s15
	s_add_u32 s10, s10, s13
	s_mul_hi_u32 s9, s12, s8
	s_addc_u32 s10, s15, s11
	s_addc_u32 s9, s9, 0
	s_mul_i32 s8, s12, s8
	s_add_u32 s8, s10, s8
	s_addc_u32 s10, 0, s9
	s_add_u32 s13, s14, s8
	s_cselect_b64 s[8:9], -1, 0
	s_cmp_lg_u64 s[8:9], 0
	s_addc_u32 s12, s12, s10
	s_ashr_i32 s8, s7, 31
	s_add_u32 s10, s6, s8
	s_mov_b32 s9, s8
	s_addc_u32 s11, s7, s8
	s_xor_b64 s[10:11], s[10:11], s[8:9]
	s_mul_i32 s14, s10, s12
	s_mul_hi_u32 s15, s10, s13
	s_mul_hi_u32 s7, s10, s12
	s_add_u32 s14, s15, s14
	s_addc_u32 s7, 0, s7
	s_mul_hi_u32 s16, s11, s13
	s_mul_i32 s13, s11, s13
	s_add_u32 s13, s14, s13
	s_mul_hi_u32 s15, s11, s12
	s_addc_u32 s7, s7, s16
	s_addc_u32 s13, s15, 0
	s_mul_i32 s12, s11, s12
	s_add_u32 s7, s7, s12
	s_addc_u32 s16, 0, s13
	s_mul_i32 s12, s4, s16
	s_mul_hi_u32 s13, s4, s7
	s_add_i32 s12, s13, s12
	s_mul_i32 s13, s5, s7
	s_add_i32 s17, s12, s13
	s_sub_i32 s14, s11, s17
	s_mul_i32 s12, s4, s7
	s_sub_u32 s10, s10, s12
	s_cselect_b64 s[12:13], -1, 0
	s_cmp_lg_u64 s[12:13], 0
	s_subb_u32 s18, s14, s5
	s_sub_u32 s19, s10, s4
	s_cselect_b64 s[14:15], -1, 0
	s_cmp_lg_u64 s[14:15], 0
	s_subb_u32 s14, s18, 0
	s_cmp_ge_u32 s14, s5
	s_cselect_b32 s15, -1, 0
	s_cmp_ge_u32 s19, s4
	s_cselect_b32 s18, -1, 0
	s_cmp_eq_u32 s14, s5
	s_cselect_b32 s14, s18, s15
	s_add_u32 s15, s7, 1
	s_addc_u32 s18, s16, 0
	s_add_u32 s19, s7, 2
	s_addc_u32 s20, s16, 0
	s_cmp_lg_u32 s14, 0
	s_cselect_b32 s14, s19, s15
	s_cselect_b32 s15, s20, s18
	s_cmp_lg_u64 s[12:13], 0
	s_subb_u32 s11, s11, s17
	s_cmp_ge_u32 s11, s5
	s_cselect_b32 s12, -1, 0
	s_cmp_ge_u32 s10, s4
	s_cselect_b32 s4, -1, 0
	s_cmp_eq_u32 s11, s5
	s_cselect_b32 s4, s4, s12
	s_cmp_lg_u32 s4, 0
	s_cselect_b32 s5, s15, s16
	s_cselect_b32 s4, s14, s7
	s_xor_b64 s[8:9], s[8:9], 0
	s_xor_b64 s[4:5], s[4:5], s[8:9]
	s_sub_u32 s4, s4, s8
	v_writelane_b32 v254, s4, 13
	s_nop 1
	v_writelane_b32 v254, s5, 14
	s_branch .LBB24_8
.LBB24_7:
	s_mov_b64 s[2:3], -1
                                        ; implicit-def: $sgpr4_sgpr5
                                        ; kill: killed $sgpr4_sgpr5
.LBB24_8:
	s_load_dwordx2 s[56:57], s[0:1], 0x5c
	v_writelane_b32 v254, s23, 12
	s_andn2_b64 vcc, exec, s[2:3]
	s_cbranch_vccnz .LBB24_10
; %bb.9:
	v_rcp_iflag_f32_e32 v0, v1
	s_sub_i32 s2, 0, s24
	v_mul_f32_e32 v0, 0x4f7ffffe, v0
	v_cvt_u32_f32_e32 v0, v0
	s_nop 0
	v_readfirstlane_b32 s3, v0
	s_mul_i32 s2, s2, s3
	s_mul_hi_u32 s2, s3, s2
	s_add_i32 s3, s3, s2
	s_mul_hi_u32 s2, s6, s3
	s_mul_i32 s4, s2, s24
	s_sub_i32 s4, s6, s4
	s_add_i32 s3, s2, 1
	s_sub_i32 s5, s4, s24
	s_cmp_ge_u32 s4, s24
	s_cselect_b32 s2, s3, s2
	s_cselect_b32 s4, s5, s4
	s_add_i32 s3, s2, 1
	s_cmp_ge_u32 s4, s24
	s_cselect_b32 s2, s3, s2
	v_writelane_b32 v254, s2, 13
	s_nop 1
	v_writelane_b32 v254, s3, 14
.LBB24_10:
	s_load_dwordx16 s[72:87], s[0:1], 0x0
	s_load_dwordx4 s[12:15], s[0:1], 0x40
	s_load_dword s2, s[0:1], 0x50
	v_writelane_b32 v254, s24, 15
	s_ashr_i32 s64, s71, 3
	v_bfe_u32 v172, v3, 10, 10
	s_waitcnt lgkmcnt(0)
	v_cvt_f16_f32_e32 v117, s12
	v_writelane_b32 v254, s2, 16
	s_load_dwordx2 s[2:3], s[0:1], 0x8c
	s_load_dwordx4 s[4:7], s[0:1], 0x98
	s_load_dwordx2 s[8:9], s[0:1], 0xa8
	s_load_dwordx2 s[94:95], s[0:1], 0xb8
	s_nop 0
	s_load_dwordx2 s[0:1], s[0:1], 0xc8
	s_mov_b32 s65, 0
	s_waitcnt lgkmcnt(0)
	s_ashr_i32 s52, s2, 2
	s_ashr_i32 s70, s6, 2
	v_writelane_b32 v254, s8, 17
	s_ashr_i32 s96, s95, 1
	v_add_u32_e32 v116, 4, v172
	v_writelane_b32 v254, s9, 18
	v_writelane_b32 v254, s0, 19
	v_add_u32_e32 v89, 8, v172
	v_mov_b32_e32 v8, v3
	v_writelane_b32 v254, s1, 20
	s_mov_b32 s1, s3
	v_readlane_b32 s9, v254, 1
	s_abs_i32 s8, s9
	v_cvt_f32_u32_e32 v0, s8
	v_writelane_b32 v254, s0, 21
	s_mov_b32 s3, s7
	v_add_u32_e32 v88, 12, v172
	v_rcp_iflag_f32_e32 v0, v0
	v_writelane_b32 v254, s1, 22
	s_mov_b64 s[0:1], s[4:5]
	v_writelane_b32 v254, s0, 23
	v_mul_f32_e32 v0, 0x4f7ffffe, v0
	v_cvt_u32_f32_e32 v0, v0
	v_writelane_b32 v254, s1, 24
	v_writelane_b32 v254, s2, 25
	;; [unrolled: 1-line block ×3, first 2 shown]
	s_sub_i32 s2, 0, s8
	v_readfirstlane_b32 s3, v0
	s_mul_i32 s2, s2, s3
	s_ashr_i32 s1, s9, 31
	s_mul_hi_u32 s2, s3, s2
	v_writelane_b32 v254, s1, 27
	s_abs_i32 s1, s98
	s_add_i32 s2, s3, s2
	v_writelane_b32 v254, s2, 28
	s_mul_hi_u32 s2, s1, s2
	s_mul_i32 s2, s2, s8
	s_sub_i32 s1, s1, s2
	s_ashr_i32 s0, s98, 31
	s_sub_i32 s2, s1, s8
	s_cmp_ge_u32 s1, s8
	s_cselect_b32 s1, s2, s1
	s_sub_i32 s2, s1, s8
	s_cmp_ge_u32 s1, s8
	s_cselect_b32 s1, s2, s1
	v_writelane_b32 v254, s8, 29
	s_xor_b32 s1, s1, s0
	s_sub_i32 s50, s1, s0
	v_readlane_b32 s0, v254, 13
	v_readlane_b32 s1, v254, 14
	v_writelane_b32 v254, s72, 30
	s_mov_b32 s6, s0
	s_sub_i32 s0, s0, s98
	v_writelane_b32 v254, s73, 31
	v_writelane_b32 v254, s74, 32
	;; [unrolled: 1-line block ×8, first 2 shown]
	s_add_i32 s4, s0, s50
	v_writelane_b32 v254, s81, 39
	s_min_i32 s58, s9, s4
	v_writelane_b32 v254, s82, 40
	s_cmp_gt_i32 s6, s98
	v_writelane_b32 v254, s83, 41
	s_cselect_b64 s[2:3], -1, 0
	s_cmp_le_i32 s6, s98
	v_writelane_b32 v254, s84, 42
	s_cselect_b64 s[0:1], -1, 0
	s_cmp_gt_i32 s9, s4
	v_writelane_b32 v254, s85, 43
	s_cselect_b64 s[4:5], -1, 0
	v_writelane_b32 v254, s86, 44
	s_or_b64 s[0:1], s[4:5], s[0:1]
	v_writelane_b32 v254, s87, 45
	s_mov_b64 s[6:7], s[14:15]
	s_mov_b32 s5, s13
	v_writelane_b32 v254, s4, 46
	s_and_b64 vcc, exec, s[0:1]
	v_add_u32_e32 v171, 16, v172
	v_writelane_b32 v254, s5, 47
	v_writelane_b32 v254, s6, 48
	v_add_u32_e32 v170, 20, v172
	v_add_u32_e32 v169, 24, v172
	;; [unrolled: 1-line block ×11, first 2 shown]
	v_mbcnt_lo_u32_b32 v146, -1, 0
	v_writelane_b32 v254, s7, 49
	scratch_store_dword off, v8, off offset:100 ; 4-byte Folded Spill
	s_cbranch_vccnz .LBB24_424
; %bb.11:
	s_cmp_lg_u64 s[78:79], 0
	s_cselect_b64 s[0:1], -1, 0
	v_writelane_b32 v254, s0, 50
	s_cmp_eq_u64 s[80:81], 0
	v_and_b32_e32 v2, 15, v8
	v_writelane_b32 v254, s1, 51
	s_mul_i32 s0, s68, s69
	v_writelane_b32 v254, s0, 52
	s_cselect_b64 s[0:1], -1, 0
	v_writelane_b32 v254, s0, 53
	s_cmp_lg_u64 s[82:83], 0
	v_bfe_u32 v4, v8, 1, 9
	v_writelane_b32 v254, s1, 54
	v_cmp_nle_f32_e64 s[0:1], s13, 0
	v_and_b32_e32 v46, 0x3ff, v8
	v_mul_u32_u24_e32 v3, 0x110, v2
	v_writelane_b32 v254, s0, 55
	v_and_b32_e32 v5, 0x78, v4
	v_lshlrev_b32_e32 v50, 1, v46
	v_writelane_b32 v254, s1, 56
	s_cselect_b64 s[0:1], -1, 0
	v_writelane_b32 v254, s0, 57
	v_lshlrev_b32_e32 v0, 2, v46
	s_lshl_b32 s2, s52, 4
	v_writelane_b32 v254, s1, 58
	s_movk_i32 s0, 0x1100
	v_mad_u32_u24 v1, v172, s0, 0
	v_add3_u32 v53, v1, v3, v5
	v_mul_i32_i24_e32 v3, 0xffffef90, v172
	v_add3_u32 v177, v1, v3, v50
	v_bfe_u32 v3, v8, 4, 6
	v_lshl_add_u32 v178, v172, 2, v3
	v_mul_lo_u32 v54, s52, v178
	v_and_b32_e32 v52, 60, v0
	v_add_u32_e32 v56, s2, v54
	v_lshlrev_b32_e32 v1, 4, v172
	v_mul_u32_u24_e32 v3, 0x110, v178
	v_lshlrev_b32_e32 v6, 2, v52
	v_add_u32_e32 v58, s2, v56
	v_add3_u32 v179, 0, v3, v6
	v_add_u32_e32 v60, s2, v58
	v_or_b32_e32 v6, v2, v1
	s_movk_i32 s2, 0x90
	v_mad_u32_u24 v7, v6, s2, 0
	s_movk_i32 s2, 0x1fc
	v_bitop3_b32 v4, v4, s2, 4 bitop3:0xc8
	s_movk_i32 s2, 0x100
	v_cmp_gt_u32_e64 s[12:13], s2, v46
	s_movk_i32 s2, 0xc0
	v_cmp_gt_u32_e64 s[14:15], s2, v46
	v_mul_lo_u32 v62, s70, v178
	s_lshl_b32 s2, s70, 4
	v_add_u32_e32 v64, s2, v62
	v_add_u32_e32 v66, s2, v64
	;; [unrolled: 1-line block ×3, first 2 shown]
	v_readlane_b32 s2, v254, 12
	v_add_u32_e32 v3, 0, v5
	v_bfe_u32 v5, v8, 2, 8
	v_writelane_b32 v254, s64, 59
	s_lshl_b32 s64, s2, 6
	s_ashr_i32 s97, s96, 31
	s_ashr_i32 s53, s52, 31
	;; [unrolled: 1-line block ×3, first 2 shown]
	v_and_b32_e32 v181, 60, v5
	s_lshl_b64 s[2:3], s[64:65], 3
	v_add_u32_e32 v184, 16, v181
	v_add_u32_e32 v186, 32, v181
	;; [unrolled: 1-line block ×3, first 2 shown]
	s_add_u32 s2, s86, s2
	v_readlane_b32 s30, v254, 7
	v_lshl_add_u32 v182, v181, 1, v7
	v_add_u32_e32 v183, v7, v4
	v_lshl_add_u32 v185, v184, 1, v7
	v_lshl_add_u32 v187, v186, 1, v7
	;; [unrolled: 1-line block ×3, first 2 shown]
	v_mul_u32_u24_e32 v4, 0x110, v181
	v_lshlrev_b32_e32 v7, 1, v2
	s_addc_u32 s3, s87, s3
	s_abs_i32 s18, s30
	v_add3_u32 v191, 0, v4, v7
	v_cvt_f32_u32_e32 v4, s18
	v_or_b32_e32 v190, 3, v5
	v_mul_u32_u24_e32 v5, 0x110, v190
	v_readlane_b32 s29, v254, 6
	v_rcp_iflag_f32_e32 v4, v4
	s_movk_i32 s27, 0x110
	v_add3_u32 v192, 0, v5, v7
	v_or_b32_e32 v5, v1, v46
	s_abs_i32 s19, s29
	v_readlane_b32 s64, v254, 59
	v_lshlrev_b32_e32 v48, 3, v5
	v_mul_u32_u24_e32 v5, 0x110, v6
	v_mad_u32_u24 v193, v6, s27, v3
	v_cvt_f32_u32_e32 v6, s19
	v_mul_f32_e32 v4, 0x4f7ffffe, v4
	v_writelane_b32 v254, s18, 60
	v_cvt_u32_f32_e32 v4, v4
	v_readlane_b32 s28, v254, 3
	s_abs_i32 s20, s28
	v_cvt_f32_u32_e32 v9, s20
	v_rcp_iflag_f32_e32 v6, v6
	s_sub_i32 s18, 0, s18
	v_bfe_u32 v7, v8, 10, 4
	v_mul_lo_u32 v8, s18, v4
	v_mul_hi_u32 v8, v4, v8
	v_writelane_b32 v254, s19, 61
	s_sub_i32 s18, 0, s19
	s_abs_i32 s19, s94
	v_add_u32_e32 v194, v4, v8
	v_rcp_iflag_f32_e32 v8, v9
	v_cvt_f32_u32_e32 v9, s19
	v_mul_f32_e32 v6, 0x4f7ffffe, v6
	v_cvt_u32_f32_e32 v6, v6
	v_mul_f32_e32 v8, 0x4f7ffffe, v8
	v_rcp_iflag_f32_e32 v9, v9
	v_cvt_u32_f32_e32 v8, v8
	v_mul_lo_u32 v4, s18, v6
	v_mul_hi_u32 v4, v6, v4
	v_add_u32_e32 v195, v6, v4
	v_mul_f32_e32 v6, 0x4f7ffffe, v9
	v_cvt_u32_f32_e32 v6, v6
	s_sub_i32 s18, 0, s20
	v_mul_lo_u32 v4, s18, v8
	v_mul_hi_u32 v4, v8, v4
	s_sub_i32 s18, 0, s19
	v_add_u32_e32 v196, v8, v4
	v_mul_lo_u32 v4, s18, v6
	s_movk_i32 s18, 0x1f0
	v_mul_hi_u32 v4, v6, v4
	v_mad_u32_u24 v180, v2, s27, v3
	v_add_u32_e32 v197, v6, v4
	v_and_or_b32 v4, v171, s18, v7
	v_add_u32_e32 v198, v3, v5
	v_and_or_b32 v3, v167, s18, v7
	v_and_or_b32 v5, v163, s18, v7
	v_mov_b32_e32 v7, 0x880
	v_mad_u32_u24 v209, v172, s27, 0
	v_mad_u32_u24 v200, v172, s27, v7
	v_add_u32_e32 v7, v209, v0
	scratch_store_dword off, v7, off offset:24 ; 4-byte Folded Spill
	v_add_u32_e32 v7, 0x440, v209
	v_add_u32_e32 v7, v7, v0
	scratch_store_dword off, v7, off offset:96 ; 4-byte Folded Spill
	v_add_u32_e32 v7, 0x880, v209
	;; [unrolled: 3-line block ×3, first 2 shown]
	v_mul_u32_u24_e32 v12, 0x110, v4
	v_mad_u32_u24 v4, v4, s27, 0
	v_add_u32_e32 v7, v7, v0
	scratch_store_dword off, v7, off offset:108 ; 4-byte Folded Spill
	scratch_store_dword off, v4, off offset:116 ; 4-byte Folded Spill
	v_add_u32_e32 v4, v4, v0
	scratch_store_dword off, v4, off offset:120 ; 4-byte Folded Spill
	v_add_u32_e32 v4, 0x1540, v209
	v_add_u32_e32 v4, v4, v0
	scratch_store_dword off, v4, off offset:124 ; 4-byte Folded Spill
	v_add_u32_e32 v4, 0x1980, v209
	v_add_u32_e32 v4, v4, v0
	v_mov_b32_e32 v6, 0x440
	scratch_store_dword off, v4, off offset:128 ; 4-byte Folded Spill
	v_add_u32_e32 v4, 0x1dc0, v209
	v_mad_u32_u24 v199, v172, s27, v6
	v_mad_u32_u24 v6, v3, s27, 0
	v_add_u32_e32 v4, v4, v0
	scratch_store_dword off, v4, off offset:132 ; 4-byte Folded Spill
	scratch_store_dword off, v6, off offset:140 ; 4-byte Folded Spill
	v_add_u32_e32 v4, v6, v0
	scratch_store_dword off, v4, off offset:144 ; 4-byte Folded Spill
	v_add_u32_e32 v4, 0x2640, v209
	v_add_u32_e32 v4, v4, v0
	scratch_store_dword off, v4, off offset:148 ; 4-byte Folded Spill
	v_add_u32_e32 v4, 0x2a80, v209
	;; [unrolled: 3-line block ×3, first 2 shown]
	v_mul_u32_u24_e32 v13, 0x110, v3
	v_mul_u32_u24_e32 v3, 0x110, v5
	v_mad_u32_u24 v5, v5, s27, 0
	v_add_u32_e32 v4, v4, v0
	scratch_store_dword off, v4, off offset:156 ; 4-byte Folded Spill
	scratch_store_dword off, v5, off offset:164 ; 4-byte Folded Spill
	v_add_u32_e32 v4, v5, v0
	scratch_store_dword off, v4, off offset:168 ; 4-byte Folded Spill
	v_add_u32_e32 v4, 0x3740, v209
	v_add_u32_e32 v4, v4, v0
	scratch_store_dword off, v4, off offset:172 ; 4-byte Folded Spill
	v_add_u32_e32 v4, 0x3b80, v209
	;; [unrolled: 3-line block ×3, first 2 shown]
	v_add_u32_e32 v208, 0, v0
	v_add_u32_e32 v0, v4, v0
	scratch_store_dword off, v0, off offset:180 ; 4-byte Folded Spill
                                        ; implicit-def: $vgpr0
	v_mov_b32_e32 v8, 0xcc0
	v_add_u32_e32 v0, v208, v12
	v_mov_b32_e32 v9, 0x1100
	v_mov_b32_e32 v10, 0x1540
	;; [unrolled: 1-line block ×3, first 2 shown]
	s_lshl_b32 s31, s69, 6
                                        ; implicit-def: $vgpr255 : SGPR spill to VGPR lane
	v_add_u32_e32 v1, v1, v46
	scratch_store_dword off, v0, off offset:112 ; 4-byte Folded Spill
	v_add_u32_e32 v0, v208, v13
	v_writelane_b32 v255, s31, 0
	v_mul_u32_u24_e32 v1, 0x110, v1
	v_mad_u32_u24 v201, v172, s27, v8
	v_mad_u32_u24 v202, v172, s27, v9
	;; [unrolled: 1-line block ×4, first 2 shown]
	s_ashr_i32 s27, s30, 31
	scratch_store_dword off, v0, off offset:136 ; 4-byte Folded Spill
	v_add_u32_e32 v0, v208, v3
	v_mov_b32_e32 v49, 0
	v_writelane_b32 v255, s27, 1
	s_ashr_i32 s27, s29, 31
	scratch_store_dword off, v0, off offset:160 ; 4-byte Folded Spill
	v_add_u32_e32 v0, 0, v1
	v_ashrrev_i32_e32 v63, 31, v62
	v_writelane_b32 v255, s27, 2
	s_ashr_i32 s27, s28, 31
	scratch_store_dword off, v0, off offset:28 ; 4-byte Folded Spill
	v_lshl_add_u64 v[0:1], s[2:3], 0, v[48:49]
	v_ashrrev_i32_e32 v65, 31, v64
	v_writelane_b32 v255, s27, 3
	scratch_store_dwordx2 off, v[0:1], off offset:16 ; 8-byte Folded Spill
	v_lshl_add_u64 v[0:1], v[62:63], 2, s[76:77]
	v_cmp_gt_u32_e64 s[2:3], 16, v46
	v_ashrrev_i32_e32 v67, 31, v66
	scratch_store_dwordx2 off, v[0:1], off offset:32 ; 8-byte Folded Spill
	v_lshl_add_u64 v[0:1], v[64:65], 2, s[76:77]
	v_writelane_b32 v255, s2, 4
	v_ashrrev_i32_e32 v69, 31, v68
	scratch_store_dwordx2 off, v[0:1], off offset:40 ; 8-byte Folded Spill
	v_lshl_add_u64 v[0:1], v[66:67], 2, s[76:77]
	v_writelane_b32 v255, s3, 5
	s_lshl_b64 s[2:3], s[96:97], 1
	v_ashrrev_i32_e32 v55, 31, v54
	scratch_store_dwordx2 off, v[0:1], off offset:48 ; 8-byte Folded Spill
	v_lshl_add_u64 v[0:1], v[68:69], 2, s[76:77]
	v_writelane_b32 v255, s2, 6
	v_ashrrev_i32_e32 v57, 31, v56
	scratch_store_dwordx2 off, v[0:1], off offset:56 ; 8-byte Folded Spill
	v_lshl_add_u64 v[0:1], v[54:55], 2, s[74:75]
	v_writelane_b32 v255, s3, 7
	s_mov_b32 s2, s96
	v_ashrrev_i32_e32 v59, 31, v58
	scratch_store_dwordx2 off, v[0:1], off offset:64 ; 8-byte Folded Spill
	v_lshl_add_u64 v[0:1], v[56:57], 2, s[74:75]
	v_writelane_b32 v255, s2, 8
	v_ashrrev_i32_e32 v61, 31, v60
	scratch_store_dwordx2 off, v[0:1], off offset:72 ; 8-byte Folded Spill
	v_lshl_add_u64 v[0:1], v[58:59], 2, s[74:75]
	v_writelane_b32 v255, s3, 9
	s_mov_b32 s2, s94
	s_mov_b64 s[54:55], src_private_base
	s_mov_b32 s26, 0x10001
	v_writelane_b32 v254, s20, 62
	s_movk_i32 s22, 0x80
	scratch_store_dwordx2 off, v[0:1], off offset:80 ; 8-byte Folded Spill
	v_lshl_add_u64 v[0:1], v[60:61], 2, s[74:75]
	v_writelane_b32 v255, s2, 10
	v_cmp_gt_u32_e64 s[0:1], 64, v46
	v_cmp_lt_u32_e64 s[48:49], 63, v46
	v_cmp_gt_u32_e64 s[4:5], 64, v178
	v_cmp_gt_u32_e64 s[6:7], 48, v178
	;; [unrolled: 1-line block ×5, first 2 shown]
	v_writelane_b32 v254, s19, 63
	v_cmp_gt_u32_e64 s[18:19], 46, v181
	v_cmp_gt_u32_e64 s[20:21], 45, v181
	;; [unrolled: 1-line block ×4, first 2 shown]
	v_mov_b32_e32 v51, v49
	v_lshlrev_b32_e32 v70, 4, v2
	v_mov_b32_e32 v71, v49
	s_mov_b32 s69, 0x42b17218
	s_mov_b32 s54, 0x3fb8aa3b
	;; [unrolled: 1-line block ×4, first 2 shown]
	v_mov_b32_e32 v222, v49
	v_mov_b32_e32 v223, v49
	;; [unrolled: 1-line block ×4, first 2 shown]
	v_mul_lo_u32 v242, v117, s26
	s_mov_b32 s59, 0x5040100
	v_add_u32_e32 v243, 0x240, v177
	v_add_u32_e32 v244, 0x480, v177
	;; [unrolled: 1-line block ×24, first 2 shown]
	v_or_b32_e32 v226, 1, v181
	v_or_b32_e32 v174, 2, v181
	v_add_u32_e32 v175, 17, v181
	v_add_u32_e32 v239, 19, v181
	;; [unrolled: 1-line block ×6, first 2 shown]
	v_mul_u32_u24_e32 v219, 0x110, v172
	v_mov_b32_e32 v215, 0x7f800000
	v_mbcnt_hi_u32_b32 v238, -1, v146
	v_mov_b32_e32 v176, 0
	v_cmp_gt_u32_e64 s[26:27], 30, v181
	scratch_store_dwordx2 off, v[0:1], off offset:88 ; 8-byte Folded Spill
	v_cmp_gt_u32_e64 s[28:29], 29, v181
	v_cmp_gt_u32_e64 s[30:31], 15, v181
	;; [unrolled: 1-line block ×4, first 2 shown]
	s_lshl_b64 s[62:63], s[70:71], 8
	s_lshl_b64 s[60:61], s[52:53], 8
	s_mov_b64 s[66:67], 0x80
	v_writelane_b32 v255, s3, 11
	v_mov_b32_e32 v0, v117
	s_branch .LBB24_13
.LBB24_12:                              ;   in Loop: Header=BB24_13 Depth=1
	s_or_b64 exec, exec, s[38:39]
	v_readlane_b32 s41, v254, 1
	s_add_i32 s2, s98, s41
	s_abs_i32 s38, s2
	v_readlane_b32 s39, v254, 28
	s_mul_hi_u32 s39, s38, s39
	v_readlane_b32 s40, v254, 29
	s_mul_i32 s39, s39, s40
	s_sub_i32 s38, s38, s39
	s_ashr_i32 s3, s2, 31
	s_sub_i32 s39, s38, s40
	s_cmp_ge_u32 s38, s40
	s_cselect_b32 s38, s39, s38
	s_sub_i32 s39, s38, s40
	s_cmp_ge_u32 s38, s40
	s_cselect_b32 s38, s39, s38
	s_xor_b32 s38, s38, s3
	s_sub_i32 s3, s3, s38
	s_add_i32 s98, s2, s3
	v_readlane_b32 s2, v254, 13
	s_sub_i32 s38, s2, s98
	s_min_i32 s58, s41, s38
	v_readlane_b32 s3, v254, 14
	s_cmp_gt_i32 s2, s98
	s_cselect_b64 s[2:3], -1, 0
	s_cmp_le_i32 s41, s38
	s_cselect_b64 s[38:39], -1, 0
	s_and_b64 s[38:39], s[38:39], s[2:3]
	s_mov_b32 s50, 0
	s_and_b64 vcc, exec, s[38:39]
	s_cbranch_vccz .LBB24_424
.LBB24_13:                              ; =>This Loop Header: Depth=1
                                        ;     Child Loop BB24_88 Depth 2
                                        ;     Child Loop BB24_298 Depth 2
	s_ashr_i32 s2, s98, 31
	v_readlane_b32 s3, v255, 1
	s_xor_b32 s2, s2, s3
	s_abs_i32 s3, s98
	v_mul_hi_u32 v1, s3, v194
	v_readlane_b32 s38, v254, 60
	v_add_u32_e32 v3, 1, v1
	s_nop 0
	v_mul_lo_u32 v2, v1, s38
	v_sub_u32_e32 v2, s3, v2
	v_subrev_u32_e32 v4, s38, v2
	v_cmp_le_u32_e32 vcc, s38, v2
	s_nop 1
	v_cndmask_b32_e32 v1, v1, v3, vcc
	v_cndmask_b32_e32 v2, v2, v4, vcc
	v_add_u32_e32 v3, 1, v1
	v_cmp_le_u32_e32 vcc, s38, v2
	s_nop 1
	v_cndmask_b32_e32 v1, v1, v3, vcc
	v_xor_b32_e32 v1, s2, v1
	v_subrev_u32_e32 v1, s2, v1
	v_readlane_b32 s2, v254, 50
	v_readlane_b32 s3, v254, 51
	s_andn2_b64 vcc, exec, s[2:3]
	v_ashrrev_i32_e32 v4, 31, v1
	s_cbranch_vccnz .LBB24_15
; %bb.14:                               ;   in Loop: Header=BB24_13 Depth=1
	v_sub_u32_e32 v2, 0, v1
	v_max_i32_e32 v2, v1, v2
	v_mul_hi_u32 v3, v2, v197
	v_readlane_b32 s2, v254, 63
	v_readlane_b32 s72, v254, 30
	;; [unrolled: 1-line block ×3, first 2 shown]
	v_mul_lo_u32 v3, v3, s2
	v_sub_u32_e32 v2, v2, v3
	v_subrev_u32_e32 v3, s2, v2
	v_cmp_le_u32_e32 vcc, s2, v2
	v_readlane_b32 s79, v254, 37
	v_readlane_b32 s73, v254, 31
	v_cndmask_b32_e32 v2, v2, v3, vcc
	v_subrev_u32_e32 v3, s2, v2
	v_cmp_le_u32_e32 vcc, s2, v2
	v_readlane_b32 s2, v254, 19
	v_readlane_b32 s3, v254, 20
	v_cndmask_b32_e32 v2, v2, v3, vcc
	v_xor_b32_e32 v2, v2, v4
	v_sub_u32_e32 v2, v2, v4
	v_ashrrev_i32_e32 v3, 31, v2
	v_mul_lo_u32 v3, s2, v3
	v_mul_hi_u32 v5, s2, v2
	v_add_u32_e32 v3, v5, v3
	v_mul_lo_u32 v5, s3, v2
	v_add_u32_e32 v3, v3, v5
	v_mul_lo_u32 v2, s2, v2
	v_lshl_add_u64 v[98:99], s[78:79], 0, v[2:3]
	v_readlane_b32 s74, v254, 32
	v_readlane_b32 s75, v254, 33
	;; [unrolled: 1-line block ×12, first 2 shown]
	s_branch .LBB24_16
.LBB24_15:                              ;   in Loop: Header=BB24_13 Depth=1
	v_mov_b64_e32 v[98:99], 0
.LBB24_16:                              ;   in Loop: Header=BB24_13 Depth=1
	v_readlane_b32 s2, v254, 7
	v_mov_b32_e32 v96, 1.0
	s_nop 0
	v_mul_lo_u32 v2, v1, s2
	v_sub_u32_e32 v2, s98, v2
	v_sub_u32_e32 v5, 0, v2
	v_ashrrev_i32_e32 v3, 31, v2
	v_readlane_b32 s2, v255, 2
	v_max_i32_e32 v5, v2, v5
	v_mul_hi_u32 v6, v5, v195
	v_xor_b32_e32 v3, s2, v3
	v_readlane_b32 s2, v254, 61
	s_nop 1
	v_mul_lo_u32 v7, v6, s2
	v_sub_u32_e32 v5, v5, v7
	v_add_u32_e32 v7, 1, v6
	v_subrev_u32_e32 v8, s2, v5
	v_cmp_le_u32_e32 vcc, s2, v5
	s_nop 1
	v_cndmask_b32_e32 v6, v6, v7, vcc
	v_cndmask_b32_e32 v5, v5, v8, vcc
	v_add_u32_e32 v7, 1, v6
	v_cmp_le_u32_e32 vcc, s2, v5
	v_readlane_b32 s2, v254, 6
	s_nop 0
	v_cndmask_b32_e32 v5, v6, v7, vcc
	v_xor_b32_e32 v5, v5, v3
	v_sub_u32_e32 v5, v5, v3
	v_mul_lo_u32 v3, v5, s2
	v_sub_u32_e32 v3, v2, v3
	v_sub_u32_e32 v6, 0, v3
	v_ashrrev_i32_e32 v2, 31, v3
	v_readlane_b32 s2, v255, 3
	v_max_i32_e32 v6, v3, v6
	v_mul_hi_u32 v7, v6, v196
	v_xor_b32_e32 v2, s2, v2
	v_readlane_b32 s2, v254, 62
	s_nop 1
	v_mul_lo_u32 v8, v7, s2
	v_sub_u32_e32 v6, v6, v8
	v_add_u32_e32 v8, 1, v7
	v_subrev_u32_e32 v9, s2, v6
	v_cmp_le_u32_e32 vcc, s2, v6
	s_nop 1
	v_cndmask_b32_e32 v7, v7, v8, vcc
	v_cndmask_b32_e32 v6, v6, v9, vcc
	v_add_u32_e32 v8, 1, v7
	v_cmp_le_u32_e32 vcc, s2, v6
	v_readlane_b32 s2, v254, 2
	s_nop 0
	v_cndmask_b32_e32 v6, v7, v8, vcc
	v_xor_b32_e32 v6, v6, v2
	v_sub_u32_e32 v6, v6, v2
	v_mul_lo_u32 v2, v5, s2
	v_readlane_b32 s2, v254, 55
	v_readlane_b32 s3, v254, 56
	v_add_u32_e32 v2, v2, v6
	s_andn2_b64 vcc, exec, s[2:3]
	s_cbranch_vccnz .LBB24_18
; %bb.17:                               ;   in Loop: Header=BB24_13 Depth=1
	v_readlane_b32 s40, v254, 46
	v_readlane_b32 s2, v254, 16
	;; [unrolled: 1-line block ×4, first 2 shown]
	v_subrev_co_u32_e32 v9, vcc, s2, v2
	s_nop 0
	v_mov_b32_e32 v7, s43
	v_mov_b32_e32 v8, s42
	v_lshlrev_b32_e32 v9, 1, v9
	v_cndmask_b32_e32 v7, v7, v8, vcc
	v_add_u32_e32 v8, 1, v2
	v_or_b32_e32 v9, 1, v9
	v_cndmask_b32_e32 v8, v9, v8, vcc
	v_cvt_f32_i32_e32 v8, v8
	v_cmp_neq_f32_e32 vcc, 1.0, v7
	s_mov_b32 s2, 0x3f2aaaab
	s_movk_i32 s3, 0x204
	v_cndmask_b32_e32 v24, 1.0, v8, vcc
	v_cmp_neq_f32_e32 vcc, 0, v24
	s_brev_b32 s42, -2
	v_readlane_b32 s41, v254, 47
	v_cndmask_b32_e32 v7, 1.0, v7, vcc
	v_frexp_mant_f32_e64 v8, |v7|
	v_cmp_gt_f32_e32 vcc, s2, v8
	s_mov_b32 s2, 0x3f317218
	v_cmp_gt_f32_e64 s[40:41], 0, v24
	v_cndmask_b32_e64 v9, 1.0, 2.0, vcc
	v_mul_f32_e32 v8, v8, v9
	v_add_f32_e32 v11, 1.0, v8
	v_rcp_f32_e32 v16, v11
	v_add_f32_e32 v9, -1.0, v11
	v_sub_f32_e32 v13, v8, v9
	v_add_f32_e32 v9, -1.0, v8
	v_mul_f32_e32 v17, v9, v16
	v_mul_f32_e32 v10, v11, v17
	v_fma_f32 v12, v17, v11, -v10
	v_fmac_f32_e32 v12, v17, v13
	v_add_f32_e32 v8, v10, v12
	v_sub_f32_e32 v11, v9, v8
	v_pk_add_f32 v[14:15], v[8:9], v[10:11] neg_lo:[0,1] neg_hi:[0,1]
	v_mov_b32_e32 v13, v8
	v_pk_add_f32 v[8:9], v[14:15], v[12:13] neg_lo:[0,1] neg_hi:[0,1]
	v_mov_b32_e32 v12, 0x3e91f4c4
	v_add_f32_e32 v8, v8, v9
	v_add_f32_e32 v8, v11, v8
	v_mul_f32_e32 v9, v16, v8
	v_add_f32_e32 v8, v17, v9
	v_sub_f32_e32 v10, v8, v17
	v_sub_f32_e32 v18, v9, v10
	v_mul_f32_e32 v9, v8, v8
	v_fma_f32 v11, v8, v8, -v9
	v_add_f32_e32 v10, v18, v18
	v_fmac_f32_e32 v11, v8, v10
	v_add_f32_e32 v10, v9, v11
	v_fmamk_f32 v12, v10, 0x3e76c4e1, v12
	v_fmaak_f32 v12, v10, v12, 0x3ecccdef
	v_sub_f32_e32 v9, v10, v9
	v_sub_f32_e32 v19, v11, v9
	v_mul_f32_e32 v9, v10, v12
	v_fma_f32 v11, v10, v12, -v9
	v_fmac_f32_e32 v11, v19, v12
	v_add_f32_e32 v12, v9, v11
	v_add_f32_e32 v13, 0x3f2aaaaa, v12
	v_sub_f32_e32 v9, v12, v9
	v_sub_f32_e32 v9, v11, v9
	v_add_f32_e32 v11, 0xbf2aaaaa, v13
	v_add_f32_e32 v9, 0x31739010, v9
	v_sub_f32_e32 v11, v12, v11
	v_pk_mul_f32 v[14:15], v[8:9], v[10:11]
	v_pk_add_f32 v[16:17], v[8:9], v[10:11]
	v_fma_f32 v12, v10, v8, -v14
	v_fmac_f32_e32 v12, v10, v18
	v_mov_b32_e32 v15, v17
	v_fmac_f32_e32 v12, v19, v8
	v_pk_add_f32 v[10:11], v[14:15], v[12:13]
	v_ldexp_f32 v20, v18, 1
	v_sub_f32_e32 v9, v10, v14
	v_sub_f32_e32 v9, v12, v9
	;; [unrolled: 1-line block ×3, first 2 shown]
	v_add_f32_e32 v16, v17, v12
	v_pk_mul_f32 v[12:13], v[10:11], v[10:11] op_sel:[0,1] op_sel_hi:[1,0]
	v_cvt_f64_f32_e64 v[14:15], |v7|
	v_frexp_exp_i32_f64_e32 v13, v[14:15]
	v_subbrev_co_u32_e32 v13, vcc, 0, v13, vcc
	v_cvt_f32_i32_e32 v13, v13
	v_fma_f32 v14, v10, v11, -v12
	v_fmac_f32_e32 v14, v10, v16
	v_fmac_f32_e32 v14, v9, v11
	v_mul_f32_e32 v10, 0x3f317218, v13
	v_fma_f32 v16, v13, s2, -v10
	v_fmac_f32_e32 v16, 0xb102e308, v13
	v_ldexp_f32 v17, v8, 1
	v_add_f32_e32 v11, v12, v14
	v_pk_add_f32 v[8:9], v[10:11], v[16:17]
	v_mov_b32_e32 v18, v11
	v_mov_b32_e32 v19, v9
	;; [unrolled: 1-line block ×3, first 2 shown]
	v_pk_add_f32 v[12:13], v[18:19], v[12:13] neg_lo:[0,1] neg_hi:[0,1]
	v_mov_b32_e32 v15, v11
	v_pk_add_f32 v[12:13], v[14:15], v[12:13] neg_lo:[0,1] neg_hi:[0,1]
	v_mov_b32_e32 v17, v8
	v_add_f32_e32 v11, v20, v12
	v_add_f32_e32 v11, v11, v13
	v_pk_add_f32 v[12:13], v[8:9], v[10:11] neg_lo:[0,1] neg_hi:[0,1]
	v_pk_add_f32 v[14:15], v[8:9], v[10:11]
	v_mov_b32_e32 v22, v9
	v_mov_b32_e32 v13, v15
	v_pk_add_f32 v[18:19], v[16:17], v[12:13] neg_lo:[0,1] neg_hi:[0,1]
	v_pk_add_f32 v[12:13], v[16:17], v[12:13]
	v_mov_b32_e32 v10, v11
	v_pk_add_f32 v[16:17], v[12:13], v[8:9] op_sel:[1,0] op_sel_hi:[0,1] neg_lo:[0,1] neg_hi:[0,1]
	v_pk_add_f32 v[20:21], v[14:15], v[16:17] op_sel_hi:[1,0] neg_lo:[0,1] neg_hi:[0,1]
	v_mov_b32_e32 v14, v15
	v_mov_b32_e32 v15, v13
	;; [unrolled: 1-line block ×3, first 2 shown]
	v_pk_add_f32 v[14:15], v[14:15], v[22:23] neg_lo:[0,1] neg_hi:[0,1]
	v_mov_b32_e32 v11, v8
	v_pk_add_f32 v[8:9], v[10:11], v[14:15] neg_lo:[0,1] neg_hi:[0,1]
	v_mov_b32_e32 v20, v18
	v_pk_add_f32 v[10:11], v[20:21], v[8:9]
	v_mov_b32_e32 v19, v13
	v_pk_add_f32 v[14:15], v[10:11], v[10:11] op_sel:[0,1] op_sel_hi:[1,0]
	s_mov_b32 s2, 0x7f800000
	v_pk_add_f32 v[12:13], v[12:13], v[14:15] op_sel:[1,0] op_sel_hi:[0,1]
	v_mov_b32_e32 v11, v12
	v_pk_add_f32 v[16:17], v[10:11], v[18:19] neg_lo:[0,1] neg_hi:[0,1]
	v_mov_b32_e32 v9, v14
	v_sub_f32_e32 v10, v10, v16
	v_pk_add_f32 v[8:9], v[8:9], v[16:17] neg_lo:[0,1] neg_hi:[0,1]
	v_sub_f32_e32 v10, v18, v10
	v_add_f32_e32 v8, v8, v10
	v_add_f32_e32 v8, v8, v9
	;; [unrolled: 1-line block ×3, first 2 shown]
	v_sub_f32_e32 v10, v9, v12
	v_sub_f32_e32 v8, v8, v10
	v_mul_f32_e32 v10, v24, v9
	v_fma_f32 v9, v24, v9, -v10
	v_fmac_f32_e32 v9, v24, v8
	v_add_f32_e32 v8, v10, v9
	v_cmp_class_f32_e64 vcc, v10, s3
	v_sub_f32_e32 v11, v8, v10
	v_sub_f32_e32 v9, v9, v11
	v_cndmask_b32_e32 v8, v8, v10, vcc
	v_cmp_eq_f32_e32 vcc, s69, v8
	v_mov_b32_e32 v10, 0x37000000
	s_nop 0
	v_cndmask_b32_e32 v10, 0, v10, vcc
	v_sub_f32_e32 v11, v8, v10
	v_mul_f32_e32 v12, 0x3fb8aa3b, v11
	v_fma_f32 v13, v11, s54, -v12
	v_rndne_f32_e32 v14, v12
	v_fmac_f32_e32 v13, 0x32a5705f, v11
	v_sub_f32_e32 v12, v12, v14
	v_add_f32_e32 v12, v12, v13
	v_exp_f32_e32 v12, v12
	v_cvt_i32_f32_e32 v13, v14
	v_cmp_neq_f32_e64 vcc, |v8|, s2
	s_nop 1
	v_cndmask_b32_e32 v8, 0, v9, vcc
	v_ldexp_f32 v9, v12, v13
	v_cmp_ngt_f32_e32 vcc, s33, v11
	v_add_f32_e32 v8, v10, v8
	s_nop 0
	v_cndmask_b32_e32 v9, 0, v9, vcc
	v_cmp_nlt_f32_e32 vcc, s69, v11
	v_mov_b32_e32 v11, 0x7fc00000
	s_nop 0
	v_cndmask_b32_e32 v9, v215, v9, vcc
	v_fma_f32 v8, v9, v8, v9
	v_cmp_class_f32_e64 vcc, v9, s3
	v_cmp_class_f32_e64 s[2:3], v7, s3
	s_nop 0
	v_cndmask_b32_e32 v8, v8, v9, vcc
	v_trunc_f32_e32 v9, v24
	v_cmp_eq_f32_e32 vcc, v9, v24
	v_mul_f32_e32 v9, 0.5, v24
	v_trunc_f32_e32 v10, v9
	v_cmp_neq_f32_e64 s[38:39], v10, v9
	s_and_b64 s[38:39], vcc, s[38:39]
	s_nop 0
	v_cndmask_b32_e64 v9, 1.0, v7, s[38:39]
	v_bfi_b32 v8, s42, v8, v9
	v_cndmask_b32_e32 v9, v11, v8, vcc
	v_cmp_gt_f32_e32 vcc, 0, v7
	v_cndmask_b32_e64 v10, 0, v7, s[38:39]
	s_nop 0
	v_cndmask_b32_e32 v8, v8, v9, vcc
	v_cmp_eq_f32_e32 vcc, 0, v7
	s_xor_b64 s[40:41], s[40:41], vcc
	v_cndmask_b32_e64 v9, v215, 0, s[40:41]
	v_bfi_b32 v9, s42, v9, v10
	s_or_b64 vcc, vcc, s[2:3]
	v_cndmask_b32_e32 v8, v8, v9, vcc
	v_cmp_o_f32_e32 vcc, v7, v7
	s_nop 1
	v_cndmask_b32_e32 v96, v11, v8, vcc
.LBB24_18:                              ;   in Loop: Header=BB24_13 Depth=1
	v_readlane_b32 s2, v254, 3
	s_nop 1
	v_mul_lo_u32 v6, v6, s2
	v_sub_u32_e32 v3, v3, v6
	v_ashrrev_i32_e32 v6, 31, v3
	v_readlane_b32 s2, v254, 27
	v_sub_u32_e32 v7, 0, v3
	v_max_i32_e32 v3, v3, v7
	v_xor_b32_e32 v6, s2, v6
	v_readlane_b32 s2, v254, 28
	s_nop 1
	v_mul_hi_u32 v7, v3, s2
	v_readlane_b32 s2, v254, 29
	s_nop 1
	v_mul_lo_u32 v8, v7, s2
	v_sub_u32_e32 v3, v3, v8
	v_add_u32_e32 v8, 1, v7
	v_subrev_u32_e32 v9, s2, v3
	v_cmp_le_u32_e32 vcc, s2, v3
	s_nop 1
	v_cndmask_b32_e32 v7, v7, v8, vcc
	v_cndmask_b32_e32 v3, v3, v9, vcc
	v_add_u32_e32 v8, 1, v7
	v_cmp_le_u32_e32 vcc, s2, v3
	v_readlane_b32 s2, v254, 57
	v_readlane_b32 s3, v254, 58
	v_cndmask_b32_e32 v3, v7, v8, vcc
	v_xor_b32_e32 v3, v3, v6
	s_andn2_b64 vcc, exec, s[2:3]
	v_sub_u32_e32 v6, v3, v6
	s_cbranch_vccnz .LBB24_20
; %bb.19:                               ;   in Loop: Header=BB24_13 Depth=1
	v_readlane_b32 s2, v254, 0
	v_readlane_b32 s72, v254, 30
	;; [unrolled: 1-line block ×3, first 2 shown]
	v_mul_lo_u32 v3, v1, s2
	v_add_u32_e32 v8, v6, v3
	v_ashrrev_i32_e32 v9, 31, v8
	v_lshlrev_b64 v[8:9], 2, v[8:9]
	v_readlane_b32 s83, v254, 41
	v_readlane_b32 s73, v254, 31
	v_readlane_b32 s74, v254, 32
	v_lshl_add_u64 v[8:9], s[82:83], 0, v[8:9]
	global_load_dword v3, v[8:9], off
	v_readlane_b32 s75, v254, 33
	v_readlane_b32 s76, v254, 34
	;; [unrolled: 1-line block ×11, first 2 shown]
	s_waitcnt vmcnt(0)
	v_readfirstlane_b32 s2, v3
	s_ashr_i32 s3, s2, 31
	s_lshr_b32 s3, s3, 26
	s_add_i32 s2, s2, s3
	s_ashr_i32 s2, s2, 6
	s_min_i32 s58, s58, s2
	s_branch .LBB24_21
.LBB24_20:                              ;   in Loop: Header=BB24_13 Depth=1
	v_readlane_b32 s72, v254, 30
	v_readlane_b32 s73, v254, 31
	v_readlane_b32 s74, v254, 32
	v_readlane_b32 s75, v254, 33
	v_readlane_b32 s76, v254, 34
	v_readlane_b32 s77, v254, 35
	v_readlane_b32 s78, v254, 36
	v_readlane_b32 s79, v254, 37
	v_readlane_b32 s80, v254, 38
	v_readlane_b32 s81, v254, 39
	v_readlane_b32 s82, v254, 40
	v_readlane_b32 s83, v254, 41
	v_readlane_b32 s84, v254, 42
	v_readlane_b32 s85, v254, 43
	v_readlane_b32 s86, v254, 44
	v_readlane_b32 s87, v254, 45
.LBB24_21:                              ;   in Loop: Header=BB24_13 Depth=1
	v_readlane_b32 s2, v254, 52
	v_readlane_b32 s40, v254, 23
	;; [unrolled: 1-line block ×3, first 2 shown]
	v_mul_lo_u32 v3, s2, v1
	v_add_u32_e32 v3, v2, v3
	v_readlane_b32 s2, v254, 17
	v_lshlrev_b32_e32 v48, 6, v3
	v_readlane_b32 s3, v254, 18
	v_mul_lo_u32 v3, s2, v4
	v_mul_hi_u32 v7, s2, v1
	v_add_u32_e32 v3, v7, v3
	v_mul_lo_u32 v7, s3, v1
	v_lshlrev_b64 v[8:9], 3, v[48:49]
	v_add_u32_e32 v103, v3, v7
	v_mul_lo_u32 v102, s2, v1
	v_mul_lo_u32 v104, v5, s43
	v_lshl_add_u64 v[90:91], s[84:85], 0, v[8:9]
	v_lshl_add_u64 v[8:9], s[76:77], 0, v[102:103]
	v_ashrrev_i32_e32 v105, 31, v104
	v_ashrrev_i32_e32 v3, 31, v2
	v_lshl_add_u64 v[94:95], v[8:9], 0, v[104:105]
	v_lshlrev_b64 v[8:9], 2, v[2:3]
	v_readlane_b32 s2, v254, 53
	v_lshl_add_u64 v[8:9], s[80:81], 0, v[8:9]
	v_readlane_b32 s3, v254, 54
	v_readlane_b32 s41, v254, 24
	v_mul_lo_u32 v106, s40, v1
	v_cndmask_b32_e64 v93, v9, 0, s[2:3]
	v_cndmask_b32_e64 v92, v8, 0, s[2:3]
	v_readlane_b32 s2, v254, 10
	v_readlane_b32 s3, v254, 11
	v_lshlrev_b32_e32 v156, 6, v6
	v_mul_lo_u32 v2, v2, s2
	v_mul_lo_u32 v8, v1, s3
	v_ashrrev_i32_e32 v9, 31, v8
	v_lshl_add_u64 v[8:9], s[72:73], 0, v[8:9]
	v_ashrrev_i32_e32 v3, 31, v2
	v_lshl_add_u64 v[110:111], v[8:9], 0, v[2:3]
	v_mul_lo_u32 v2, s40, v4
	v_mul_hi_u32 v3, s40, v1
	v_readlane_b32 s2, v254, 21
	v_add_u32_e32 v2, v3, v2
	v_mul_lo_u32 v3, s41, v1
	v_readlane_b32 s3, v254, 22
	v_add_u32_e32 v107, v2, v3
	v_lshl_add_u64 v[2:3], s[74:75], 0, v[106:107]
	v_mul_lo_u32 v108, v5, s3
	v_ashrrev_i32_e32 v109, 31, v108
	v_lshl_add_u64 v[100:101], v[2:3], 0, v[108:109]
	s_cmp_lg_u32 s50, 0
	v_add_u32_e32 v216, v172, v156
	v_readlane_b32 s42, v254, 25
	s_cbranch_scc0 .LBB24_102
; %bb.22:                               ;   in Loop: Header=BB24_13 Depth=1
	v_cmp_gt_i32_e64 s[2:3], s68, v216
	v_cmp_le_i32_e32 vcc, s68, v216
	s_nop 0
	v_writelane_b32 v255, s2, 12
	s_nop 1
	v_writelane_b32 v255, s3, 13
	s_and_saveexec_b64 s[2:3], vcc
	s_xor_b64 s[2:3], exec, s[2:3]
; %bb.23:                               ;   in Loop: Header=BB24_13 Depth=1
	v_add_u32_e32 v1, v208, v219
	ds_write_b32 v1, v49
; %bb.24:                               ;   in Loop: Header=BB24_13 Depth=1
	s_andn2_saveexec_b64 s[2:3], s[2:3]
	s_cbranch_execz .LBB24_26
; %bb.25:                               ;   in Loop: Header=BB24_13 Depth=1
	v_mad_u64_u32 v[2:3], s[38:39], v216, s64, v[46:47]
	v_ashrrev_i32_e32 v3, 31, v2
	v_lshl_add_u64 v[2:3], v[2:3], 3, v[110:111]
	global_load_dwordx2 v[2:3], v[2:3], off
	s_waitcnt vmcnt(0)
	v_cvt_pk_f16_f32 v1, v2, v3
	v_pk_mul_f16 v1, v1, v242
	v_add_u32_e32 v2, v208, v219
	ds_write_b32 v2, v1
.LBB24_26:                              ;   in Loop: Header=BB24_13 Depth=1
	s_or_b64 exec, exec, s[2:3]
	v_add_u32_e32 v76, v116, v156
	v_cmp_gt_i32_e64 s[2:3], s68, v76
	v_cmp_le_i32_e32 vcc, s68, v76
	s_nop 0
	v_writelane_b32 v255, s2, 14
	s_nop 1
	v_writelane_b32 v255, s3, 15
	s_and_saveexec_b64 s[2:3], vcc
	s_xor_b64 s[2:3], exec, s[2:3]
; %bb.27:                               ;   in Loop: Header=BB24_13 Depth=1
	v_add_u32_e32 v1, v208, v199
	ds_write_b32 v1, v49
; %bb.28:                               ;   in Loop: Header=BB24_13 Depth=1
	s_andn2_saveexec_b64 s[2:3], s[2:3]
	s_cbranch_execz .LBB24_30
; %bb.29:                               ;   in Loop: Header=BB24_13 Depth=1
	v_mad_u64_u32 v[2:3], s[38:39], v76, s64, v[46:47]
	v_ashrrev_i32_e32 v3, 31, v2
	v_lshl_add_u64 v[2:3], v[2:3], 3, v[110:111]
	global_load_dwordx2 v[2:3], v[2:3], off
	s_waitcnt vmcnt(0)
	v_cvt_pk_f16_f32 v1, v2, v3
	v_pk_mul_f16 v1, v1, v242
	v_add_u32_e32 v2, v208, v199
	ds_write_b32 v2, v1
.LBB24_30:                              ;   in Loop: Header=BB24_13 Depth=1
	s_or_b64 exec, exec, s[2:3]
	v_add_u32_e32 v214, v89, v156
	;; [unrolled: 27-line block ×7, first 2 shown]
	v_cmp_gt_i32_e64 s[2:3], s68, v206
	v_cmp_le_i32_e32 vcc, s68, v206
	s_nop 0
	v_writelane_b32 v255, s2, 26
	s_nop 1
	v_writelane_b32 v255, s3, 27
	s_and_saveexec_b64 s[2:3], vcc
	s_xor_b64 s[2:3], exec, s[2:3]
; %bb.51:                               ;   in Loop: Header=BB24_13 Depth=1
	v_add_u32_e32 v1, v208, v204
	ds_write_b32 v1, v49 offset:1088
; %bb.52:                               ;   in Loop: Header=BB24_13 Depth=1
	s_andn2_saveexec_b64 s[2:3], s[2:3]
	s_cbranch_execz .LBB24_54
; %bb.53:                               ;   in Loop: Header=BB24_13 Depth=1
	v_mad_u64_u32 v[2:3], s[38:39], v206, s64, v[46:47]
	v_ashrrev_i32_e32 v3, 31, v2
	v_lshl_add_u64 v[2:3], v[2:3], 3, v[110:111]
	global_load_dwordx2 v[2:3], v[2:3], off
	s_waitcnt vmcnt(0)
	v_cvt_pk_f16_f32 v1, v2, v3
	v_pk_mul_f16 v1, v1, v242
	v_add_u32_e32 v2, v208, v204
	ds_write_b32 v2, v1 offset:1088
.LBB24_54:                              ;   in Loop: Header=BB24_13 Depth=1
	s_or_b64 exec, exec, s[2:3]
	v_add_u32_e32 v205, v167, v156
	v_cmp_gt_i32_e64 s[2:3], s68, v205
	v_cmp_le_i32_e32 vcc, s68, v205
	s_nop 0
	v_writelane_b32 v255, s2, 28
	s_nop 1
	v_writelane_b32 v255, s3, 29
	s_and_saveexec_b64 s[2:3], vcc
	s_xor_b64 s[2:3], exec, s[2:3]
; %bb.55:                               ;   in Loop: Header=BB24_13 Depth=1
	v_add_u32_e32 v1, v208, v204
	ds_write_b32 v1, v49 offset:2176
; %bb.56:                               ;   in Loop: Header=BB24_13 Depth=1
	s_andn2_saveexec_b64 s[2:3], s[2:3]
	s_cbranch_execz .LBB24_58
; %bb.57:                               ;   in Loop: Header=BB24_13 Depth=1
	v_mad_u64_u32 v[2:3], s[38:39], v205, s64, v[46:47]
	v_ashrrev_i32_e32 v3, 31, v2
	v_lshl_add_u64 v[2:3], v[2:3], 3, v[110:111]
	global_load_dwordx2 v[2:3], v[2:3], off
	s_waitcnt vmcnt(0)
	v_cvt_pk_f16_f32 v1, v2, v3
	v_pk_mul_f16 v1, v1, v242
	v_add_u32_e32 v2, v208, v204
	ds_write_b32 v2, v1 offset:2176
.LBB24_58:                              ;   in Loop: Header=BB24_13 Depth=1
	s_or_b64 exec, exec, s[2:3]
	v_add_u32_e32 v159, v166, v156
	;; [unrolled: 27-line block ×8, first 2 shown]
	v_cmp_gt_i32_e64 s[2:3], s68, v213
	v_cmp_le_i32_e32 vcc, s68, v213
	s_nop 0
	v_writelane_b32 v255, s2, 42
	s_nop 1
	v_writelane_b32 v255, s3, 43
	s_and_saveexec_b64 s[2:3], vcc
	s_xor_b64 s[2:3], exec, s[2:3]
; %bb.83:                               ;   in Loop: Header=BB24_13 Depth=1
	v_add_u32_e32 v1, v208, v204
	ds_write_b32 v1, v49 offset:9792
; %bb.84:                               ;   in Loop: Header=BB24_13 Depth=1
	s_andn2_saveexec_b64 s[2:3], s[2:3]
	s_cbranch_execz .LBB24_86
; %bb.85:                               ;   in Loop: Header=BB24_13 Depth=1
	v_mad_u64_u32 v[2:3], s[38:39], v213, s64, v[46:47]
	v_ashrrev_i32_e32 v3, 31, v2
	v_lshl_add_u64 v[2:3], v[2:3], 3, v[110:111]
	global_load_dwordx2 v[2:3], v[2:3], off
	s_waitcnt vmcnt(0)
	v_cvt_pk_f16_f32 v1, v2, v3
	v_pk_mul_f16 v1, v1, v242
	v_add_u32_e32 v2, v208, v204
	ds_write_b32 v2, v1 offset:9792
.LBB24_86:                              ;   in Loop: Header=BB24_13 Depth=1
	s_or_b64 exec, exec, s[2:3]
	s_waitcnt lgkmcnt(0)
	s_barrier
	ds_read2_b64 v[14:17], v53 offset1:4
	ds_read2_b64 v[10:13], v53 offset0:8 offset1:12
	ds_read2_b64 v[6:9], v53 offset0:16 offset1:20
	;; [unrolled: 1-line block ×3, first 2 shown]
	s_add_i32 s40, s58, -1
	s_cmp_ge_i32 s50, s40
	s_waitcnt lgkmcnt(0)
	s_barrier
	s_cbranch_scc1 .LBB24_103
; %bb.87:                               ;   in Loop: Header=BB24_13 Depth=1
	v_mul_hi_u32 v1, s56, v216
	v_add_u32_e32 v1, v216, v1
	v_lshrrev_b32_e32 v1, s57, v1
	v_mul_lo_u32 v1, v1, s68
	v_sub_u32_e32 v1, v216, v1
	v_mad_i64_i32 v[114:115], s[2:3], v1, s96, 0
	v_mul_hi_u32 v1, s56, v76
	v_add_u32_e32 v1, v76, v1
	v_lshrrev_b32_e32 v1, s57, v1
	v_mul_lo_u32 v1, v1, s68
	v_sub_u32_e32 v1, v76, v1
	v_mad_i64_i32 v[116:117], s[2:3], v1, s96, 0
	;; [unrolled: 6-line block ×16, first 2 shown]
	v_and_b32_e32 v1, 64, v238
	v_add_u32_e32 v1, 64, v1
	v_xor_b32_e32 v18, 32, v238
	v_cmp_lt_i32_e32 vcc, v18, v1
	v_lshlrev_b32_e32 v48, 1, v46
	v_cmp_ne_u64_e64 s[72:73], 0, v[98:99]
	v_cndmask_b32_e32 v18, v238, v18, vcc
	v_lshlrev_b32_e32 v79, 2, v18
	v_xor_b32_e32 v18, 16, v238
	v_cmp_lt_i32_e32 vcc, v18, v1
	v_lshl_add_u64 v[112:113], v[98:99], 0, v[48:49]
	v_mov_b32_e32 v146, v96
	v_cndmask_b32_e32 v1, v238, v18, vcc
	v_lshlrev_b32_e32 v241, 2, v1
	v_mov_b32_e32 v147, v96
	s_lshl_b32 s2, s50, 6
	v_mov_b32_e32 v80, 0
	v_mov_b32_e32 v73, 0xfeffffff
	;; [unrolled: 1-line block ×18, first 2 shown]
.LBB24_88:                              ;   Parent Loop BB24_13 Depth=1
                                        ; =>  This Inner Loop Header: Depth=2
	v_cndmask_b32_e64 v1, 0, 1, s[72:73]
	v_cmp_ne_u32_e64 s[74:75], 1, v1
	s_andn2_b64 vcc, exec, s[72:73]
	s_ashr_i32 s3, s2, 31
	s_cbranch_vccnz .LBB24_98
; %bb.89:                               ;   in Loop: Header=BB24_88 Depth=2
	s_and_saveexec_b64 s[38:39], s[48:49]
	s_xor_b64 s[38:39], exec, s[38:39]
	s_cbranch_execz .LBB24_91
; %bb.90:                               ;   in Loop: Header=BB24_88 Depth=2
	ds_write_b16 v177, v49 offset:17408
	ds_write_b16 v243, v49 offset:17408
	;; [unrolled: 1-line block ×4, first 2 shown]
.LBB24_91:                              ;   in Loop: Header=BB24_88 Depth=2
	s_or_saveexec_b64 s[38:39], s[38:39]
	v_lshl_add_u64 v[18:19], s[2:3], 1, v[112:113]
	v_mov_b32_e32 v1, 0
	v_mov_b32_e32 v20, 0
	;; [unrolled: 1-line block ×4, first 2 shown]
	s_xor_b64 exec, exec, s[38:39]
	s_cbranch_execz .LBB24_93
; %bb.92:                               ;   in Loop: Header=BB24_88 Depth=2
	v_lshl_add_u64 v[20:21], v[114:115], 1, v[18:19]
	global_load_ushort v1, v[20:21], off
	v_lshl_add_u64 v[20:21], v[116:117], 1, v[18:19]
	global_load_ushort v22, v[20:21], off
	v_lshl_add_u64 v[20:21], v[118:119], 1, v[18:19]
	global_load_ushort v23, v[20:21], off
	v_lshl_add_u64 v[20:21], v[120:121], 1, v[18:19]
	global_load_ushort v20, v[20:21], off
	s_waitcnt vmcnt(3)
	ds_write_b16 v177, v1 offset:17408
	s_waitcnt vmcnt(2)
	ds_write_b16 v243, v22 offset:17408
	;; [unrolled: 2-line block ×4, first 2 shown]
	v_lshl_add_u64 v[20:21], v[122:123], 1, v[18:19]
	global_load_ushort v1, v[20:21], off
	v_lshl_add_u64 v[20:21], v[124:125], 1, v[18:19]
	v_lshl_add_u64 v[22:23], v[126:127], 1, v[18:19]
	global_load_ushort v20, v[20:21], off
	s_nop 0
	global_load_ushort v21, v[22:23], off
	v_lshl_add_u64 v[22:23], v[128:129], 1, v[18:19]
	global_load_ushort v22, v[22:23], off
.LBB24_93:                              ;   in Loop: Header=BB24_88 Depth=2
	s_or_b64 exec, exec, s[38:39]
	s_waitcnt vmcnt(3)
	ds_write_b16 v246, v1 offset:17408
	s_waitcnt vmcnt(2)
	ds_write_b16 v247, v20 offset:17408
	;; [unrolled: 2-line block ×4, first 2 shown]
	s_and_saveexec_b64 s[38:39], s[48:49]
	s_xor_b64 s[38:39], exec, s[38:39]
	s_cbranch_execz .LBB24_95
; %bb.94:                               ;   in Loop: Header=BB24_88 Depth=2
	ds_write_b16 v250, v49 offset:17408
	ds_write_b16 v251, v49 offset:17408
	;; [unrolled: 1-line block ×4, first 2 shown]
                                        ; implicit-def: $vgpr18_vgpr19
.LBB24_95:                              ;   in Loop: Header=BB24_88 Depth=2
	s_or_saveexec_b64 s[38:39], s[38:39]
	v_mov_b32_e32 v1, 0
	v_mov_b32_e32 v20, 0
	;; [unrolled: 1-line block ×4, first 2 shown]
	s_xor_b64 exec, exec, s[38:39]
	s_cbranch_execz .LBB24_97
; %bb.96:                               ;   in Loop: Header=BB24_88 Depth=2
	v_lshl_add_u64 v[20:21], v[130:131], 1, v[18:19]
	global_load_ushort v1, v[20:21], off
	v_lshl_add_u64 v[20:21], v[132:133], 1, v[18:19]
	global_load_ushort v22, v[20:21], off
	;; [unrolled: 2-line block ×4, first 2 shown]
	s_waitcnt vmcnt(3)
	ds_write_b16 v250, v1 offset:17408
	s_waitcnt vmcnt(2)
	ds_write_b16 v251, v22 offset:17408
	;; [unrolled: 2-line block ×4, first 2 shown]
	v_lshl_add_u64 v[20:21], v[138:139], 1, v[18:19]
	global_load_ushort v1, v[20:21], off
	v_lshl_add_u64 v[20:21], v[140:141], 1, v[18:19]
	v_lshl_add_u64 v[22:23], v[142:143], 1, v[18:19]
	;; [unrolled: 1-line block ×3, first 2 shown]
	global_load_ushort v20, v[20:21], off
	s_nop 0
	global_load_ushort v21, v[22:23], off
	s_nop 0
	global_load_ushort v22, v[18:19], off
.LBB24_97:                              ;   in Loop: Header=BB24_88 Depth=2
	s_or_b64 exec, exec, s[38:39]
	s_waitcnt vmcnt(3)
	ds_write_b16 v236, v1 offset:17408
	s_waitcnt vmcnt(2)
	ds_write_b16 v234, v20 offset:17408
	;; [unrolled: 2-line block ×4, first 2 shown]
.LBB24_98:                              ;   in Loop: Header=BB24_88 Depth=2
	s_mul_hi_i32 s39, s2, s52
	s_mul_i32 s38, s2, s52
	s_lshl_b64 s[38:39], s[38:39], 2
	v_lshl_add_u64 v[18:19], v[100:101], 0, s[38:39]
	v_lshl_add_u64 v[20:21], v[54:55], 2, v[18:19]
	v_lshlrev_b32_e32 v48, 2, v52
	v_lshl_add_u64 v[20:21], v[20:21], 0, v[48:49]
	v_mov_b32_e32 v1, s55
	v_lshl_add_u64 v[22:23], v[56:57], 2, v[18:19]
	v_lshl_add_u64 v[24:25], v[58:59], 2, v[18:19]
	;; [unrolled: 1-line block ×3, first 2 shown]
	v_cndmask_b32_e64 v21, v1, v21, s[4:5]
	v_cndmask_b32_e64 v20, v176, v20, s[4:5]
	v_lshl_add_u64 v[18:19], v[18:19], 0, v[48:49]
	scratch_store_dwordx4 off, v[222:225], off
	v_cndmask_b32_e64 v27, v1, v19, s[10:11]
	v_cndmask_b32_e64 v26, v176, v18, s[10:11]
	flat_load_dwordx4 v[18:21], v[20:21]
	v_lshl_add_u64 v[22:23], v[22:23], 0, v[48:49]
	v_cndmask_b32_e64 v23, v1, v23, s[6:7]
	v_cndmask_b32_e64 v22, v176, v22, s[6:7]
	v_lshl_add_u64 v[24:25], v[24:25], 0, v[48:49]
	v_cndmask_b32_e64 v25, v1, v25, s[8:9]
	v_cndmask_b32_e64 v24, v176, v24, s[8:9]
	v_add_u32_e32 v1, 0x1000, v180
	s_and_b64 vcc, exec, s[74:75]
	s_waitcnt vmcnt(0) lgkmcnt(0)
	ds_write_b128 v179, v[18:21]
	flat_load_dwordx4 v[18:21], v[22:23]
	s_waitcnt vmcnt(0) lgkmcnt(0)
	ds_write_b128 v233, v[18:21]
	flat_load_dwordx4 v[18:21], v[24:25]
	;; [unrolled: 3-line block ×3, first 2 shown]
	s_waitcnt vmcnt(0) lgkmcnt(0)
	ds_write_b128 v227, v[18:21]
	s_waitcnt lgkmcnt(0)
	s_barrier
	ds_read2_b64 v[18:21], v180 offset1:4
	s_waitcnt lgkmcnt(0)
	v_mfma_f32_16x16x16_f16 v[22:25], v[18:19], v[14:15], 0
	v_mfma_f32_16x16x16_f16 v[18:21], v[20:21], v[16:17], v[22:25]
	s_nop 6
	ds_read2_b64 v[22:25], v180 offset0:8 offset1:12
	s_waitcnt lgkmcnt(0)
	v_mfma_f32_16x16x16_f16 v[18:21], v[22:23], v[10:11], v[18:21]
	v_mfma_f32_16x16x16_f16 v[18:21], v[24:25], v[12:13], v[18:21]
	ds_read2_b64 v[22:25], v180 offset0:16 offset1:20
	s_waitcnt lgkmcnt(0)
	v_mfma_f32_16x16x16_f16 v[18:21], v[22:23], v[6:7], v[18:21]
	v_mfma_f32_16x16x16_f16 v[18:21], v[24:25], v[8:9], v[18:21]
	;; [unrolled: 4-line block ×4, first 2 shown]
	s_nop 6
	ds_read2_b64 v[26:29], v1 offset0:40 offset1:44
	s_waitcnt lgkmcnt(0)
	v_mfma_f32_16x16x16_f16 v[22:25], v[26:27], v[10:11], v[22:25]
	v_mfma_f32_16x16x16_f16 v[22:25], v[28:29], v[12:13], v[22:25]
	ds_read2_b64 v[26:29], v1 offset0:48 offset1:52
	s_waitcnt lgkmcnt(0)
	v_mfma_f32_16x16x16_f16 v[22:25], v[26:27], v[6:7], v[22:25]
	v_mfma_f32_16x16x16_f16 v[22:25], v[28:29], v[8:9], v[22:25]
	ds_read2_b64 v[26:29], v1 offset0:56 offset1:60
	v_add_u32_e32 v1, 0x2000, v180
	s_waitcnt lgkmcnt(0)
	v_mfma_f32_16x16x16_f16 v[22:25], v[26:27], v[2:3], v[22:25]
	v_mfma_f32_16x16x16_f16 v[22:25], v[28:29], v[4:5], v[22:25]
	ds_read2_b64 v[26:29], v1 offset0:64 offset1:68
	s_waitcnt lgkmcnt(0)
	v_mfma_f32_16x16x16_f16 v[30:33], v[26:27], v[14:15], 0
	v_mfma_f32_16x16x16_f16 v[26:29], v[28:29], v[16:17], v[30:33]
	s_nop 6
	ds_read2_b64 v[30:33], v1 offset0:72 offset1:76
	s_waitcnt lgkmcnt(0)
	v_mfma_f32_16x16x16_f16 v[26:29], v[30:31], v[10:11], v[26:29]
	v_mfma_f32_16x16x16_f16 v[26:29], v[32:33], v[12:13], v[26:29]
	ds_read2_b64 v[30:33], v1 offset0:80 offset1:84
	s_waitcnt lgkmcnt(0)
	v_mfma_f32_16x16x16_f16 v[26:29], v[30:31], v[6:7], v[26:29]
	v_mfma_f32_16x16x16_f16 v[26:29], v[32:33], v[8:9], v[26:29]
	ds_read2_b64 v[30:33], v1 offset0:88 offset1:92
	v_add_u32_e32 v1, 0x3000, v180
	s_waitcnt lgkmcnt(0)
	v_mfma_f32_16x16x16_f16 v[26:29], v[30:31], v[2:3], v[26:29]
	v_mfma_f32_16x16x16_f16 v[26:29], v[32:33], v[4:5], v[26:29]
	ds_read2_b64 v[30:33], v1 offset0:96 offset1:100
	s_waitcnt lgkmcnt(0)
	v_mfma_f32_16x16x16_f16 v[148:151], v[30:31], v[14:15], 0
	v_mfma_f32_16x16x16_f16 v[30:33], v[32:33], v[16:17], v[148:151]
	s_nop 6
	ds_read2_b64 v[148:151], v1 offset0:104 offset1:108
	s_waitcnt lgkmcnt(0)
	v_mfma_f32_16x16x16_f16 v[30:33], v[148:149], v[10:11], v[30:33]
	v_mfma_f32_16x16x16_f16 v[30:33], v[150:151], v[12:13], v[30:33]
	ds_read2_b64 v[148:151], v1 offset0:112 offset1:116
	s_waitcnt lgkmcnt(0)
	v_mfma_f32_16x16x16_f16 v[30:33], v[148:149], v[6:7], v[30:33]
	v_mfma_f32_16x16x16_f16 v[30:33], v[150:151], v[8:9], v[30:33]
	ds_read2_b64 v[148:151], v1 offset0:120 offset1:124
	s_waitcnt lgkmcnt(0)
	s_barrier
	v_mfma_f32_16x16x16_f16 v[30:33], v[148:149], v[2:3], v[30:33]
	v_mfma_f32_16x16x16_f16 v[30:33], v[150:151], v[4:5], v[30:33]
	s_cbranch_vccnz .LBB24_100
; %bb.99:                               ;   in Loop: Header=BB24_88 Depth=2
	ds_read_b32 v1, v182 offset:17408
	v_mov_b32_e32 v97, v96
	s_waitcnt lgkmcnt(0)
	v_cvt_f32_f16_sdwa v85, v1 dst_sel:DWORD dst_unused:UNUSED_PAD src0_sel:WORD_1
	v_cvt_f32_f16_e32 v84, v1
	ds_read_b32 v1, v183 offset:17408
	v_pk_fma_f32 v[18:19], v[146:147], v[84:85], v[18:19]
	s_waitcnt lgkmcnt(0)
	v_cvt_f32_f16_sdwa v89, v1 dst_sel:DWORD dst_unused:UNUSED_PAD src0_sel:WORD_1
	v_cvt_f32_f16_e32 v88, v1
	v_add_u32_e32 v1, 0x4400, v185
	ds_read2_b32 v[84:85], v1 offset1:1
	v_add_u32_e32 v1, 0x4400, v187
	v_pk_fma_f32 v[20:21], v[96:97], v[88:89], v[20:21]
	s_waitcnt lgkmcnt(0)
	v_cvt_f32_f16_e32 v88, v84
	v_cvt_f32_f16_sdwa v89, v84 dst_sel:DWORD dst_unused:UNUSED_PAD src0_sel:WORD_1
	v_cvt_f32_f16_e32 v84, v85
	v_cvt_f32_f16_sdwa v85, v85 dst_sel:DWORD dst_unused:UNUSED_PAD src0_sel:WORD_1
	v_pk_fma_f32 v[22:23], v[146:147], v[88:89], v[22:23]
	v_pk_fma_f32 v[24:25], v[96:97], v[84:85], v[24:25]
	ds_read2_b32 v[84:85], v1 offset1:1
	v_add_u32_e32 v1, 0x4400, v189
	s_waitcnt lgkmcnt(0)
	v_cvt_f32_f16_e32 v88, v84
	v_cvt_f32_f16_sdwa v89, v84 dst_sel:DWORD dst_unused:UNUSED_PAD src0_sel:WORD_1
	v_cvt_f32_f16_e32 v84, v85
	v_cvt_f32_f16_sdwa v85, v85 dst_sel:DWORD dst_unused:UNUSED_PAD src0_sel:WORD_1
	v_pk_fma_f32 v[26:27], v[146:147], v[88:89], v[26:27]
	v_pk_fma_f32 v[28:29], v[96:97], v[84:85], v[28:29]
	ds_read2_b32 v[84:85], v1 offset1:1
	s_waitcnt lgkmcnt(0)
	v_cvt_f32_f16_e32 v88, v84
	v_cvt_f32_f16_sdwa v89, v84 dst_sel:DWORD dst_unused:UNUSED_PAD src0_sel:WORD_1
	v_cvt_f32_f16_e32 v84, v85
	v_cvt_f32_f16_sdwa v85, v85 dst_sel:DWORD dst_unused:UNUSED_PAD src0_sel:WORD_1
	v_pk_fma_f32 v[30:31], v[146:147], v[88:89], v[30:31]
	v_pk_fma_f32 v[32:33], v[96:97], v[84:85], v[32:33]
.LBB24_100:                             ;   in Loop: Header=BB24_88 Depth=2
	v_add_f32_e32 v1, 0x40051340, v18
	v_max_f32_e32 v77, v73, v73
	v_max_f32_e32 v1, v77, v1
	v_cndmask_b32_e64 v1, v73, v1, s[12:13]
	v_add_f32_e32 v77, 0x40051340, v19
	v_max_f32_e32 v1, v1, v1
	v_max_f32_e32 v1, v1, v77
	v_cndmask_b32_e64 v1, v73, v1, s[12:13]
	v_add_f32_e32 v77, 0x40051340, v20
	v_max_f32_e32 v1, v1, v1
	v_max_f32_e32 v1, v1, v77
	v_cndmask_b32_e64 v1, v73, v1, s[12:13]
	v_add_f32_e32 v77, 0x40051340, v21
	v_max_f32_e32 v1, v1, v1
	v_max_f32_e32 v1, v1, v77
	v_cndmask_b32_e64 v1, v73, v1, s[12:13]
	v_add_f32_e32 v77, 0x40051340, v22
	v_max_f32_e32 v78, v1, v1
	v_max_f32_e32 v77, v78, v77
	v_cndmask_b32_e64 v1, v1, v77, s[14:15]
	v_add_f32_e32 v77, 0x40051340, v23
	v_max_f32_e32 v78, v1, v1
	v_max_f32_e32 v77, v78, v77
	v_cndmask_b32_e64 v1, v1, v77, s[16:17]
	v_add_f32_e32 v77, 0x40051340, v24
	v_max_f32_e32 v78, v1, v1
	v_max_f32_e32 v77, v78, v77
	v_cndmask_b32_e64 v1, v1, v77, s[18:19]
	v_add_f32_e32 v77, 0x40051340, v25
	v_max_f32_e32 v78, v1, v1
	v_max_f32_e32 v77, v78, v77
	v_cndmask_b32_e64 v1, v1, v77, s[20:21]
	v_add_f32_e32 v77, 0x40051340, v26
	v_max_f32_e32 v78, v1, v1
	v_max_f32_e32 v77, v78, v77
	v_cndmask_b32_e64 v1, v1, v77, s[22:23]
	v_add_f32_e32 v77, 0x40051340, v27
	v_max_f32_e32 v78, v1, v1
	v_max_f32_e32 v77, v78, v77
	v_cndmask_b32_e64 v1, v1, v77, s[24:25]
	v_add_f32_e32 v77, 0x40051340, v28
	v_max_f32_e32 v78, v1, v1
	v_max_f32_e32 v77, v78, v77
	v_cndmask_b32_e64 v1, v1, v77, s[26:27]
	v_add_f32_e32 v77, 0x40051340, v29
	v_max_f32_e32 v78, v1, v1
	v_max_f32_e32 v77, v78, v77
	v_cndmask_b32_e64 v1, v1, v77, s[28:29]
	v_add_f32_e32 v77, 0x40051340, v30
	v_max_f32_e32 v78, v1, v1
	v_max_f32_e32 v77, v78, v77
	v_cndmask_b32_e64 v1, v1, v77, s[0:1]
	v_add_f32_e32 v77, 0x40051340, v31
	v_max_f32_e32 v78, v1, v1
	v_max_f32_e32 v77, v78, v77
	v_cndmask_b32_e64 v1, v1, v77, s[30:31]
	v_add_f32_e32 v77, 0x40051340, v32
	v_max_f32_e32 v78, v1, v1
	v_max_f32_e32 v77, v78, v77
	v_cndmask_b32_e64 v1, v1, v77, s[34:35]
	v_add_f32_e32 v77, 0x40051340, v33
	v_max_f32_e32 v78, v1, v1
	v_max_f32_e32 v77, v78, v77
	v_cndmask_b32_e64 v1, v1, v77, s[36:37]
	ds_bpermute_b32 v77, v79, v1
	v_max_f32_e32 v1, v1, v1
	s_mul_hi_i32 s39, s2, s70
	s_mul_i32 s38, s2, s70
	s_lshl_b64 s[38:39], s[38:39], 2
	s_waitcnt lgkmcnt(0)
	v_max_f32_e32 v77, v77, v77
	v_max_f32_e32 v1, v1, v77
	ds_bpermute_b32 v77, v241, v1
	scratch_store_dwordx4 off, v[222:225], off
	s_add_i32 s50, s50, 1
	s_add_i32 s2, s2, 64
	s_cmp_lt_i32 s50, s40
	s_waitcnt lgkmcnt(0)
	v_max_f32_e32 v77, v77, v77
	v_max_f32_e32 v77, v1, v77
	v_sub_f32_e32 v1, v18, v77
	v_mul_f32_e32 v18, 0x3fb8aa3b, v1
	v_fma_f32 v78, v1, s54, -v18
	v_rndne_f32_e32 v83, v18
	v_fmac_f32_e32 v78, 0x32a5705f, v1
	v_sub_f32_e32 v18, v18, v83
	v_add_f32_e32 v18, v18, v78
	v_exp_f32_e32 v18, v18
	v_cvt_i32_f32_e32 v78, v83
	v_sub_f32_e32 v19, v19, v77
	v_cmp_ngt_f32_e32 vcc, s33, v1
	v_ldexp_f32 v18, v18, v78
	v_mul_f32_e32 v78, 0x3fb8aa3b, v19
	v_fma_f32 v83, v19, s54, -v78
	v_rndne_f32_e32 v84, v78
	v_fmac_f32_e32 v83, 0x32a5705f, v19
	v_sub_f32_e32 v78, v78, v84
	v_add_f32_e32 v78, v78, v83
	v_exp_f32_e32 v78, v78
	v_cvt_i32_f32_e32 v83, v84
	v_cndmask_b32_e32 v18, 0, v18, vcc
	v_cmp_nlt_f32_e32 vcc, s69, v1
	v_ldexp_f32 v78, v78, v83
	s_nop 0
	v_cndmask_b32_e32 v1, v215, v18, vcc
	v_cmp_ngt_f32_e32 vcc, s33, v19
	v_cndmask_b32_e64 v18, 0, v1, s[12:13]
	s_nop 0
	v_cndmask_b32_e32 v78, 0, v78, vcc
	v_cmp_nlt_f32_e32 vcc, s69, v19
	s_nop 1
	v_cndmask_b32_e32 v19, v215, v78, vcc
	v_add_f32_e32 v78, v1, v19
	v_mov_b32_e32 v1, s65
	v_cndmask_b32_e64 v1, v1, v19, s[12:13]
	v_sub_f32_e32 v19, v20, v77
	v_mul_f32_e32 v20, 0x3fb8aa3b, v19
	v_fma_f32 v83, v19, s54, -v20
	v_rndne_f32_e32 v84, v20
	v_fmac_f32_e32 v83, 0x32a5705f, v19
	v_sub_f32_e32 v20, v20, v84
	v_add_f32_e32 v20, v20, v83
	v_exp_f32_e32 v20, v20
	v_cvt_i32_f32_e32 v83, v84
	v_cmp_ngt_f32_e32 vcc, s33, v19
	v_cvt_pk_f16_f32 v154, v18, v1
	v_ldexp_f32 v20, v20, v83
	v_cndmask_b32_e32 v20, 0, v20, vcc
	v_cmp_nlt_f32_e32 vcc, s69, v19
	s_nop 1
	v_cndmask_b32_e32 v19, v215, v20, vcc
	v_mov_b32_e32 v20, s65
	v_add_f32_e32 v78, v78, v19
	v_cndmask_b32_e64 v20, v20, v19, s[12:13]
	v_sub_f32_e32 v19, v21, v77
	v_mul_f32_e32 v21, 0x3fb8aa3b, v19
	v_fma_f32 v83, v19, s54, -v21
	v_rndne_f32_e32 v84, v21
	v_fmac_f32_e32 v83, 0x32a5705f, v19
	v_sub_f32_e32 v21, v21, v84
	v_add_f32_e32 v21, v21, v83
	v_exp_f32_e32 v21, v21
	v_cvt_i32_f32_e32 v83, v84
	v_cmp_ngt_f32_e32 vcc, s33, v19
	v_ldexp_f32 v21, v21, v83
	s_nop 0
	v_cndmask_b32_e32 v21, 0, v21, vcc
	v_cmp_nlt_f32_e32 vcc, s69, v19
	v_mov_b32_e32 v19, s65
	s_nop 0
	v_cndmask_b32_e32 v21, v215, v21, vcc
	v_add_f32_e32 v78, v78, v21
	v_cndmask_b32_e64 v88, v19, v21, s[12:13]
	v_sub_f32_e32 v21, v22, v77
	v_mul_f32_e32 v22, 0x3fb8aa3b, v21
	v_cndmask_b32_e64 v19, 0, v78, s[12:13]
	v_fma_f32 v78, v21, s54, -v22
	v_rndne_f32_e32 v83, v22
	v_fmac_f32_e32 v78, 0x32a5705f, v21
	v_sub_f32_e32 v22, v22, v83
	v_add_f32_e32 v22, v22, v78
	v_exp_f32_e32 v22, v22
	v_cvt_i32_f32_e32 v78, v83
	v_cmp_ngt_f32_e32 vcc, s33, v21
	v_cvt_pk_f16_f32 v155, v20, v88
	v_ldexp_f32 v22, v22, v78
	v_cndmask_b32_e32 v22, 0, v22, vcc
	v_cmp_nlt_f32_e32 vcc, s69, v21
	s_nop 1
	v_cndmask_b32_e32 v21, v215, v22, vcc
	v_add_f32_e32 v78, v21, v19
	v_mov_b32_e32 v22, s65
	v_cndmask_b32_e64 v22, v22, v21, s[14:15]
	v_cndmask_b32_e64 v21, v19, v78, s[14:15]
	v_sub_f32_e32 v19, v23, v77
	v_mul_f32_e32 v23, 0x3fb8aa3b, v19
	v_fma_f32 v78, v19, s54, -v23
	v_rndne_f32_e32 v83, v23
	v_fmac_f32_e32 v78, 0x32a5705f, v19
	v_sub_f32_e32 v23, v23, v83
	v_add_f32_e32 v23, v23, v78
	v_exp_f32_e32 v23, v23
	v_cvt_i32_f32_e32 v78, v83
	v_cmp_ngt_f32_e32 vcc, s33, v19
	v_ldexp_f32 v23, v23, v78
	s_nop 0
	v_cndmask_b32_e32 v23, 0, v23, vcc
	v_cmp_nlt_f32_e32 vcc, s69, v19
	v_mov_b32_e32 v19, s65
	s_nop 0
	v_cndmask_b32_e32 v23, v215, v23, vcc
	v_add_f32_e32 v78, v23, v21
	v_cndmask_b32_e64 v19, v19, v23, s[16:17]
	v_sub_f32_e32 v23, v24, v77
	v_mul_f32_e32 v24, 0x3fb8aa3b, v23
	v_cndmask_b32_e64 v21, v21, v78, s[16:17]
	v_fma_f32 v78, v23, s54, -v24
	v_rndne_f32_e32 v83, v24
	v_fmac_f32_e32 v78, 0x32a5705f, v23
	v_sub_f32_e32 v24, v24, v83
	v_add_f32_e32 v24, v24, v78
	v_exp_f32_e32 v24, v24
	v_cvt_i32_f32_e32 v78, v83
	v_cmp_ngt_f32_e32 vcc, s33, v23
	v_cvt_pk_f16_f32 v152, v22, v19
	v_ldexp_f32 v24, v24, v78
	v_cndmask_b32_e32 v24, 0, v24, vcc
	v_cmp_nlt_f32_e32 vcc, s69, v23
	s_nop 1
	v_cndmask_b32_e32 v23, v215, v24, vcc
	v_add_f32_e32 v78, v23, v21
	v_mov_b32_e32 v24, s65
	v_cndmask_b32_e64 v24, v24, v23, s[18:19]
	v_cndmask_b32_e64 v23, v21, v78, s[18:19]
	v_sub_f32_e32 v21, v25, v77
	v_mul_f32_e32 v25, 0x3fb8aa3b, v21
	v_fma_f32 v78, v21, s54, -v25
	v_rndne_f32_e32 v83, v25
	v_fmac_f32_e32 v78, 0x32a5705f, v21
	v_sub_f32_e32 v25, v25, v83
	v_add_f32_e32 v25, v25, v78
	v_exp_f32_e32 v25, v25
	v_cvt_i32_f32_e32 v78, v83
	v_cmp_ngt_f32_e32 vcc, s33, v21
	v_ldexp_f32 v25, v25, v78
	s_nop 0
	v_cndmask_b32_e32 v25, 0, v25, vcc
	v_cmp_nlt_f32_e32 vcc, s69, v21
	v_mov_b32_e32 v21, s65
	s_nop 0
	v_cndmask_b32_e32 v25, v215, v25, vcc
	v_add_f32_e32 v78, v25, v23
	v_cndmask_b32_e64 v89, v21, v25, s[20:21]
	v_cndmask_b32_e64 v21, v23, v78, s[20:21]
	v_sub_f32_e32 v23, v26, v77
	v_mul_f32_e32 v25, 0x3fb8aa3b, v23
	v_fma_f32 v26, v23, s54, -v25
	v_rndne_f32_e32 v78, v25
	v_fmac_f32_e32 v26, 0x32a5705f, v23
	v_sub_f32_e32 v25, v25, v78
	v_add_f32_e32 v25, v25, v26
	v_exp_f32_e32 v25, v25
	v_cvt_i32_f32_e32 v26, v78
	v_cmp_ngt_f32_e32 vcc, s33, v23
	v_cvt_pk_f16_f32 v153, v24, v89
	v_ldexp_f32 v25, v25, v26
	v_cndmask_b32_e32 v25, 0, v25, vcc
	v_cmp_nlt_f32_e32 vcc, s69, v23
	v_mov_b32_e32 v26, s65
	s_nop 0
	v_cndmask_b32_e32 v23, v215, v25, vcc
	v_add_f32_e32 v25, v23, v21
	v_cndmask_b32_e64 v26, v26, v23, s[22:23]
	v_cndmask_b32_e64 v23, v21, v25, s[22:23]
	v_sub_f32_e32 v21, v27, v77
	v_mul_f32_e32 v25, 0x3fb8aa3b, v21
	v_fma_f32 v27, v21, s54, -v25
	v_rndne_f32_e32 v78, v25
	v_fmac_f32_e32 v27, 0x32a5705f, v21
	v_sub_f32_e32 v25, v25, v78
	v_add_f32_e32 v25, v25, v27
	v_exp_f32_e32 v25, v25
	v_cvt_i32_f32_e32 v27, v78
	v_cmp_ngt_f32_e32 vcc, s33, v21
	v_ldexp_f32 v25, v25, v27
	s_nop 0
	v_cndmask_b32_e32 v25, 0, v25, vcc
	v_cmp_nlt_f32_e32 vcc, s69, v21
	v_mov_b32_e32 v21, s65
	s_nop 0
	v_cndmask_b32_e32 v25, v215, v25, vcc
	v_add_f32_e32 v27, v25, v23
	v_cndmask_b32_e64 v21, v21, v25, s[24:25]
	v_sub_f32_e32 v25, v28, v77
	v_cndmask_b32_e64 v23, v23, v27, s[24:25]
	v_mul_f32_e32 v27, 0x3fb8aa3b, v25
	v_fma_f32 v28, v25, s54, -v27
	v_rndne_f32_e32 v78, v27
	v_fmac_f32_e32 v28, 0x32a5705f, v25
	v_sub_f32_e32 v27, v27, v78
	v_add_f32_e32 v27, v27, v28
	v_exp_f32_e32 v27, v27
	v_cvt_i32_f32_e32 v28, v78
	v_cmp_ngt_f32_e32 vcc, s33, v25
	v_cvt_pk_f16_f32 v150, v26, v21
	v_ldexp_f32 v27, v27, v28
	v_cndmask_b32_e32 v27, 0, v27, vcc
	v_cmp_nlt_f32_e32 vcc, s69, v25
	v_mov_b32_e32 v28, s65
	s_nop 0
	v_cndmask_b32_e32 v25, v215, v27, vcc
	v_add_f32_e32 v27, v25, v23
	v_cndmask_b32_e64 v28, v28, v25, s[26:27]
	v_cndmask_b32_e64 v25, v23, v27, s[26:27]
	v_sub_f32_e32 v23, v29, v77
	v_mul_f32_e32 v27, 0x3fb8aa3b, v23
	v_fma_f32 v29, v23, s54, -v27
	v_rndne_f32_e32 v78, v27
	v_fmac_f32_e32 v29, 0x32a5705f, v23
	v_sub_f32_e32 v27, v27, v78
	v_add_f32_e32 v27, v27, v29
	v_exp_f32_e32 v27, v27
	v_cvt_i32_f32_e32 v29, v78
	v_cmp_ngt_f32_e32 vcc, s33, v23
	v_ldexp_f32 v27, v27, v29
	s_nop 0
	v_cndmask_b32_e32 v27, 0, v27, vcc
	v_cmp_nlt_f32_e32 vcc, s69, v23
	v_mov_b32_e32 v23, s65
	s_nop 0
	v_cndmask_b32_e32 v27, v215, v27, vcc
	v_add_f32_e32 v29, v27, v25
	v_cndmask_b32_e64 v97, v23, v27, s[28:29]
	v_cndmask_b32_e64 v23, v25, v29, s[28:29]
	v_sub_f32_e32 v25, v30, v77
	v_mul_f32_e32 v27, 0x3fb8aa3b, v25
	v_fma_f32 v29, v25, s54, -v27
	v_rndne_f32_e32 v30, v27
	v_fmac_f32_e32 v29, 0x32a5705f, v25
	v_sub_f32_e32 v27, v27, v30
	v_add_f32_e32 v27, v27, v29
	v_exp_f32_e32 v27, v27
	v_cvt_i32_f32_e32 v29, v30
	v_cmp_ngt_f32_e32 vcc, s33, v25
	v_mov_b32_e32 v30, s65
	v_cvt_pk_f16_f32 v151, v28, v97
	v_ldexp_f32 v27, v27, v29
	v_cndmask_b32_e32 v27, 0, v27, vcc
	v_cmp_nlt_f32_e32 vcc, s69, v25
	s_nop 1
	v_cndmask_b32_e32 v25, v215, v27, vcc
	v_add_f32_e32 v27, v25, v23
	v_cndmask_b32_e64 v30, v30, v25, s[0:1]
	v_cndmask_b32_e64 v25, v23, v27, s[0:1]
	v_sub_f32_e32 v23, v31, v77
	v_mul_f32_e32 v27, 0x3fb8aa3b, v23
	v_fma_f32 v29, v23, s54, -v27
	v_rndne_f32_e32 v31, v27
	v_fmac_f32_e32 v29, 0x32a5705f, v23
	v_sub_f32_e32 v27, v27, v31
	v_add_f32_e32 v27, v27, v29
	v_exp_f32_e32 v27, v27
	v_cvt_i32_f32_e32 v29, v31
	v_cmp_ngt_f32_e32 vcc, s33, v23
	v_ldexp_f32 v27, v27, v29
	s_nop 0
	v_cndmask_b32_e32 v27, 0, v27, vcc
	v_cmp_nlt_f32_e32 vcc, s69, v23
	v_mov_b32_e32 v23, s65
	s_nop 0
	v_cndmask_b32_e32 v27, v215, v27, vcc
	v_add_f32_e32 v29, v27, v25
	v_cndmask_b32_e64 v23, v23, v27, s[30:31]
	v_sub_f32_e32 v27, v32, v77
	v_cndmask_b32_e64 v25, v25, v29, s[30:31]
	v_mul_f32_e32 v29, 0x3fb8aa3b, v27
	v_fma_f32 v31, v27, s54, -v29
	v_rndne_f32_e32 v32, v29
	v_fmac_f32_e32 v31, 0x32a5705f, v27
	v_sub_f32_e32 v29, v29, v32
	v_add_f32_e32 v29, v29, v31
	v_exp_f32_e32 v29, v29
	v_cvt_i32_f32_e32 v31, v32
	v_cmp_ngt_f32_e32 vcc, s33, v27
	v_mov_b32_e32 v32, s65
	v_ldexp_f32 v29, v29, v31
	v_cndmask_b32_e32 v29, 0, v29, vcc
	v_cmp_nlt_f32_e32 vcc, s69, v27
	s_nop 1
	v_cndmask_b32_e32 v27, v215, v29, vcc
	v_add_f32_e32 v29, v27, v25
	v_cndmask_b32_e64 v32, v32, v27, s[34:35]
	v_cndmask_b32_e64 v27, v25, v29, s[34:35]
	v_sub_f32_e32 v25, v33, v77
	v_mul_f32_e32 v29, 0x3fb8aa3b, v25
	v_fma_f32 v31, v25, s54, -v29
	v_rndne_f32_e32 v33, v29
	v_fmac_f32_e32 v31, 0x32a5705f, v25
	v_sub_f32_e32 v29, v29, v33
	v_add_f32_e32 v29, v29, v31
	v_exp_f32_e32 v29, v29
	v_cvt_i32_f32_e32 v31, v33
	v_cmp_ngt_f32_e32 vcc, s33, v25
	v_ldexp_f32 v29, v29, v31
	s_nop 0
	v_cndmask_b32_e32 v29, 0, v29, vcc
	v_cmp_nlt_f32_e32 vcc, s69, v25
	v_mov_b32_e32 v25, s65
	s_nop 0
	v_cndmask_b32_e32 v29, v215, v29, vcc
	v_add_f32_e32 v31, v29, v27
	v_cndmask_b32_e64 v148, v25, v29, s[36:37]
	v_sub_f32_e32 v25, v73, v77
	v_cndmask_b32_e64 v78, v27, v31, s[36:37]
	v_mul_f32_e32 v27, 0x3fb8aa3b, v25
	v_fma_f32 v29, v25, s54, -v27
	v_rndne_f32_e32 v31, v27
	v_fmac_f32_e32 v29, 0x32a5705f, v25
	v_sub_f32_e32 v27, v27, v31
	v_add_f32_e32 v27, v27, v29
	v_exp_f32_e32 v27, v27
	v_cvt_i32_f32_e32 v29, v31
	v_cmp_ngt_f32_e32 vcc, s33, v25
	v_ldexp_f32 v27, v27, v29
	s_nop 0
	v_cndmask_b32_e32 v27, 0, v27, vcc
	v_cmp_nlt_f32_e32 vcc, s69, v25
	s_nop 1
	v_cndmask_b32_e32 v27, v215, v27, vcc
	v_cmp_le_f32_e32 vcc, s99, v25
	s_nop 1
	v_cndmask_b32_e32 v25, 0, v27, vcc
	v_fmac_f32_e32 v78, v72, v25
	v_cvt_f16_f32_e32 v25, v25
	v_mul_u32_u24_e32 v149, 0x10001, v25
	v_pk_mul_f16 v85, v35, v149
	v_pk_mul_f16 v84, v34, v149
	v_lshl_add_u64 v[34:35], v[94:95], 0, s[38:39]
	v_pk_mul_f16 v73, v82, v149
	v_pk_mul_f16 v29, v38, v149
	;; [unrolled: 1-line block ×3, first 2 shown]
	v_lshl_add_u64 v[38:39], v[64:65], 2, v[34:35]
	v_pk_mul_f16 v72, v81, v149
	v_pk_mul_f16 v33, v37, v149
	;; [unrolled: 1-line block ×5, first 2 shown]
	v_lshl_add_u64 v[36:37], v[62:63], 2, v[34:35]
	v_mov_b32_e32 v86, s55
	v_lshl_add_u64 v[38:39], v[38:39], 0, v[48:49]
	v_pk_mul_f16 v87, v45, v149
	v_pk_mul_f16 v83, v44, v149
	v_pk_mul_f16 v45, v43, v149
	v_pk_mul_f16 v44, v42, v149
	v_lshl_add_u64 v[36:37], v[36:37], 0, v[48:49]
	v_cndmask_b32_e64 v43, v86, v39, s[6:7]
	v_cndmask_b32_e64 v42, v176, v38, s[6:7]
	v_lshl_add_u64 v[38:39], v[66:67], 2, v[34:35]
	v_lshl_add_u64 v[34:35], v[68:69], 2, v[34:35]
	v_cndmask_b32_e64 v37, v86, v37, s[4:5]
	v_cndmask_b32_e64 v36, v176, v36, s[4:5]
	v_lshl_add_u64 v[38:39], v[38:39], 0, v[48:49]
	v_lshl_add_u64 v[34:35], v[34:35], 0, v[48:49]
	v_pk_mul_f16 v25, v41, v149
	v_pk_mul_f16 v27, v40, v149
	v_cndmask_b32_e64 v41, v86, v39, s[8:9]
	v_cndmask_b32_e64 v40, v176, v38, s[8:9]
	;; [unrolled: 1-line block ×4, first 2 shown]
	flat_load_dwordx4 v[34:37], v[36:37]
	v_cvt_pk_f16_f32 v149, v32, v148
	v_cvt_pk_f16_f32 v148, v30, v23
	v_cvt_f32_f16_sdwa v23, v87 dst_sel:DWORD dst_unused:UNUSED_PAD src0_sel:WORD_1
	s_waitcnt vmcnt(0) lgkmcnt(0)
	ds_write_b128 v179, v[34:37]
	flat_load_dwordx4 v[34:37], v[42:43]
	s_waitcnt vmcnt(0) lgkmcnt(0)
	ds_write_b128 v233, v[34:37]
	flat_load_dwordx4 v[34:37], v[40:41]
	;; [unrolled: 3-line block ×3, first 2 shown]
	s_waitcnt vmcnt(0) lgkmcnt(0)
	ds_write_b128 v227, v[34:37]
	s_waitcnt lgkmcnt(0)
	s_barrier
	ds_read_u16 v38, v191 offset:272
	ds_read_u16 v39, v191 offset:544
	ds_read_u16 v40, v192
	ds_read_u16 v41, v192 offset:32
	v_cvt_f32_f16_e32 v34, v73
	v_cvt_f32_f16_sdwa v35, v73 dst_sel:DWORD dst_unused:UNUSED_PAD src0_sel:WORD_1
	v_cvt_f32_f16_e32 v36, v72
	s_waitcnt lgkmcnt(1)
	v_perm_b32 v39, v40, v39, s59
	ds_read_u16 v40, v191
	ds_read_u16 v42, v191 offset:32
	v_cvt_f32_f16_sdwa v37, v72 dst_sel:DWORD dst_unused:UNUSED_PAD src0_sel:WORD_1
	s_waitcnt lgkmcnt(1)
	v_perm_b32 v38, v38, v40, s59
	s_nop 1
	v_mfma_f32_16x16x16_f16 v[34:37], v[38:39], v[154:155], v[34:37]
	ds_read_u16 v38, v191 offset:4352
	ds_read_u16 v40, v191 offset:4624
	;; [unrolled: 1-line block ×4, first 2 shown]
	s_nop 3
	v_cvt_f16_f32_e32 v1, v34
	v_cvt_f16_f32_e32 v18, v35
	;; [unrolled: 1-line block ×4, first 2 shown]
	s_waitcnt lgkmcnt(0)
	v_perm_b32 v39, v43, v39, s59
	v_perm_b32 v38, v40, v38, s59
	v_cvt_f32_f16_e32 v34, v1
	v_cvt_f32_f16_e32 v35, v18
	;; [unrolled: 1-line block ×4, first 2 shown]
	s_nop 1
	v_mfma_f32_16x16x16_f16 v[34:37], v[38:39], v[152:153], v[34:37]
	ds_read_u16 v22, v191 offset:8704
	ds_read_u16 v24, v191 offset:8976
	;; [unrolled: 1-line block ×4, first 2 shown]
	s_nop 3
	v_cvt_f16_f32_e32 v18, v35
	v_cvt_f16_f32_e32 v19, v36
	;; [unrolled: 1-line block ×4, first 2 shown]
	v_cvt_f32_f16_e32 v35, v18
	v_cvt_f32_f16_e32 v36, v19
	s_waitcnt lgkmcnt(0)
	v_perm_b32 v19, v39, v38, s59
	v_perm_b32 v18, v24, v22, s59
	v_cvt_f32_f16_e32 v34, v1
	v_cvt_f32_f16_e32 v37, v20
	ds_read_u16 v22, v191 offset:13056
	ds_read_u16 v24, v191 offset:13328
	;; [unrolled: 1-line block ×4, first 2 shown]
	v_mfma_f32_16x16x16_f16 v[18:21], v[18:19], v[150:151], v[34:37]
	s_waitcnt lgkmcnt(0)
	s_nop 1
	v_perm_b32 v35, v28, v26, s59
	v_perm_b32 v34, v24, v22, s59
	s_nop 2
	v_cvt_f16_f32_e32 v1, v18
	v_cvt_f16_f32_e32 v19, v19
	;; [unrolled: 1-line block ×4, first 2 shown]
	v_cvt_f32_f16_e32 v18, v1
	ds_read_u16 v1, v191 offset:304
	ds_read_u16 v26, v191 offset:576
	v_cvt_f32_f16_e32 v19, v19
	v_cvt_f32_f16_e32 v20, v20
	;; [unrolled: 1-line block ×5, first 2 shown]
	v_mfma_f32_16x16x16_f16 v[18:21], v[34:35], v[148:149], v[18:21]
	s_waitcnt lgkmcnt(0)
	v_perm_b32 v35, v41, v26, s59
	v_perm_b32 v34, v1, v42, s59
	v_cvt_f32_f16_sdwa v25, v25 dst_sel:DWORD dst_unused:UNUSED_PAD src0_sel:WORD_1
	ds_read_u16 v26, v191 offset:4384
	ds_read_u16 v28, v191 offset:4656
	;; [unrolled: 1-line block ×4, first 2 shown]
	v_mfma_f32_16x16x16_f16 v[22:25], v[34:35], v[154:155], v[22:25]
	s_waitcnt lgkmcnt(2)
	v_perm_b32 v34, v28, v26, s59
	s_waitcnt lgkmcnt(0)
	v_perm_b32 v35, v32, v30, s59
	ds_read_u16 v26, v191 offset:8736
	ds_read_u16 v28, v191 offset:9008
	;; [unrolled: 1-line block ×4, first 2 shown]
	v_cvt_f16_f32_e32 v1, v22
	v_cvt_f16_f32_e32 v23, v23
	;; [unrolled: 1-line block ×4, first 2 shown]
	v_cvt_f32_f16_e32 v22, v1
	v_cvt_f32_f16_e32 v23, v23
	;; [unrolled: 1-line block ×5, first 2 shown]
	v_cvt_f32_f16_sdwa v37, v27 dst_sel:DWORD dst_unused:UNUSED_PAD src0_sel:WORD_1
	v_mfma_f32_16x16x16_f16 v[22:25], v[34:35], v[152:153], v[22:25]
	s_waitcnt lgkmcnt(0)
	v_perm_b32 v35, v32, v30, s59
	v_perm_b32 v34, v28, v26, s59
	ds_read_u16 v26, v191 offset:13088
	ds_read_u16 v28, v191 offset:13360
	;; [unrolled: 1-line block ×4, first 2 shown]
	s_nop 0
	v_cvt_f16_f32_e32 v1, v22
	v_cvt_f16_f32_e32 v23, v23
	;; [unrolled: 1-line block ×4, first 2 shown]
	v_cvt_f32_f16_e32 v22, v1
	v_cvt_f32_f16_e32 v23, v23
	;; [unrolled: 1-line block ×4, first 2 shown]
	s_nop 1
	v_mfma_f32_16x16x16_f16 v[22:25], v[34:35], v[150:151], v[22:25]
	s_waitcnt lgkmcnt(0)
	v_perm_b32 v35, v32, v30, s59
	v_perm_b32 v34, v28, v26, s59
	s_nop 4
	v_cvt_f16_f32_e32 v1, v22
	v_cvt_f16_f32_e32 v23, v23
	;; [unrolled: 1-line block ×4, first 2 shown]
	v_cvt_f32_f16_e32 v22, v1
	ds_read_u16 v1, v191 offset:64
	ds_read_u16 v26, v191 offset:336
	;; [unrolled: 1-line block ×4, first 2 shown]
	v_cvt_f32_f16_e32 v23, v23
	v_cvt_f32_f16_e32 v24, v24
	v_cvt_f32_f16_e32 v25, v25
	s_waitcnt lgkmcnt(2)
	v_perm_b32 v26, v26, v1, s59
	s_waitcnt lgkmcnt(0)
	v_perm_b32 v27, v30, v28, s59
	v_mfma_f32_16x16x16_f16 v[22:25], v[34:35], v[148:149], v[22:25]
	v_cvt_f32_f16_e32 v34, v29
	v_cvt_f32_f16_sdwa v35, v29 dst_sel:DWORD dst_unused:UNUSED_PAD src0_sel:WORD_1
	s_nop 1
	v_mfma_f32_16x16x16_f16 v[26:29], v[26:27], v[154:155], v[34:37]
	ds_read_u16 v30, v191 offset:4416
	ds_read_u16 v32, v191 offset:4688
	s_nop 0
	ds_read_u16 v34, v191 offset:4960
	ds_read_u16 v35, v192 offset:4416
	s_nop 2
	v_cvt_f16_f32_e32 v1, v26
	v_cvt_f16_f32_e32 v27, v27
	;; [unrolled: 1-line block ×4, first 2 shown]
	s_waitcnt lgkmcnt(0)
	v_perm_b32 v35, v35, v34, s59
	v_perm_b32 v34, v32, v30, s59
	v_cvt_f32_f16_e32 v26, v1
	v_cvt_f32_f16_e32 v27, v27
	;; [unrolled: 1-line block ×4, first 2 shown]
	s_nop 1
	v_mfma_f32_16x16x16_f16 v[26:29], v[34:35], v[152:153], v[26:29]
	ds_read_u16 v30, v191 offset:8768
	ds_read_u16 v32, v191 offset:9040
	;; [unrolled: 1-line block ×4, first 2 shown]
	s_nop 3
	v_cvt_f16_f32_e32 v1, v26
	v_cvt_f16_f32_e32 v27, v27
	;; [unrolled: 1-line block ×4, first 2 shown]
	s_waitcnt lgkmcnt(0)
	v_perm_b32 v35, v35, v34, s59
	v_perm_b32 v34, v32, v30, s59
	v_cvt_f32_f16_e32 v26, v1
	v_cvt_f32_f16_e32 v27, v27
	;; [unrolled: 1-line block ×4, first 2 shown]
	s_nop 1
	v_mfma_f32_16x16x16_f16 v[26:29], v[34:35], v[150:151], v[26:29]
	ds_read_u16 v30, v191 offset:13120
	ds_read_u16 v32, v191 offset:13392
	;; [unrolled: 1-line block ×4, first 2 shown]
	s_nop 3
	v_cvt_f16_f32_e32 v1, v26
	v_cvt_f16_f32_e32 v27, v27
	;; [unrolled: 1-line block ×4, first 2 shown]
	v_cvt_f32_f16_e32 v26, v1
	s_waitcnt lgkmcnt(0)
	v_perm_b32 v35, v35, v34, s59
	v_perm_b32 v34, v32, v30, s59
	ds_read_u16 v1, v191 offset:96
	ds_read_u16 v30, v191 offset:368
	;; [unrolled: 1-line block ×4, first 2 shown]
	v_cvt_f32_f16_e32 v27, v27
	v_cvt_f32_f16_e32 v28, v28
	;; [unrolled: 1-line block ×3, first 2 shown]
	s_waitcnt lgkmcnt(2)
	v_perm_b32 v30, v30, v1, s59
	v_cvt_f32_f16_e32 v32, v33
	v_mfma_f32_16x16x16_f16 v[26:29], v[34:35], v[148:149], v[26:29]
	v_cvt_f32_f16_e32 v34, v31
	v_cvt_f32_f16_sdwa v35, v31 dst_sel:DWORD dst_unused:UNUSED_PAD src0_sel:WORD_1
	s_waitcnt lgkmcnt(0)
	v_perm_b32 v31, v37, v36, s59
	v_cvt_f32_f16_sdwa v33, v33 dst_sel:DWORD dst_unused:UNUSED_PAD src0_sel:WORD_1
	s_nop 1
	v_mfma_f32_16x16x16_f16 v[30:33], v[30:31], v[154:155], v[32:35]
	s_nop 2
	ds_read_u16 v34, v191 offset:4448
	ds_read_u16 v36, v191 offset:4720
	ds_read_u16 v35, v191 offset:4992
	ds_read_u16 v37, v192 offset:4448
	s_nop 0
	v_cvt_f16_f32_e32 v1, v30
	v_cvt_f16_f32_e32 v31, v31
	;; [unrolled: 1-line block ×4, first 2 shown]
	s_waitcnt lgkmcnt(0)
	v_perm_b32 v35, v37, v35, s59
	v_perm_b32 v34, v36, v34, s59
	v_cvt_f32_f16_e32 v30, v1
	v_cvt_f32_f16_e32 v31, v31
	;; [unrolled: 1-line block ×4, first 2 shown]
	s_nop 1
	v_mfma_f32_16x16x16_f16 v[30:33], v[34:35], v[152:153], v[30:33]
	ds_read_u16 v34, v191 offset:8800
	ds_read_u16 v36, v191 offset:9072
	;; [unrolled: 1-line block ×4, first 2 shown]
	s_nop 3
	v_cvt_f16_f32_e32 v1, v30
	v_cvt_f16_f32_e32 v31, v31
	;; [unrolled: 1-line block ×4, first 2 shown]
	s_waitcnt lgkmcnt(0)
	v_perm_b32 v35, v37, v35, s59
	v_perm_b32 v34, v36, v34, s59
	v_cvt_f32_f16_e32 v30, v1
	v_cvt_f32_f16_e32 v31, v31
	;; [unrolled: 1-line block ×4, first 2 shown]
	s_nop 1
	v_mfma_f32_16x16x16_f16 v[30:33], v[34:35], v[150:151], v[30:33]
	ds_read_u16 v34, v191 offset:13152
	ds_read_u16 v36, v191 offset:13424
	;; [unrolled: 1-line block ×4, first 2 shown]
	s_nop 3
	v_cvt_f16_f32_e32 v1, v30
	v_cvt_f16_f32_e32 v31, v31
	;; [unrolled: 1-line block ×4, first 2 shown]
	v_cvt_f32_f16_e32 v30, v1
	ds_read_u16 v1, v191 offset:128
	ds_read_u16 v38, v191 offset:400
	;; [unrolled: 1-line block ×4, first 2 shown]
	s_waitcnt lgkmcnt(4)
	v_perm_b32 v35, v37, v35, s59
	v_perm_b32 v34, v36, v34, s59
	v_cvt_f32_f16_e32 v31, v31
	v_cvt_f32_f16_e32 v32, v32
	;; [unrolled: 1-line block ×3, first 2 shown]
	s_waitcnt lgkmcnt(0)
	v_perm_b32 v39, v40, v39, s59
	v_perm_b32 v38, v38, v1, s59
	v_mfma_f32_16x16x16_f16 v[30:33], v[34:35], v[148:149], v[30:33]
	v_cvt_f32_f16_e32 v34, v85
	v_cvt_f32_f16_sdwa v35, v85 dst_sel:DWORD dst_unused:UNUSED_PAD src0_sel:WORD_1
	v_cvt_f32_f16_e32 v36, v84
	v_cvt_f32_f16_sdwa v37, v84 dst_sel:DWORD dst_unused:UNUSED_PAD src0_sel:WORD_1
	v_cvt_f32_f16_e32 v84, v44
	v_cvt_f32_f16_sdwa v85, v44 dst_sel:DWORD dst_unused:UNUSED_PAD src0_sel:WORD_1
	v_mfma_f32_16x16x16_f16 v[34:37], v[38:39], v[154:155], v[34:37]
	ds_read_u16 v38, v191 offset:4480
	ds_read_u16 v40, v191 offset:4752
	;; [unrolled: 1-line block ×4, first 2 shown]
	s_nop 3
	v_cvt_f16_f32_e32 v1, v34
	v_cvt_f16_f32_e32 v35, v35
	;; [unrolled: 1-line block ×4, first 2 shown]
	s_waitcnt lgkmcnt(0)
	v_perm_b32 v39, v41, v39, s59
	v_perm_b32 v38, v40, v38, s59
	v_cvt_f32_f16_e32 v34, v1
	v_cvt_f32_f16_e32 v35, v35
	;; [unrolled: 1-line block ×4, first 2 shown]
	s_nop 1
	v_mfma_f32_16x16x16_f16 v[34:37], v[38:39], v[152:153], v[34:37]
	ds_read_u16 v38, v191 offset:8832
	ds_read_u16 v40, v191 offset:9104
	;; [unrolled: 1-line block ×4, first 2 shown]
	s_nop 3
	v_cvt_f16_f32_e32 v1, v34
	v_cvt_f16_f32_e32 v35, v35
	;; [unrolled: 1-line block ×4, first 2 shown]
	s_waitcnt lgkmcnt(0)
	v_perm_b32 v39, v41, v39, s59
	v_perm_b32 v38, v40, v38, s59
	v_cvt_f32_f16_e32 v34, v1
	v_cvt_f32_f16_e32 v35, v35
	;; [unrolled: 1-line block ×4, first 2 shown]
	s_nop 1
	v_mfma_f32_16x16x16_f16 v[34:37], v[38:39], v[150:151], v[34:37]
	ds_read_u16 v38, v191 offset:13184
	ds_read_u16 v40, v191 offset:13456
	;; [unrolled: 1-line block ×4, first 2 shown]
	s_nop 3
	v_cvt_f16_f32_e32 v1, v34
	v_cvt_f16_f32_e32 v35, v35
	;; [unrolled: 1-line block ×4, first 2 shown]
	v_cvt_f32_f16_e32 v34, v1
	ds_read_u16 v1, v191 offset:160
	ds_read_u16 v42, v191 offset:432
	;; [unrolled: 1-line block ×4, first 2 shown]
	s_waitcnt lgkmcnt(4)
	v_perm_b32 v39, v41, v39, s59
	v_perm_b32 v38, v40, v38, s59
	v_cvt_f32_f16_e32 v35, v35
	v_cvt_f32_f16_e32 v36, v36
	;; [unrolled: 1-line block ×3, first 2 shown]
	s_waitcnt lgkmcnt(0)
	v_perm_b32 v43, v48, v43, s59
	v_perm_b32 v42, v42, v1, s59
	v_mfma_f32_16x16x16_f16 v[34:37], v[38:39], v[148:149], v[34:37]
	v_cvt_f32_f16_e32 v38, v83
	v_cvt_f32_f16_sdwa v39, v83 dst_sel:DWORD dst_unused:UNUSED_PAD src0_sel:WORD_1
	v_cvt_f32_f16_e32 v40, v82
	v_cvt_f32_f16_sdwa v41, v82 dst_sel:DWORD dst_unused:UNUSED_PAD src0_sel:WORD_1
	;; [unrolled: 2-line block ×3, first 2 shown]
	v_mfma_f32_16x16x16_f16 v[38:41], v[42:43], v[154:155], v[38:41]
	ds_read_u16 v42, v191 offset:4512
	ds_read_u16 v48, v191 offset:4784
	;; [unrolled: 1-line block ×4, first 2 shown]
	v_cvt_pk_f16_f32 v35, v34, v35
	v_cvt_pk_f16_f32 v34, v36, v37
	s_nop 1
	v_cvt_f16_f32_e32 v1, v38
	v_cvt_f16_f32_e32 v39, v39
	;; [unrolled: 1-line block ×4, first 2 shown]
	s_waitcnt lgkmcnt(0)
	v_perm_b32 v43, v72, v43, s59
	v_perm_b32 v42, v48, v42, s59
	v_cvt_f32_f16_e32 v38, v1
	v_cvt_f32_f16_e32 v39, v39
	;; [unrolled: 1-line block ×4, first 2 shown]
	v_cvt_pk_f16_f32 v37, v30, v31
	v_cvt_pk_f16_f32 v36, v32, v33
	v_mfma_f32_16x16x16_f16 v[38:41], v[42:43], v[152:153], v[38:41]
	ds_read_u16 v42, v191 offset:8864
	ds_read_u16 v48, v191 offset:9136
	;; [unrolled: 1-line block ×4, first 2 shown]
	s_nop 3
	v_cvt_f16_f32_e32 v1, v38
	v_cvt_f16_f32_e32 v39, v39
	;; [unrolled: 1-line block ×4, first 2 shown]
	s_waitcnt lgkmcnt(0)
	v_perm_b32 v43, v72, v43, s59
	v_perm_b32 v42, v48, v42, s59
	v_cvt_f32_f16_e32 v38, v1
	v_cvt_f32_f16_e32 v39, v39
	;; [unrolled: 1-line block ×4, first 2 shown]
	s_nop 1
	v_mfma_f32_16x16x16_f16 v[38:41], v[42:43], v[150:151], v[38:41]
	ds_read_u16 v42, v191 offset:13216
	ds_read_u16 v48, v191 offset:13488
	;; [unrolled: 1-line block ×4, first 2 shown]
	s_nop 3
	v_cvt_f16_f32_e32 v1, v38
	v_cvt_f16_f32_e32 v39, v39
	;; [unrolled: 1-line block ×4, first 2 shown]
	s_waitcnt lgkmcnt(0)
	v_perm_b32 v43, v72, v43, s59
	v_perm_b32 v42, v48, v42, s59
	v_cvt_f32_f16_e32 v38, v1
	v_cvt_f32_f16_e32 v39, v39
	;; [unrolled: 1-line block ×4, first 2 shown]
	s_nop 1
	v_mfma_f32_16x16x16_f16 v[38:41], v[42:43], v[148:149], v[38:41]
	ds_read_u16 v1, v191 offset:192
	ds_read_u16 v42, v191 offset:464
	;; [unrolled: 1-line block ×4, first 2 shown]
	s_waitcnt lgkmcnt(2)
	v_perm_b32 v42, v42, v1, s59
	s_waitcnt lgkmcnt(0)
	v_perm_b32 v43, v48, v43, s59
	s_nop 1
	v_mfma_f32_16x16x16_f16 v[42:45], v[42:43], v[154:155], v[82:85]
	ds_read_u16 v48, v191 offset:4544
	ds_read_u16 v72, v191 offset:4816
	;; [unrolled: 1-line block ×4, first 2 shown]
	v_cvt_f32_f16_sdwa v83, v81 dst_sel:DWORD dst_unused:UNUSED_PAD src0_sel:WORD_1
	v_cvt_f32_f16_e32 v84, v80
	s_nop 1
	v_cvt_f16_f32_e32 v1, v42
	v_cvt_f16_f32_e32 v43, v43
	;; [unrolled: 1-line block ×4, first 2 shown]
	s_waitcnt lgkmcnt(0)
	v_perm_b32 v73, v82, v73, s59
	v_perm_b32 v72, v72, v48, s59
	v_cvt_f32_f16_e32 v42, v1
	v_cvt_f32_f16_e32 v43, v43
	;; [unrolled: 1-line block ×4, first 2 shown]
	v_cvt_f32_f16_sdwa v85, v80 dst_sel:DWORD dst_unused:UNUSED_PAD src0_sel:WORD_1
	s_nop 0
	v_mfma_f32_16x16x16_f16 v[42:45], v[72:73], v[152:153], v[42:45]
	ds_read_u16 v48, v191 offset:8896
	ds_read_u16 v72, v191 offset:9168
	;; [unrolled: 1-line block ×4, first 2 shown]
	s_nop 3
	v_cvt_f16_f32_e32 v1, v42
	v_cvt_f16_f32_e32 v43, v43
	;; [unrolled: 1-line block ×4, first 2 shown]
	s_waitcnt lgkmcnt(0)
	v_perm_b32 v73, v82, v73, s59
	v_perm_b32 v72, v72, v48, s59
	v_cvt_f32_f16_e32 v42, v1
	v_cvt_f32_f16_e32 v43, v43
	;; [unrolled: 1-line block ×4, first 2 shown]
	s_nop 1
	v_mfma_f32_16x16x16_f16 v[42:45], v[72:73], v[150:151], v[42:45]
	ds_read_u16 v48, v191 offset:13248
	ds_read_u16 v72, v191 offset:13520
	;; [unrolled: 1-line block ×4, first 2 shown]
	s_nop 3
	v_cvt_f16_f32_e32 v1, v42
	v_cvt_f16_f32_e32 v43, v43
	;; [unrolled: 1-line block ×4, first 2 shown]
	s_waitcnt lgkmcnt(0)
	v_perm_b32 v73, v82, v73, s59
	v_perm_b32 v72, v72, v48, s59
	v_cvt_f32_f16_e32 v42, v1
	v_cvt_f32_f16_e32 v43, v43
	;; [unrolled: 1-line block ×5, first 2 shown]
	s_nop 0
	v_mfma_f32_16x16x16_f16 v[42:45], v[72:73], v[148:149], v[42:45]
	ds_read_u16 v1, v191 offset:224
	ds_read_u16 v48, v191 offset:496
	;; [unrolled: 1-line block ×4, first 2 shown]
	s_nop 3
	v_cvt_pk_f16_f32 v43, v42, v43
	v_cvt_pk_f16_f32 v42, v44, v45
	s_waitcnt lgkmcnt(0)
	v_perm_b32 v73, v73, v72, s59
	v_perm_b32 v72, v48, v1, s59
	v_cvt_pk_f16_f32 v44, v38, v39
	v_cvt_pk_f16_f32 v39, v40, v41
	v_mfma_f32_16x16x16_f16 v[80:83], v[72:73], v[154:155], v[82:85]
	s_nop 2
	ds_read_u16 v84, v191 offset:4576
	ds_read_u16 v85, v191 offset:4848
	;; [unrolled: 1-line block ×4, first 2 shown]
	v_cvt_pk_f16_f32 v38, v26, v27
	v_cvt_pk_f16_f32 v40, v28, v29
	v_cvt_f16_f32_e32 v72, v82
	v_cvt_f16_f32_e32 v73, v83
	;; [unrolled: 1-line block ×4, first 2 shown]
	v_cvt_f32_f16_e32 v82, v72
	v_cvt_f32_f16_e32 v83, v73
	s_waitcnt lgkmcnt(0)
	v_perm_b32 v73, v87, v86, s59
	v_perm_b32 v72, v85, v84, s59
	v_cvt_f32_f16_e32 v80, v1
	v_cvt_f32_f16_e32 v81, v48
	ds_read_u16 v84, v191 offset:8928
	ds_read_u16 v85, v191 offset:9200
	;; [unrolled: 1-line block ×4, first 2 shown]
	v_mfma_f32_16x16x16_f16 v[80:83], v[72:73], v[152:153], v[80:83]
	v_cvt_pk_f16_f32 v45, v22, v23
	v_cvt_pk_f16_f32 v41, v24, v25
	s_nop 5
	v_cvt_f16_f32_e32 v72, v82
	v_cvt_f16_f32_e32 v73, v83
	;; [unrolled: 1-line block ×4, first 2 shown]
	v_cvt_f32_f16_e32 v82, v72
	v_cvt_f32_f16_e32 v83, v73
	s_waitcnt lgkmcnt(0)
	v_perm_b32 v73, v87, v86, s59
	v_perm_b32 v72, v85, v84, s59
	v_cvt_f32_f16_e32 v80, v1
	v_cvt_f32_f16_e32 v81, v48
	s_nop 1
	v_mfma_f32_16x16x16_f16 v[80:83], v[72:73], v[150:151], v[80:83]
	s_nop 7
	v_cvt_f16_f32_e32 v72, v80
	v_cvt_f16_f32_e32 v73, v81
	;; [unrolled: 1-line block ×4, first 2 shown]
	ds_read_u16 v1, v191 offset:13280
	ds_read_u16 v48, v191 offset:13552
	ds_read_u16 v82, v191 offset:13824
	ds_read_u16 v83, v192 offset:13280
	v_cvt_f32_f16_e32 v84, v72
	v_cvt_f32_f16_e32 v85, v73
	s_waitcnt lgkmcnt(2)
	v_perm_b32 v72, v48, v1, s59
	v_cvt_f32_f16_e32 v86, v80
	s_waitcnt lgkmcnt(0)
	v_perm_b32 v73, v83, v82, s59
	v_cvt_f32_f16_e32 v87, v81
	s_barrier
	s_nop 0
	v_mfma_f32_16x16x16_f16 v[80:83], v[72:73], v[148:149], v[84:87]
	s_nop 7
	v_cvt_pk_f16_f32 v80, v80, v81
	v_cvt_pk_f16_f32 v86, v82, v83
	;; [unrolled: 1-line block ×4, first 2 shown]
	s_cbranch_scc0 .LBB24_104
; %bb.101:                              ;   in Loop: Header=BB24_88 Depth=2
	v_mov_b32_e32 v72, v78
	v_mov_b32_e32 v73, v77
	s_branch .LBB24_88
.LBB24_102:                             ;   in Loop: Header=BB24_13 Depth=1
	s_mov_b64 s[2:3], 0
                                        ; implicit-def: $vgpr2_vgpr3
                                        ; implicit-def: $vgpr213
	s_cbranch_execnz .LBB24_223
	s_branch .LBB24_422
.LBB24_103:                             ;   in Loop: Header=BB24_13 Depth=1
	v_mov_b32_e32 v77, 0xfeffffff
	v_mov_b32_e32 v78, 0
	;; [unrolled: 1-line block ×18, first 2 shown]
	s_branch .LBB24_105
.LBB24_104:                             ;   in Loop: Header=BB24_13 Depth=1
	v_add_u32_e32 v88, 12, v172
	v_add_u32_e32 v89, 8, v172
	;; [unrolled: 1-line block ×3, first 2 shown]
	v_mbcnt_lo_u32_b32 v146, -1, 0
	v_mov_b32_e32 v117, v0
.LBB24_105:                             ;   in Loop: Header=BB24_13 Depth=1
	s_lshl_b32 s50, s50, 6
	v_readlane_b32 s2, v254, 4
	v_cmp_eq_u64_e32 vcc, 0, v[98:99]
	s_sub_i32 s38, s2, s50
	v_cmp_ne_u64_e64 s[80:81], 0, v[98:99]
	s_ashr_i32 s51, s50, 31
	v_readlane_b32 s3, v254, 5
	s_cbranch_vccnz .LBB24_123
; %bb.106:                              ;   in Loop: Header=BB24_13 Depth=1
	v_cmp_le_i32_e32 vcc, s38, v46
	s_and_saveexec_b64 s[2:3], vcc
	s_xor_b64 s[2:3], exec, s[2:3]
	s_cbranch_execz .LBB24_108
; %bb.107:                              ;   in Loop: Header=BB24_13 Depth=1
	ds_write_b16 v177, v49 offset:17408
	ds_write_b16 v243, v49 offset:17408
.LBB24_108:                             ;   in Loop: Header=BB24_13 Depth=1
	s_or_saveexec_b64 s[2:3], s[2:3]
	s_lshl_b64 s[40:41], s[50:51], 1
	v_lshl_add_u64 v[18:19], v[98:99], 0, s[40:41]
	v_lshlrev_b32_e32 v48, 1, v46
	v_lshl_add_u64 v[18:19], v[18:19], 0, v[48:49]
	v_mov_b32_e32 v1, 0
	v_mov_b32_e32 v20, 0
	s_xor_b64 exec, exec, s[2:3]
	s_cbranch_execz .LBB24_110
; %bb.109:                              ;   in Loop: Header=BB24_13 Depth=1
	v_mul_hi_u32 v1, s56, v216
	v_add_u32_e32 v1, v216, v1
	v_lshrrev_b32_e32 v1, s57, v1
	v_mul_lo_u32 v1, v1, s68
	v_sub_u32_e32 v1, v216, v1
	v_mad_i64_i32 v[20:21], s[40:41], v1, s96, 0
	v_lshl_add_u64 v[20:21], v[20:21], 1, v[18:19]
	global_load_ushort v1, v[20:21], off
	v_mul_hi_u32 v20, s56, v76
	v_add_u32_e32 v20, v76, v20
	v_lshrrev_b32_e32 v20, s57, v20
	v_mul_lo_u32 v20, v20, s68
	v_sub_u32_e32 v20, v76, v20
	v_mad_i64_i32 v[20:21], s[40:41], v20, s96, 0
	v_lshl_add_u64 v[20:21], v[20:21], 1, v[18:19]
	global_load_ushort v20, v[20:21], off
	s_waitcnt vmcnt(1)
	ds_write_b16 v177, v1 offset:17408
	s_waitcnt vmcnt(0)
	ds_write_b16 v243, v20 offset:17408
	v_mul_hi_u32 v1, s56, v214
	v_add_u32_e32 v1, v214, v1
	v_lshrrev_b32_e32 v1, s57, v1
	v_mul_lo_u32 v1, v1, s68
	v_sub_u32_e32 v1, v214, v1
	v_mad_i64_i32 v[20:21], s[40:41], v1, s96, 0
	v_lshl_add_u64 v[20:21], v[20:21], 1, v[18:19]
	global_load_ushort v1, v[20:21], off
	v_mul_hi_u32 v20, s56, v212
	v_add_u32_e32 v20, v212, v20
	v_lshrrev_b32_e32 v20, s57, v20
	v_mul_lo_u32 v20, v20, s68
	v_sub_u32_e32 v20, v212, v20
	v_mad_i64_i32 v[20:21], s[40:41], v20, s96, 0
	v_lshl_add_u64 v[20:21], v[20:21], 1, v[18:19]
	global_load_ushort v20, v[20:21], off
.LBB24_110:                             ;   in Loop: Header=BB24_13 Depth=1
	s_or_b64 exec, exec, s[2:3]
	s_waitcnt vmcnt(1)
	ds_write_b16 v244, v1 offset:17408
	s_waitcnt vmcnt(0)
	ds_write_b16 v245, v20 offset:17408
	s_and_saveexec_b64 s[2:3], vcc
	s_xor_b64 s[2:3], exec, s[2:3]
	s_cbranch_execz .LBB24_112
; %bb.111:                              ;   in Loop: Header=BB24_13 Depth=1
	ds_write_b16 v246, v49 offset:17408
	ds_write_b16 v247, v49 offset:17408
.LBB24_112:                             ;   in Loop: Header=BB24_13 Depth=1
	s_or_saveexec_b64 s[2:3], s[2:3]
	v_mov_b32_e32 v1, 0
	v_mov_b32_e32 v20, 0
	s_xor_b64 exec, exec, s[2:3]
	s_cbranch_execz .LBB24_114
; %bb.113:                              ;   in Loop: Header=BB24_13 Depth=1
	v_mul_hi_u32 v1, s56, v211
	v_add_u32_e32 v1, v211, v1
	v_lshrrev_b32_e32 v1, s57, v1
	v_mul_lo_u32 v1, v1, s68
	v_sub_u32_e32 v1, v211, v1
	v_mad_i64_i32 v[20:21], s[40:41], v1, s96, 0
	v_lshl_add_u64 v[20:21], v[20:21], 1, v[18:19]
	global_load_ushort v1, v[20:21], off
	v_mul_hi_u32 v20, s56, v210
	v_add_u32_e32 v20, v210, v20
	v_lshrrev_b32_e32 v20, s57, v20
	v_mul_lo_u32 v20, v20, s68
	v_sub_u32_e32 v20, v210, v20
	v_mad_i64_i32 v[20:21], s[40:41], v20, s96, 0
	v_lshl_add_u64 v[20:21], v[20:21], 1, v[18:19]
	global_load_ushort v20, v[20:21], off
	s_waitcnt vmcnt(1)
	ds_write_b16 v246, v1 offset:17408
	s_waitcnt vmcnt(0)
	ds_write_b16 v247, v20 offset:17408
	v_mul_hi_u32 v1, s56, v207
	v_add_u32_e32 v1, v207, v1
	v_lshrrev_b32_e32 v1, s57, v1
	v_mul_lo_u32 v1, v1, s68
	v_sub_u32_e32 v1, v207, v1
	v_mad_i64_i32 v[20:21], s[40:41], v1, s96, 0
	v_lshl_add_u64 v[20:21], v[20:21], 1, v[18:19]
	global_load_ushort v1, v[20:21], off
	v_mul_hi_u32 v20, s56, v206
	v_add_u32_e32 v20, v206, v20
	v_lshrrev_b32_e32 v20, s57, v20
	v_mul_lo_u32 v20, v20, s68
	v_sub_u32_e32 v20, v206, v20
	v_mad_i64_i32 v[20:21], s[40:41], v20, s96, 0
	v_lshl_add_u64 v[20:21], v[20:21], 1, v[18:19]
	global_load_ushort v20, v[20:21], off
.LBB24_114:                             ;   in Loop: Header=BB24_13 Depth=1
	s_or_b64 exec, exec, s[2:3]
	s_waitcnt vmcnt(1)
	ds_write_b16 v248, v1 offset:17408
	s_waitcnt vmcnt(0)
	ds_write_b16 v249, v20 offset:17408
	s_and_saveexec_b64 s[2:3], vcc
	s_xor_b64 s[2:3], exec, s[2:3]
	s_cbranch_execz .LBB24_116
; %bb.115:                              ;   in Loop: Header=BB24_13 Depth=1
	ds_write_b16 v250, v49 offset:17408
	ds_write_b16 v251, v49 offset:17408
.LBB24_116:                             ;   in Loop: Header=BB24_13 Depth=1
	s_or_saveexec_b64 s[2:3], s[2:3]
	v_mov_b32_e32 v1, 0
	v_mov_b32_e32 v20, 0
	s_xor_b64 exec, exec, s[2:3]
	s_cbranch_execz .LBB24_118
; %bb.117:                              ;   in Loop: Header=BB24_13 Depth=1
	v_mul_hi_u32 v1, s56, v205
	v_add_u32_e32 v1, v205, v1
	v_lshrrev_b32_e32 v1, s57, v1
	v_mul_lo_u32 v1, v1, s68
	v_sub_u32_e32 v1, v205, v1
	v_mad_i64_i32 v[20:21], s[40:41], v1, s96, 0
	v_lshl_add_u64 v[20:21], v[20:21], 1, v[18:19]
	global_load_ushort v1, v[20:21], off
	v_mul_hi_u32 v20, s56, v159
	v_add_u32_e32 v20, v159, v20
	v_lshrrev_b32_e32 v20, s57, v20
	v_mul_lo_u32 v20, v20, s68
	v_sub_u32_e32 v20, v159, v20
	v_mad_i64_i32 v[20:21], s[40:41], v20, s96, 0
	v_lshl_add_u64 v[20:21], v[20:21], 1, v[18:19]
	global_load_ushort v20, v[20:21], off
	s_waitcnt vmcnt(1)
	ds_write_b16 v250, v1 offset:17408
	s_waitcnt vmcnt(0)
	ds_write_b16 v251, v20 offset:17408
	v_mul_hi_u32 v1, s56, v75
	v_add_u32_e32 v1, v75, v1
	v_lshrrev_b32_e32 v1, s57, v1
	v_mul_lo_u32 v1, v1, s68
	v_sub_u32_e32 v1, v75, v1
	v_mad_i64_i32 v[20:21], s[40:41], v1, s96, 0
	v_lshl_add_u64 v[20:21], v[20:21], 1, v[18:19]
	global_load_ushort v1, v[20:21], off
	v_mul_hi_u32 v20, s56, v74
	v_add_u32_e32 v20, v74, v20
	v_lshrrev_b32_e32 v20, s57, v20
	v_mul_lo_u32 v20, v20, s68
	v_sub_u32_e32 v20, v74, v20
	v_mad_i64_i32 v[20:21], s[40:41], v20, s96, 0
	v_lshl_add_u64 v[20:21], v[20:21], 1, v[18:19]
	global_load_ushort v20, v[20:21], off
.LBB24_118:                             ;   in Loop: Header=BB24_13 Depth=1
	s_or_b64 exec, exec, s[2:3]
	s_waitcnt vmcnt(1)
	ds_write_b16 v252, v1 offset:17408
	s_waitcnt vmcnt(0)
	ds_write_b16 v253, v20 offset:17408
	s_and_saveexec_b64 s[2:3], vcc
	s_xor_b64 s[2:3], exec, s[2:3]
	s_cbranch_execz .LBB24_120
; %bb.119:                              ;   in Loop: Header=BB24_13 Depth=1
	ds_write_b16 v236, v49 offset:17408
	ds_write_b16 v234, v49 offset:17408
                                        ; implicit-def: $vgpr18_vgpr19
.LBB24_120:                             ;   in Loop: Header=BB24_13 Depth=1
	s_or_saveexec_b64 s[2:3], s[2:3]
	v_mov_b32_e32 v1, 0
	v_mov_b32_e32 v20, 0
	s_xor_b64 exec, exec, s[2:3]
	s_cbranch_execz .LBB24_122
; %bb.121:                              ;   in Loop: Header=BB24_13 Depth=1
	v_mul_hi_u32 v1, s56, v158
	v_add_u32_e32 v1, v158, v1
	v_lshrrev_b32_e32 v1, s57, v1
	v_mul_lo_u32 v1, v1, s68
	v_sub_u32_e32 v1, v158, v1
	v_mad_i64_i32 v[20:21], s[40:41], v1, s96, 0
	v_lshl_add_u64 v[20:21], v[20:21], 1, v[18:19]
	global_load_ushort v1, v[20:21], off
	v_mul_hi_u32 v20, s56, v157
	v_add_u32_e32 v20, v157, v20
	v_lshrrev_b32_e32 v20, s57, v20
	v_mul_lo_u32 v20, v20, s68
	v_sub_u32_e32 v20, v157, v20
	v_mad_i64_i32 v[20:21], s[40:41], v20, s96, 0
	v_lshl_add_u64 v[20:21], v[20:21], 1, v[18:19]
	global_load_ushort v20, v[20:21], off
	s_waitcnt vmcnt(1)
	ds_write_b16 v236, v1 offset:17408
	s_waitcnt vmcnt(0)
	ds_write_b16 v234, v20 offset:17408
	v_mul_hi_u32 v1, s56, v47
	v_add_u32_e32 v1, v47, v1
	v_lshrrev_b32_e32 v1, s57, v1
	v_mul_lo_u32 v1, v1, s68
	v_sub_u32_e32 v1, v47, v1
	v_mad_i64_i32 v[20:21], s[40:41], v1, s96, 0
	v_lshl_add_u64 v[20:21], v[20:21], 1, v[18:19]
	global_load_ushort v1, v[20:21], off
	v_mul_hi_u32 v20, s56, v213
	v_add_u32_e32 v20, v213, v20
	v_lshrrev_b32_e32 v20, s57, v20
	v_mul_lo_u32 v20, v20, s68
	v_sub_u32_e32 v20, v213, v20
	v_mad_i64_i32 v[20:21], s[40:41], v20, s96, 0
	v_lshl_add_u64 v[18:19], v[20:21], 1, v[18:19]
	global_load_ushort v20, v[18:19], off
.LBB24_122:                             ;   in Loop: Header=BB24_13 Depth=1
	s_or_b64 exec, exec, s[2:3]
	s_waitcnt vmcnt(1)
	ds_write_b16 v237, v1 offset:17408
	s_waitcnt vmcnt(0)
	ds_write_b16 v232, v20 offset:17408
.LBB24_123:                             ;   in Loop: Header=BB24_13 Depth=1
	s_mul_hi_i32 s3, s50, s52
	s_mul_i32 s2, s50, s52
	s_lshl_b64 s[2:3], s[2:3], 2
	v_lshl_add_u64 v[18:19], v[100:101], 0, s[2:3]
	v_lshl_add_u64 v[20:21], v[54:55], 2, v[18:19]
	v_lshlrev_b32_e32 v48, 2, v52
	v_cmp_gt_i32_e64 s[72:73], s38, v178
	v_lshl_add_u64 v[20:21], v[20:21], 0, v[48:49]
	v_mov_b32_e32 v1, s55
	v_lshl_add_u64 v[22:23], v[56:57], 2, v[18:19]
	v_lshl_add_u64 v[24:25], v[58:59], 2, v[18:19]
	;; [unrolled: 1-line block ×3, first 2 shown]
	v_cndmask_b32_e64 v21, v1, v21, s[72:73]
	v_cndmask_b32_e64 v20, v176, v20, s[72:73]
	v_cmp_gt_i32_e64 s[78:79], s38, v240
	v_lshl_add_u64 v[18:19], v[18:19], 0, v[48:49]
	scratch_store_dwordx4 off, v[222:225], off
	v_cndmask_b32_e64 v27, v1, v19, s[78:79]
	v_cndmask_b32_e64 v26, v176, v18, s[78:79]
	flat_load_dwordx4 v[18:21], v[20:21]
	v_cmp_gt_i32_e64 s[74:75], s38, v235
	v_lshl_add_u64 v[22:23], v[22:23], 0, v[48:49]
	v_cmp_gt_i32_e64 s[76:77], s38, v229
	v_cndmask_b32_e64 v23, v1, v23, s[74:75]
	v_cndmask_b32_e64 v22, v176, v22, s[74:75]
	v_lshl_add_u64 v[24:25], v[24:25], 0, v[48:49]
	v_cndmask_b32_e64 v25, v1, v25, s[76:77]
	v_cndmask_b32_e64 v24, v176, v24, s[76:77]
	v_add_u32_e32 v1, 0x1000, v180
	v_writelane_b32 v255, s98, 44
	s_andn2_b64 vcc, exec, s[80:81]
	s_waitcnt vmcnt(0) lgkmcnt(0)
	ds_write_b128 v179, v[18:21]
	flat_load_dwordx4 v[18:21], v[22:23]
	v_writelane_b32 v255, s99, 45
	s_waitcnt vmcnt(0) lgkmcnt(0)
	ds_write_b128 v233, v[18:21]
	flat_load_dwordx4 v[18:21], v[24:25]
	s_waitcnt vmcnt(0) lgkmcnt(0)
	ds_write_b128 v231, v[18:21]
	flat_load_dwordx4 v[18:21], v[26:27]
	s_waitcnt vmcnt(0) lgkmcnt(0)
	ds_write_b128 v227, v[18:21]
	s_waitcnt lgkmcnt(0)
	s_barrier
	ds_read2_b64 v[18:21], v180 offset1:4
	s_waitcnt lgkmcnt(0)
	v_mfma_f32_16x16x16_f16 v[22:25], v[18:19], v[14:15], 0
	v_mfma_f32_16x16x16_f16 v[18:21], v[20:21], v[16:17], v[22:25]
	s_nop 6
	ds_read2_b64 v[22:25], v180 offset0:8 offset1:12
	s_waitcnt lgkmcnt(0)
	v_mfma_f32_16x16x16_f16 v[18:21], v[22:23], v[10:11], v[18:21]
	v_mfma_f32_16x16x16_f16 v[18:21], v[24:25], v[12:13], v[18:21]
	ds_read2_b64 v[22:25], v180 offset0:16 offset1:20
	s_waitcnt lgkmcnt(0)
	v_mfma_f32_16x16x16_f16 v[18:21], v[22:23], v[6:7], v[18:21]
	v_mfma_f32_16x16x16_f16 v[18:21], v[24:25], v[8:9], v[18:21]
	;; [unrolled: 4-line block ×3, first 2 shown]
	s_nop 6
	ds_read2_b64 v[18:21], v1 offset0:32 offset1:36
	s_waitcnt lgkmcnt(0)
	v_mfma_f32_16x16x16_f16 v[22:25], v[18:19], v[14:15], 0
	v_mfma_f32_16x16x16_f16 v[18:21], v[20:21], v[16:17], v[22:25]
	s_nop 6
	ds_read2_b64 v[22:25], v1 offset0:40 offset1:44
	s_waitcnt lgkmcnt(0)
	v_mfma_f32_16x16x16_f16 v[18:21], v[22:23], v[10:11], v[18:21]
	v_mfma_f32_16x16x16_f16 v[18:21], v[24:25], v[12:13], v[18:21]
	ds_read2_b64 v[22:25], v1 offset0:48 offset1:52
	s_waitcnt lgkmcnt(0)
	v_mfma_f32_16x16x16_f16 v[18:21], v[22:23], v[6:7], v[18:21]
	v_mfma_f32_16x16x16_f16 v[18:21], v[24:25], v[8:9], v[18:21]
	ds_read2_b64 v[22:25], v1 offset0:56 offset1:60
	v_add_u32_e32 v1, 0x2000, v180
	s_waitcnt lgkmcnt(0)
	v_mfma_f32_16x16x16_f16 v[18:21], v[22:23], v[2:3], v[18:21]
	v_mfma_f32_16x16x16_f16 v[22:25], v[24:25], v[4:5], v[18:21]
	s_nop 6
	ds_read2_b64 v[18:21], v1 offset0:64 offset1:68
	s_waitcnt lgkmcnt(0)
	v_mfma_f32_16x16x16_f16 v[30:33], v[18:19], v[14:15], 0
	v_mfma_f32_16x16x16_f16 v[18:21], v[20:21], v[16:17], v[30:33]
	s_nop 6
	ds_read2_b64 v[30:33], v1 offset0:72 offset1:76
	s_waitcnt lgkmcnt(0)
	v_mfma_f32_16x16x16_f16 v[18:21], v[30:31], v[10:11], v[18:21]
	v_mfma_f32_16x16x16_f16 v[18:21], v[32:33], v[12:13], v[18:21]
	ds_read2_b64 v[30:33], v1 offset0:80 offset1:84
	s_waitcnt lgkmcnt(0)
	v_mfma_f32_16x16x16_f16 v[18:21], v[30:31], v[6:7], v[18:21]
	v_mfma_f32_16x16x16_f16 v[18:21], v[32:33], v[8:9], v[18:21]
	ds_read2_b64 v[30:33], v1 offset0:88 offset1:92
	v_add_u32_e32 v1, 0x3000, v180
	s_waitcnt lgkmcnt(0)
	v_mfma_f32_16x16x16_f16 v[18:21], v[30:31], v[2:3], v[18:21]
	v_mfma_f32_16x16x16_f16 v[18:21], v[32:33], v[4:5], v[18:21]
	ds_read2_b64 v[30:33], v1 offset0:96 offset1:100
	s_waitcnt lgkmcnt(0)
	v_mfma_f32_16x16x16_f16 v[112:115], v[30:31], v[14:15], 0
	v_mfma_f32_16x16x16_f16 v[14:17], v[32:33], v[16:17], v[112:115]
	ds_read2_b64 v[30:33], v1 offset0:104 offset1:108
	s_waitcnt lgkmcnt(0)
	v_mfma_f32_16x16x16_f16 v[14:17], v[30:31], v[10:11], v[14:17]
	v_mfma_f32_16x16x16_f16 v[10:13], v[32:33], v[12:13], v[14:17]
	s_nop 6
	ds_read2_b64 v[14:17], v1 offset0:112 offset1:116
	s_waitcnt lgkmcnt(0)
	v_mfma_f32_16x16x16_f16 v[10:13], v[14:15], v[6:7], v[10:13]
	v_mfma_f32_16x16x16_f16 v[6:9], v[16:17], v[8:9], v[10:13]
	s_nop 6
	ds_read2_b64 v[10:13], v1 offset0:120 offset1:124
	s_waitcnt lgkmcnt(0)
	v_mfma_f32_16x16x16_f16 v[6:9], v[10:11], v[2:3], v[6:9]
	s_barrier
	v_mfma_f32_16x16x16_f16 v[14:17], v[12:13], v[4:5], v[6:9]
	s_cbranch_vccnz .LBB24_125
; %bb.124:                              ;   in Loop: Header=BB24_13 Depth=1
	ds_read_b32 v1, v182 offset:17408
	s_waitcnt lgkmcnt(0)
	v_cvt_f32_f16_sdwa v3, v1 dst_sel:DWORD dst_unused:UNUSED_PAD src0_sel:WORD_1
	v_cvt_f32_f16_e32 v2, v1
	ds_read_b32 v1, v183 offset:17408
	v_pk_fma_f32 v[26:27], v[96:97], v[2:3], v[26:27] op_sel_hi:[0,1,1]
	s_waitcnt lgkmcnt(0)
	v_cvt_f32_f16_sdwa v5, v1 dst_sel:DWORD dst_unused:UNUSED_PAD src0_sel:WORD_1
	v_cvt_f32_f16_e32 v4, v1
	v_add_u32_e32 v1, 0x4400, v185
	ds_read2_b32 v[2:3], v1 offset1:1
	v_add_u32_e32 v1, 0x4400, v187
	v_pk_fma_f32 v[28:29], v[96:97], v[4:5], v[28:29] op_sel_hi:[0,1,1]
	s_waitcnt lgkmcnt(0)
	v_cvt_f32_f16_e32 v4, v2
	v_cvt_f32_f16_sdwa v5, v2 dst_sel:DWORD dst_unused:UNUSED_PAD src0_sel:WORD_1
	v_cvt_f32_f16_e32 v2, v3
	v_cvt_f32_f16_sdwa v3, v3 dst_sel:DWORD dst_unused:UNUSED_PAD src0_sel:WORD_1
	v_pk_fma_f32 v[22:23], v[96:97], v[4:5], v[22:23] op_sel_hi:[0,1,1]
	v_pk_fma_f32 v[24:25], v[96:97], v[2:3], v[24:25] op_sel_hi:[0,1,1]
	ds_read2_b32 v[2:3], v1 offset1:1
	v_add_u32_e32 v1, 0x4400, v189
	s_waitcnt lgkmcnt(0)
	v_cvt_f32_f16_e32 v4, v2
	v_cvt_f32_f16_sdwa v5, v2 dst_sel:DWORD dst_unused:UNUSED_PAD src0_sel:WORD_1
	v_cvt_f32_f16_e32 v2, v3
	v_cvt_f32_f16_sdwa v3, v3 dst_sel:DWORD dst_unused:UNUSED_PAD src0_sel:WORD_1
	v_pk_fma_f32 v[18:19], v[96:97], v[4:5], v[18:19] op_sel_hi:[0,1,1]
	v_pk_fma_f32 v[20:21], v[96:97], v[2:3], v[20:21] op_sel_hi:[0,1,1]
	ds_read2_b32 v[2:3], v1 offset1:1
	s_waitcnt lgkmcnt(0)
	v_cvt_f32_f16_e32 v4, v2
	v_cvt_f32_f16_sdwa v5, v2 dst_sel:DWORD dst_unused:UNUSED_PAD src0_sel:WORD_1
	v_cvt_f32_f16_e32 v2, v3
	v_cvt_f32_f16_sdwa v3, v3 dst_sel:DWORD dst_unused:UNUSED_PAD src0_sel:WORD_1
	v_pk_fma_f32 v[14:15], v[96:97], v[4:5], v[14:15] op_sel_hi:[0,1,1]
	v_pk_fma_f32 v[16:17], v[96:97], v[2:3], v[16:17] op_sel_hi:[0,1,1]
.LBB24_125:                             ;   in Loop: Header=BB24_13 Depth=1
	v_add_f32_e32 v1, 0x40051340, v26
	v_max_f32_e32 v2, v77, v77
	v_cmp_gt_u32_e64 s[46:47], s38, v181
	v_max_f32_e32 v1, v2, v1
	v_add_f32_e32 v2, 0x40051340, v27
	v_cndmask_b32_e64 v1, v77, v1, s[46:47]
	v_max_f32_e32 v3, v1, v1
	v_cmp_gt_u32_e32 vcc, s38, v226
	v_max_f32_e32 v2, v3, v2
	v_cmp_gt_u32_e64 s[44:45], s38, v174
	v_cndmask_b32_e32 v1, v1, v2, vcc
	v_add_f32_e32 v2, 0x40051340, v28
	v_max_f32_e32 v3, v1, v1
	v_max_f32_e32 v2, v3, v2
	v_cndmask_b32_e64 v1, v1, v2, s[44:45]
	v_add_f32_e32 v2, 0x40051340, v29
	v_max_f32_e32 v3, v1, v1
	v_cmp_gt_u32_e64 s[42:43], s38, v190
	v_max_f32_e32 v2, v3, v2
	v_cmp_gt_u32_e64 s[40:41], s38, v184
	v_cndmask_b32_e64 v1, v1, v2, s[42:43]
	v_add_f32_e32 v2, 0x40051340, v22
	v_max_f32_e32 v3, v1, v1
	v_max_f32_e32 v2, v3, v2
	v_cndmask_b32_e64 v1, v1, v2, s[40:41]
	v_add_f32_e32 v2, 0x40051340, v23
	v_max_f32_e32 v3, v1, v1
	v_cmp_gt_u32_e64 s[98:99], s38, v175
	v_max_f32_e32 v2, v3, v2
	v_cmp_gt_u32_e64 s[96:97], s38, v230
	v_cndmask_b32_e64 v1, v1, v2, s[98:99]
	;; [unrolled: 10-line block ×6, first 2 shown]
	v_add_f32_e32 v2, 0x40051340, v16
	v_max_f32_e32 v3, v1, v1
	v_max_f32_e32 v2, v3, v2
	v_cndmask_b32_e64 v1, v1, v2, s[80:81]
	v_add_f32_e32 v2, 0x40051340, v17
	v_max_f32_e32 v3, v1, v1
	v_cmp_gt_u32_e64 s[38:39], s38, v221
	v_max_f32_e32 v2, v3, v2
	v_xor_b32_e32 v3, 32, v238
	v_cndmask_b32_e64 v1, v1, v2, s[38:39]
	v_and_b32_e32 v2, 64, v238
	v_add_u32_e32 v2, 64, v2
	v_cmp_lt_i32_e64 s[2:3], v3, v2
	scratch_store_dwordx4 off, v[222:225], off
	s_nop 0
	v_cndmask_b32_e64 v3, v238, v3, s[2:3]
	v_lshlrev_b32_e32 v32, 2, v3
	ds_bpermute_b32 v3, v32, v1
	v_max_f32_e32 v1, v1, v1
	s_waitcnt lgkmcnt(0)
	v_max_f32_e32 v3, v3, v3
	v_max_f32_e32 v1, v1, v3
	v_xor_b32_e32 v3, 16, v238
	v_cmp_lt_i32_e64 s[2:3], v3, v2
	s_nop 1
	v_cndmask_b32_e64 v2, v238, v3, s[2:3]
	v_lshlrev_b32_e32 v31, 2, v2
	ds_bpermute_b32 v2, v31, v1
	s_waitcnt lgkmcnt(0)
	v_max_f32_e32 v2, v2, v2
	v_max_f32_e32 v30, v1, v2
	v_sub_f32_e32 v1, v26, v30
	v_mul_f32_e32 v2, 0x3fb8aa3b, v1
	v_fma_f32 v3, v1, s54, -v2
	v_rndne_f32_e32 v4, v2
	v_fmac_f32_e32 v3, 0x32a5705f, v1
	v_sub_f32_e32 v2, v2, v4
	v_add_f32_e32 v2, v2, v3
	v_exp_f32_e32 v2, v2
	v_cvt_i32_f32_e32 v3, v4
	v_cmp_ngt_f32_e64 s[2:3], s33, v1
	v_ldexp_f32 v2, v2, v3
	s_nop 0
	v_cndmask_b32_e64 v2, 0, v2, s[2:3]
	v_cmp_nlt_f32_e64 s[2:3], s69, v1
	s_nop 1
	v_cndmask_b32_e64 v1, v215, v2, s[2:3]
	v_cndmask_b32_e64 v2, 0, v1, s[46:47]
	v_sub_f32_e32 v1, v27, v30
	v_mul_f32_e32 v3, 0x3fb8aa3b, v1
	v_fma_f32 v4, v1, s54, -v3
	v_rndne_f32_e32 v5, v3
	v_fmac_f32_e32 v4, 0x32a5705f, v1
	v_sub_f32_e32 v3, v3, v5
	v_add_f32_e32 v3, v3, v4
	v_exp_f32_e32 v3, v3
	v_cvt_i32_f32_e32 v4, v5
	v_cmp_ngt_f32_e64 s[2:3], s33, v1
	v_ldexp_f32 v3, v3, v4
	s_nop 0
	v_cndmask_b32_e64 v3, 0, v3, s[2:3]
	v_cmp_nlt_f32_e64 s[2:3], s69, v1
	v_mov_b32_e32 v1, s65
	s_nop 0
	v_cndmask_b32_e64 v3, v215, v3, s[2:3]
	v_add_f32_e32 v4, v3, v2
	v_cndmask_b32_e32 v1, v1, v3, vcc
	v_cndmask_b32_e32 v3, v2, v4, vcc
	v_sub_f32_e32 v4, v28, v30
	v_mul_f32_e32 v5, 0x3fb8aa3b, v4
	v_fma_f32 v6, v4, s54, -v5
	v_rndne_f32_e32 v7, v5
	v_fmac_f32_e32 v6, 0x32a5705f, v4
	v_sub_f32_e32 v5, v5, v7
	v_add_f32_e32 v5, v5, v6
	v_exp_f32_e32 v5, v5
	v_cvt_i32_f32_e32 v6, v7
	v_cmp_ngt_f32_e32 vcc, s33, v4
	s_mul_hi_i32 s3, s50, s70
	s_mul_i32 s2, s50, s70
	v_ldexp_f32 v5, v5, v6
	v_cndmask_b32_e32 v5, 0, v5, vcc
	v_cmp_nlt_f32_e32 vcc, s69, v4
	v_mov_b32_e32 v4, s65
	s_lshl_b64 s[2:3], s[2:3], 2
	v_cndmask_b32_e32 v5, v215, v5, vcc
	v_add_f32_e32 v6, v3, v5
	v_cndmask_b32_e64 v4, v4, v5, s[44:45]
	v_cndmask_b32_e64 v5, v3, v6, s[44:45]
	v_sub_f32_e32 v3, v29, v30
	v_mul_f32_e32 v6, 0x3fb8aa3b, v3
	v_fma_f32 v7, v3, s54, -v6
	v_rndne_f32_e32 v8, v6
	v_fmac_f32_e32 v7, 0x32a5705f, v3
	v_sub_f32_e32 v6, v6, v8
	v_add_f32_e32 v6, v6, v7
	v_exp_f32_e32 v6, v6
	v_cvt_i32_f32_e32 v7, v8
	v_cmp_ngt_f32_e32 vcc, s33, v3
	v_ldexp_f32 v6, v6, v7
	s_nop 0
	v_cndmask_b32_e32 v6, 0, v6, vcc
	v_cmp_nlt_f32_e32 vcc, s69, v3
	v_mov_b32_e32 v3, s65
	s_nop 0
	v_cndmask_b32_e32 v6, v215, v6, vcc
	v_add_f32_e32 v7, v5, v6
	v_cndmask_b32_e64 v79, v3, v6, s[42:43]
	v_cndmask_b32_e64 v3, v5, v7, s[42:43]
	v_sub_f32_e32 v5, v22, v30
	v_mul_f32_e32 v6, 0x3fb8aa3b, v5
	v_fma_f32 v7, v5, s54, -v6
	v_rndne_f32_e32 v8, v6
	v_fmac_f32_e32 v7, 0x32a5705f, v5
	v_sub_f32_e32 v6, v6, v8
	v_add_f32_e32 v6, v6, v7
	v_exp_f32_e32 v6, v6
	v_cvt_i32_f32_e32 v7, v8
	v_cmp_ngt_f32_e32 vcc, s33, v5
	v_ldexp_f32 v6, v6, v7
	s_nop 0
	v_cndmask_b32_e32 v6, 0, v6, vcc
	v_cmp_nlt_f32_e32 vcc, s69, v5
	s_nop 1
	v_cndmask_b32_e32 v5, v215, v6, vcc
	v_add_f32_e32 v7, v5, v3
	v_mov_b32_e32 v6, s65
	v_cndmask_b32_e64 v6, v6, v5, s[40:41]
	v_cndmask_b32_e64 v5, v3, v7, s[40:41]
	v_sub_f32_e32 v3, v23, v30
	v_mul_f32_e32 v7, 0x3fb8aa3b, v3
	v_fma_f32 v8, v3, s54, -v7
	v_rndne_f32_e32 v9, v7
	v_fmac_f32_e32 v8, 0x32a5705f, v3
	v_sub_f32_e32 v7, v7, v9
	v_add_f32_e32 v7, v7, v8
	v_exp_f32_e32 v7, v7
	v_cvt_i32_f32_e32 v8, v9
	v_cmp_ngt_f32_e32 vcc, s33, v3
	v_ldexp_f32 v7, v7, v8
	s_nop 0
	v_cndmask_b32_e32 v7, 0, v7, vcc
	v_cmp_nlt_f32_e32 vcc, s69, v3
	v_mov_b32_e32 v3, s65
	s_nop 0
	v_cndmask_b32_e32 v7, v215, v7, vcc
	v_add_f32_e32 v8, v7, v5
	v_cndmask_b32_e64 v3, v3, v7, s[98:99]
	v_sub_f32_e32 v7, v24, v30
	v_cndmask_b32_e64 v5, v5, v8, s[98:99]
	v_mul_f32_e32 v8, 0x3fb8aa3b, v7
	v_fma_f32 v9, v7, s54, -v8
	v_rndne_f32_e32 v10, v8
	v_fmac_f32_e32 v9, 0x32a5705f, v7
	v_sub_f32_e32 v8, v8, v10
	v_add_f32_e32 v8, v8, v9
	v_exp_f32_e32 v8, v8
	v_cvt_i32_f32_e32 v9, v10
	v_cmp_ngt_f32_e32 vcc, s33, v7
	v_ldexp_f32 v8, v8, v9
	s_nop 0
	v_cndmask_b32_e32 v8, 0, v8, vcc
	v_cmp_nlt_f32_e32 vcc, s69, v7
	s_nop 1
	v_cndmask_b32_e32 v7, v215, v8, vcc
	v_add_f32_e32 v9, v7, v5
	v_mov_b32_e32 v8, s65
	v_cndmask_b32_e64 v8, v8, v7, s[96:97]
	v_cndmask_b32_e64 v7, v5, v9, s[96:97]
	v_sub_f32_e32 v5, v25, v30
	v_mul_f32_e32 v9, 0x3fb8aa3b, v5
	v_fma_f32 v10, v5, s54, -v9
	v_rndne_f32_e32 v11, v9
	v_fmac_f32_e32 v10, 0x32a5705f, v5
	v_sub_f32_e32 v9, v9, v11
	v_add_f32_e32 v9, v9, v10
	v_exp_f32_e32 v9, v9
	v_cvt_i32_f32_e32 v10, v11
	v_cmp_ngt_f32_e32 vcc, s33, v5
	v_ldexp_f32 v9, v9, v10
	s_nop 0
	v_cndmask_b32_e32 v9, 0, v9, vcc
	v_cmp_nlt_f32_e32 vcc, s69, v5
	v_mov_b32_e32 v5, s65
	s_nop 0
	v_cndmask_b32_e32 v9, v215, v9, vcc
	v_add_f32_e32 v10, v9, v7
	v_cndmask_b32_e64 v83, v5, v9, s[94:95]
	v_cndmask_b32_e64 v5, v7, v10, s[94:95]
	v_sub_f32_e32 v7, v18, v30
	v_mul_f32_e32 v9, 0x3fb8aa3b, v7
	v_fma_f32 v10, v7, s54, -v9
	v_rndne_f32_e32 v11, v9
	v_fmac_f32_e32 v10, 0x32a5705f, v7
	v_sub_f32_e32 v9, v9, v11
	v_add_f32_e32 v9, v9, v10
	v_exp_f32_e32 v9, v9
	v_cvt_i32_f32_e32 v10, v11
	v_cmp_ngt_f32_e32 vcc, s33, v7
	v_ldexp_f32 v9, v9, v10
	s_nop 0
	v_cndmask_b32_e32 v9, 0, v9, vcc
	v_cmp_nlt_f32_e32 vcc, s69, v7
	v_mov_b32_e32 v10, s65
	s_nop 0
	v_cndmask_b32_e32 v7, v215, v9, vcc
	v_add_f32_e32 v9, v7, v5
	;; [unrolled: 20-line block ×3, first 2 shown]
	v_cndmask_b32_e64 v5, v5, v9, s[90:91]
	v_sub_f32_e32 v9, v20, v30
	v_cndmask_b32_e64 v7, v7, v11, s[90:91]
	v_mul_f32_e32 v11, 0x3fb8aa3b, v9
	v_fma_f32 v12, v9, s54, -v11
	v_rndne_f32_e32 v13, v11
	v_fmac_f32_e32 v12, 0x32a5705f, v9
	v_sub_f32_e32 v11, v11, v13
	v_add_f32_e32 v11, v11, v12
	v_exp_f32_e32 v11, v11
	v_cvt_i32_f32_e32 v12, v13
	v_cmp_ngt_f32_e32 vcc, s33, v9
	v_ldexp_f32 v11, v11, v12
	s_nop 0
	v_cndmask_b32_e32 v11, 0, v11, vcc
	v_cmp_nlt_f32_e32 vcc, s69, v9
	v_mov_b32_e32 v12, s65
	s_nop 0
	v_cndmask_b32_e32 v9, v215, v11, vcc
	v_add_f32_e32 v11, v9, v7
	v_cndmask_b32_e64 v12, v12, v9, s[88:89]
	v_cndmask_b32_e64 v9, v7, v11, s[88:89]
	v_sub_f32_e32 v7, v21, v30
	v_mul_f32_e32 v11, 0x3fb8aa3b, v7
	v_fma_f32 v13, v7, s54, -v11
	v_rndne_f32_e32 v18, v11
	v_fmac_f32_e32 v13, 0x32a5705f, v7
	v_sub_f32_e32 v11, v11, v18
	v_add_f32_e32 v11, v11, v13
	v_exp_f32_e32 v11, v11
	v_cvt_i32_f32_e32 v13, v18
	v_cmp_ngt_f32_e32 vcc, s33, v7
	v_ldexp_f32 v11, v11, v13
	s_nop 0
	v_cndmask_b32_e32 v11, 0, v11, vcc
	v_cmp_nlt_f32_e32 vcc, s69, v7
	v_mov_b32_e32 v7, s65
	s_nop 0
	v_cndmask_b32_e32 v11, v215, v11, vcc
	v_add_f32_e32 v13, v11, v9
	v_cndmask_b32_e64 v84, v7, v11, s[86:87]
	v_cndmask_b32_e64 v7, v9, v13, s[86:87]
	v_sub_f32_e32 v9, v14, v30
	v_mul_f32_e32 v11, 0x3fb8aa3b, v9
	v_fma_f32 v13, v9, s54, -v11
	v_rndne_f32_e32 v14, v11
	v_fmac_f32_e32 v13, 0x32a5705f, v9
	v_sub_f32_e32 v11, v11, v14
	v_add_f32_e32 v11, v11, v13
	v_exp_f32_e32 v11, v11
	v_cvt_i32_f32_e32 v13, v14
	v_cmp_ngt_f32_e32 vcc, s33, v9
	v_mov_b32_e32 v14, s65
	v_ldexp_f32 v11, v11, v13
	v_cndmask_b32_e32 v11, 0, v11, vcc
	v_cmp_nlt_f32_e32 vcc, s69, v9
	s_nop 1
	v_cndmask_b32_e32 v9, v215, v11, vcc
	v_add_f32_e32 v11, v9, v7
	v_cndmask_b32_e64 v14, v14, v9, s[84:85]
	v_cndmask_b32_e64 v9, v7, v11, s[84:85]
	v_sub_f32_e32 v7, v15, v30
	v_mul_f32_e32 v11, 0x3fb8aa3b, v7
	v_fma_f32 v13, v7, s54, -v11
	v_rndne_f32_e32 v15, v11
	v_fmac_f32_e32 v13, 0x32a5705f, v7
	v_sub_f32_e32 v11, v11, v15
	v_add_f32_e32 v11, v11, v13
	v_exp_f32_e32 v11, v11
	v_cvt_i32_f32_e32 v13, v15
	v_cmp_ngt_f32_e32 vcc, s33, v7
	v_ldexp_f32 v11, v11, v13
	s_nop 0
	v_cndmask_b32_e32 v11, 0, v11, vcc
	v_cmp_nlt_f32_e32 vcc, s69, v7
	v_mov_b32_e32 v7, s65
	s_nop 0
	v_cndmask_b32_e32 v11, v215, v11, vcc
	v_add_f32_e32 v13, v11, v9
	v_cndmask_b32_e64 v7, v7, v11, s[82:83]
	v_sub_f32_e32 v11, v16, v30
	v_cndmask_b32_e64 v9, v9, v13, s[82:83]
	v_mul_f32_e32 v13, 0x3fb8aa3b, v11
	v_fma_f32 v15, v11, s54, -v13
	v_rndne_f32_e32 v16, v13
	v_fmac_f32_e32 v15, 0x32a5705f, v11
	v_sub_f32_e32 v13, v13, v16
	v_add_f32_e32 v13, v13, v15
	v_exp_f32_e32 v13, v13
	v_cvt_i32_f32_e32 v15, v16
	v_cmp_ngt_f32_e32 vcc, s33, v11
	v_mov_b32_e32 v16, s65
	v_ldexp_f32 v13, v13, v15
	v_cndmask_b32_e32 v13, 0, v13, vcc
	v_cmp_nlt_f32_e32 vcc, s69, v11
	s_nop 1
	v_cndmask_b32_e32 v11, v215, v13, vcc
	v_add_f32_e32 v13, v11, v9
	v_cndmask_b32_e64 v16, v16, v11, s[80:81]
	v_cndmask_b32_e64 v11, v9, v13, s[80:81]
	v_sub_f32_e32 v9, v17, v30
	v_mul_f32_e32 v13, 0x3fb8aa3b, v9
	v_fma_f32 v15, v9, s54, -v13
	v_rndne_f32_e32 v17, v13
	v_fmac_f32_e32 v15, 0x32a5705f, v9
	v_sub_f32_e32 v13, v13, v17
	v_add_f32_e32 v13, v13, v15
	v_exp_f32_e32 v13, v13
	v_cvt_i32_f32_e32 v15, v17
	v_cmp_ngt_f32_e32 vcc, s33, v9
	v_ldexp_f32 v13, v13, v15
	s_nop 0
	v_cndmask_b32_e32 v13, 0, v13, vcc
	v_cmp_nlt_f32_e32 vcc, s69, v9
	v_mov_b32_e32 v9, s65
	s_nop 0
	v_cndmask_b32_e32 v13, v215, v13, vcc
	v_add_f32_e32 v15, v13, v11
	v_cndmask_b32_e64 v85, v9, v13, s[38:39]
	v_sub_f32_e32 v9, v77, v30
	v_cndmask_b32_e64 v28, v11, v15, s[38:39]
	v_mul_f32_e32 v11, 0x3fb8aa3b, v9
	v_fma_f32 v13, v9, s54, -v11
	v_rndne_f32_e32 v15, v11
	v_fmac_f32_e32 v13, 0x32a5705f, v9
	v_sub_f32_e32 v11, v11, v15
	v_add_f32_e32 v11, v11, v13
	v_exp_f32_e32 v11, v11
	v_cvt_i32_f32_e32 v13, v15
	v_cmp_ngt_f32_e32 vcc, s33, v9
	s_mov_b32 s38, 0xc1a00000
	v_ldexp_f32 v11, v11, v13
	v_cndmask_b32_e32 v11, 0, v11, vcc
	v_cmp_nlt_f32_e32 vcc, s69, v9
	s_nop 1
	v_cndmask_b32_e32 v11, v215, v11, vcc
	v_cmp_le_f32_e32 vcc, s38, v9
	s_nop 1
	v_cndmask_b32_e32 v9, 0, v11, vcc
	v_fmac_f32_e32 v28, v78, v9
	v_cvt_f16_f32_e32 v9, v9
	v_cmp_eq_u64_e32 vcc, 0, v[92:93]
	s_and_b64 vcc, exec, vcc
	v_mul_u32_u24_e32 v18, 0x10001, v9
	v_pk_mul_f16 v73, v82, v18
	v_pk_mul_f16 v72, v81, v18
	;; [unrolled: 1-line block ×16, first 2 shown]
	v_lshl_add_u64 v[18:19], v[94:95], 0, s[2:3]
	v_lshl_add_u64 v[22:23], v[64:65], 2, v[18:19]
	;; [unrolled: 1-line block ×3, first 2 shown]
	v_mov_b32_e32 v39, s55
	v_lshl_add_u64 v[22:23], v[22:23], 0, v[48:49]
	v_lshl_add_u64 v[20:21], v[20:21], 0, v[48:49]
	v_cndmask_b32_e64 v27, v39, v23, s[74:75]
	v_cndmask_b32_e64 v26, v176, v22, s[74:75]
	v_lshl_add_u64 v[22:23], v[66:67], 2, v[18:19]
	v_lshl_add_u64 v[18:19], v[68:69], 2, v[18:19]
	v_cndmask_b32_e64 v21, v39, v21, s[72:73]
	v_cndmask_b32_e64 v20, v176, v20, s[72:73]
	;; [unrolled: 4-line block ×3, first 2 shown]
	v_cndmask_b32_e64 v23, v39, v19, s[78:79]
	v_cndmask_b32_e64 v22, v176, v18, s[78:79]
	flat_load_dwordx4 v[18:21], v[20:21]
	s_waitcnt vmcnt(0) lgkmcnt(0)
	ds_write_b128 v179, v[18:21]
	flat_load_dwordx4 v[18:21], v[26:27]
	s_waitcnt vmcnt(0) lgkmcnt(0)
	ds_write_b128 v233, v[18:21]
	flat_load_dwordx4 v[18:21], v[24:25]
	v_cvt_pk_f16_f32 v25, v4, v79
	s_waitcnt vmcnt(0) lgkmcnt(0)
	ds_write_b128 v231, v[18:21]
	flat_load_dwordx4 v[18:21], v[22:23]
	s_waitcnt vmcnt(0) lgkmcnt(0)
	ds_write_b128 v227, v[18:21]
	s_waitcnt lgkmcnt(0)
	s_barrier
	ds_read_u16 v22, v191 offset:272
	ds_read_u16 v23, v191 offset:544
	ds_read_u16 v24, v192
	ds_read_u16 v39, v192 offset:32
	v_cvt_f32_f16_e32 v18, v73
	v_cvt_f32_f16_sdwa v19, v73 dst_sel:DWORD dst_unused:UNUSED_PAD src0_sel:WORD_1
	v_cvt_f32_f16_e32 v20, v72
	s_waitcnt lgkmcnt(1)
	v_perm_b32 v23, v24, v23, s59
	ds_read_u16 v24, v191
	ds_read_u16 v40, v191 offset:32
	v_cvt_f32_f16_sdwa v21, v72 dst_sel:DWORD dst_unused:UNUSED_PAD src0_sel:WORD_1
	s_waitcnt lgkmcnt(1)
	v_perm_b32 v22, v22, v24, s59
	v_cvt_pk_f16_f32 v24, v2, v1
	s_nop 1
	v_mfma_f32_16x16x16_f16 v[18:21], v[22:23], v[24:25], v[18:21]
	ds_read_u16 v22, v191 offset:4352
	ds_read_u16 v23, v191 offset:4624
	;; [unrolled: 1-line block ×4, first 2 shown]
	s_nop 3
	v_cvt_f16_f32_e32 v1, v18
	v_cvt_f16_f32_e32 v2, v19
	v_cvt_f16_f32_e32 v4, v20
	v_cvt_f16_f32_e32 v21, v21
	s_waitcnt lgkmcnt(0)
	v_perm_b32 v27, v27, v26, s59
	v_perm_b32 v26, v23, v22, s59
	v_cvt_f32_f16_e32 v18, v1
	v_cvt_f32_f16_e32 v19, v2
	v_cvt_f32_f16_e32 v20, v4
	v_cvt_f32_f16_e32 v21, v21
	v_cvt_pk_f16_f32 v23, v8, v83
	v_cvt_pk_f16_f32 v22, v6, v3
	s_nop 1
	v_mfma_f32_16x16x16_f16 v[18:21], v[26:27], v[22:23], v[18:21]
	s_nop 7
	v_cvt_f16_f32_e32 v1, v18
	v_cvt_f16_f32_e32 v2, v19
	ds_read_u16 v6, v191 offset:8704
	ds_read_u16 v8, v191 offset:8976
	ds_read_u16 v18, v191 offset:9248
	ds_read_u16 v19, v192 offset:8704
	v_cvt_f16_f32_e32 v3, v20
	v_cvt_f16_f32_e32 v4, v21
	v_cvt_f32_f16_e32 v79, v2
	s_waitcnt lgkmcnt(2)
	v_perm_b32 v2, v8, v6, s59
	v_cvt_f32_f16_e32 v80, v3
	s_waitcnt lgkmcnt(0)
	v_perm_b32 v3, v19, v18, s59
	v_cvt_f32_f16_e32 v78, v1
	v_cvt_f32_f16_e32 v81, v4
	v_cvt_pk_f16_f32 v21, v12, v84
	v_cvt_pk_f16_f32 v20, v10, v5
	ds_read_u16 v6, v191 offset:13056
	ds_read_u16 v8, v191 offset:13328
	;; [unrolled: 1-line block ×4, first 2 shown]
	v_mfma_f32_16x16x16_f16 v[2:5], v[2:3], v[20:21], v[78:81]
	v_cvt_pk_f16_f32 v19, v16, v85
	s_waitcnt lgkmcnt(2)
	v_perm_b32 v26, v8, v6, s59
	v_cvt_pk_f16_f32 v18, v14, v7
	s_waitcnt lgkmcnt(0)
	v_perm_b32 v27, v12, v10, s59
	ds_read_u16 v8, v191 offset:304
	ds_read_u16 v10, v191 offset:576
	v_cvt_f16_f32_e32 v1, v2
	v_cvt_f16_f32_e32 v3, v3
	;; [unrolled: 1-line block ×4, first 2 shown]
	v_cvt_f32_f16_e32 v2, v1
	v_cvt_f32_f16_e32 v3, v3
	;; [unrolled: 1-line block ×5, first 2 shown]
	v_cvt_f32_f16_sdwa v7, v41 dst_sel:DWORD dst_unused:UNUSED_PAD src0_sel:WORD_1
	v_mfma_f32_16x16x16_f16 v[2:5], v[26:27], v[18:19], v[2:5]
	s_waitcnt lgkmcnt(0)
	v_perm_b32 v27, v39, v10, s59
	v_perm_b32 v26, v8, v40, s59
	ds_read_u16 v8, v191 offset:4384
	ds_read_u16 v10, v191 offset:4656
	;; [unrolled: 1-line block ×4, first 2 shown]
	s_nop 0
	v_cvt_f16_f32_e32 v1, v4
	v_cvt_f16_f32_e32 v4, v5
	v_cvt_f32_f16_sdwa v5, v45 dst_sel:DWORD dst_unused:UNUSED_PAD src0_sel:WORD_1
	v_perm_b32 v1, v4, v1, s59
	v_cvt_f32_f16_e32 v4, v45
	s_nop 1
	v_mfma_f32_16x16x16_f16 v[4:7], v[26:27], v[24:25], v[4:7]
	s_waitcnt lgkmcnt(0)
	v_perm_b32 v27, v14, v12, s59
	v_perm_b32 v26, v10, v8, s59
	ds_read_u16 v8, v191 offset:8736
	ds_read_u16 v10, v191 offset:9008
	ds_read_u16 v12, v191 offset:9280
	ds_read_u16 v14, v192 offset:8736
	s_nop 0
	v_cvt_f16_f32_e32 v4, v4
	v_cvt_f16_f32_e32 v5, v5
	v_cvt_f16_f32_e32 v6, v6
	v_cvt_f16_f32_e32 v7, v7
	v_cvt_f32_f16_e32 v4, v4
	v_cvt_f32_f16_e32 v5, v5
	v_cvt_f32_f16_e32 v6, v6
	v_cvt_f32_f16_e32 v7, v7
	s_nop 1
	v_mfma_f32_16x16x16_f16 v[4:7], v[26:27], v[22:23], v[4:7]
	s_waitcnt lgkmcnt(0)
	v_perm_b32 v27, v14, v12, s59
	v_perm_b32 v26, v10, v8, s59
	ds_read_u16 v8, v191 offset:13088
	ds_read_u16 v10, v191 offset:13360
	ds_read_u16 v12, v191 offset:13632
	ds_read_u16 v14, v192 offset:13088
	s_nop 0
	v_cvt_f16_f32_e32 v4, v4
	v_cvt_f16_f32_e32 v5, v5
	v_cvt_f16_f32_e32 v6, v6
	v_cvt_f16_f32_e32 v7, v7
	v_cvt_f32_f16_e32 v4, v4
	v_cvt_f32_f16_e32 v5, v5
	v_cvt_f32_f16_e32 v6, v6
	;; [unrolled: 18-line block ×3, first 2 shown]
	v_cvt_f32_f16_e32 v7, v7
	s_waitcnt lgkmcnt(0)
	v_perm_b32 v39, v16, v14, s59
	v_cvt_f32_f16_e32 v8, v9
	v_mfma_f32_16x16x16_f16 v[4:7], v[26:27], v[18:19], v[4:7]
	v_cvt_f32_f16_sdwa v9, v9 dst_sel:DWORD dst_unused:UNUSED_PAD src0_sel:WORD_1
	s_nop 6
	v_cvt_f16_f32_e32 v6, v6
	v_cvt_f16_f32_e32 v7, v7
	v_perm_b32 v26, v7, v6, s59
	v_cvt_f32_f16_e32 v6, v38
	v_cvt_f32_f16_sdwa v7, v38 dst_sel:DWORD dst_unused:UNUSED_PAD src0_sel:WORD_1
	v_perm_b32 v38, v12, v10, s59
	ds_read_u16 v10, v191 offset:4416
	ds_read_u16 v12, v191 offset:4688
	;; [unrolled: 1-line block ×4, first 2 shown]
	v_mfma_f32_16x16x16_f16 v[6:9], v[38:39], v[24:25], v[6:9]
	s_waitcnt lgkmcnt(0)
	v_perm_b32 v39, v16, v14, s59
	v_perm_b32 v38, v12, v10, s59
	ds_read_u16 v10, v191 offset:8768
	ds_read_u16 v12, v191 offset:9040
	ds_read_u16 v14, v191 offset:9312
	ds_read_u16 v16, v192 offset:8768
	s_nop 0
	v_cvt_f16_f32_e32 v6, v6
	v_cvt_f16_f32_e32 v7, v7
	;; [unrolled: 1-line block ×4, first 2 shown]
	v_cvt_f32_f16_e32 v6, v6
	v_cvt_f32_f16_e32 v7, v7
	;; [unrolled: 1-line block ×4, first 2 shown]
	s_nop 1
	v_mfma_f32_16x16x16_f16 v[6:9], v[38:39], v[22:23], v[6:9]
	s_waitcnt lgkmcnt(0)
	v_perm_b32 v39, v16, v14, s59
	v_perm_b32 v38, v12, v10, s59
	ds_read_u16 v10, v191 offset:13120
	ds_read_u16 v12, v191 offset:13392
	;; [unrolled: 1-line block ×4, first 2 shown]
	s_nop 0
	v_cvt_f16_f32_e32 v6, v6
	v_cvt_f16_f32_e32 v7, v7
	;; [unrolled: 1-line block ×4, first 2 shown]
	v_cvt_f32_f16_e32 v6, v6
	v_cvt_f32_f16_e32 v7, v7
	;; [unrolled: 1-line block ×4, first 2 shown]
	s_nop 1
	v_mfma_f32_16x16x16_f16 v[6:9], v[38:39], v[20:21], v[6:9]
	s_waitcnt lgkmcnt(0)
	v_perm_b32 v39, v16, v14, s59
	v_perm_b32 v38, v12, v10, s59
	v_cvt_f32_f16_e32 v10, v11
	v_cvt_f32_f16_sdwa v11, v11 dst_sel:DWORD dst_unused:UNUSED_PAD src0_sel:WORD_1
	s_nop 2
	v_cvt_f16_f32_e32 v6, v6
	v_cvt_f16_f32_e32 v7, v7
	;; [unrolled: 1-line block ×4, first 2 shown]
	v_cvt_f32_f16_e32 v6, v6
	v_cvt_f32_f16_e32 v7, v7
	;; [unrolled: 1-line block ×4, first 2 shown]
	s_nop 1
	v_mfma_f32_16x16x16_f16 v[6:9], v[38:39], v[18:19], v[6:9]
	ds_read_u16 v12, v191 offset:96
	ds_read_u16 v14, v191 offset:368
	;; [unrolled: 1-line block ×4, first 2 shown]
	s_nop 3
	v_cvt_f16_f32_e32 v8, v8
	v_cvt_f16_f32_e32 v9, v9
	s_waitcnt lgkmcnt(0)
	v_perm_b32 v39, v38, v16, s59
	v_perm_b32 v38, v14, v12, s59
	v_perm_b32 v27, v9, v8, s59
	v_cvt_f32_f16_e32 v8, v37
	v_cvt_f32_f16_sdwa v9, v37 dst_sel:DWORD dst_unused:UNUSED_PAD src0_sel:WORD_1
	ds_read_u16 v12, v191 offset:4448
	ds_read_u16 v14, v191 offset:4720
	;; [unrolled: 1-line block ×4, first 2 shown]
	v_mfma_f32_16x16x16_f16 v[8:11], v[38:39], v[24:25], v[8:11]
	s_waitcnt lgkmcnt(2)
	v_perm_b32 v38, v14, v12, s59
	s_waitcnt lgkmcnt(0)
	v_perm_b32 v39, v37, v16, s59
	ds_read_u16 v12, v191 offset:8800
	ds_read_u16 v14, v191 offset:9072
	;; [unrolled: 1-line block ×4, first 2 shown]
	v_cvt_f16_f32_e32 v8, v8
	v_cvt_f16_f32_e32 v9, v9
	;; [unrolled: 1-line block ×4, first 2 shown]
	v_cvt_f32_f16_e32 v8, v8
	v_cvt_f32_f16_e32 v9, v9
	;; [unrolled: 1-line block ×4, first 2 shown]
	s_nop 1
	v_mfma_f32_16x16x16_f16 v[8:11], v[38:39], v[22:23], v[8:11]
	s_waitcnt lgkmcnt(0)
	v_perm_b32 v39, v37, v16, s59
	v_perm_b32 v38, v14, v12, s59
	ds_read_u16 v12, v191 offset:13152
	ds_read_u16 v14, v191 offset:13424
	;; [unrolled: 1-line block ×4, first 2 shown]
	s_nop 0
	v_cvt_f16_f32_e32 v8, v8
	v_cvt_f16_f32_e32 v9, v9
	;; [unrolled: 1-line block ×4, first 2 shown]
	v_cvt_f32_f16_e32 v8, v8
	v_cvt_f32_f16_e32 v9, v9
	v_cvt_f32_f16_e32 v10, v10
	v_cvt_f32_f16_e32 v11, v11
	s_nop 1
	v_mfma_f32_16x16x16_f16 v[8:11], v[38:39], v[20:21], v[8:11]
	s_waitcnt lgkmcnt(0)
	v_perm_b32 v39, v37, v16, s59
	v_perm_b32 v38, v14, v12, s59
	v_cvt_f32_f16_e32 v12, v13
	v_cvt_f32_f16_sdwa v13, v13 dst_sel:DWORD dst_unused:UNUSED_PAD src0_sel:WORD_1
	s_nop 2
	v_cvt_f16_f32_e32 v8, v8
	v_cvt_f16_f32_e32 v9, v9
	;; [unrolled: 1-line block ×4, first 2 shown]
	v_cvt_f32_f16_e32 v8, v8
	v_cvt_f32_f16_e32 v9, v9
	;; [unrolled: 1-line block ×4, first 2 shown]
	s_nop 1
	v_mfma_f32_16x16x16_f16 v[8:11], v[38:39], v[18:19], v[8:11]
	ds_read_u16 v14, v191 offset:128
	ds_read_u16 v16, v191 offset:400
	;; [unrolled: 1-line block ×4, first 2 shown]
	s_nop 3
	v_cvt_f16_f32_e32 v10, v10
	v_cvt_f16_f32_e32 v11, v11
	s_waitcnt lgkmcnt(0)
	v_perm_b32 v39, v39, v38, s59
	v_perm_b32 v38, v16, v14, s59
	;; [unrolled: 1-line block ×3, first 2 shown]
	v_cvt_f32_f16_e32 v10, v36
	v_cvt_f32_f16_sdwa v11, v36 dst_sel:DWORD dst_unused:UNUSED_PAD src0_sel:WORD_1
	s_nop 1
	v_mfma_f32_16x16x16_f16 v[10:13], v[38:39], v[24:25], v[10:13]
	ds_read_u16 v14, v191 offset:4480
	ds_read_u16 v16, v191 offset:4752
	ds_read_u16 v36, v191 offset:5024
	ds_read_u16 v38, v192 offset:4480
	s_nop 3
	v_cvt_f16_f32_e32 v10, v10
	v_cvt_f16_f32_e32 v11, v11
	v_cvt_f16_f32_e32 v12, v12
	v_cvt_f16_f32_e32 v13, v13
	s_waitcnt lgkmcnt(0)
	v_perm_b32 v39, v38, v36, s59
	v_perm_b32 v38, v16, v14, s59
	v_cvt_f32_f16_e32 v10, v10
	v_cvt_f32_f16_e32 v11, v11
	v_cvt_f32_f16_e32 v12, v12
	v_cvt_f32_f16_e32 v13, v13
	s_nop 1
	v_mfma_f32_16x16x16_f16 v[10:13], v[38:39], v[22:23], v[10:13]
	ds_read_u16 v14, v191 offset:8832
	ds_read_u16 v16, v191 offset:9104
	ds_read_u16 v36, v191 offset:9376
	ds_read_u16 v38, v192 offset:8832
	s_nop 3
	v_cvt_f16_f32_e32 v10, v10
	v_cvt_f16_f32_e32 v11, v11
	v_cvt_f16_f32_e32 v12, v12
	v_cvt_f16_f32_e32 v13, v13
	s_waitcnt lgkmcnt(0)
	v_perm_b32 v39, v38, v36, s59
	v_perm_b32 v38, v16, v14, s59
	v_cvt_f32_f16_e32 v10, v10
	v_cvt_f32_f16_e32 v11, v11
	v_cvt_f32_f16_e32 v12, v12
	v_cvt_f32_f16_e32 v13, v13
	;; [unrolled: 18-line block ×3, first 2 shown]
	v_cvt_f32_f16_e32 v14, v15
	v_cvt_f32_f16_sdwa v15, v15 dst_sel:DWORD dst_unused:UNUSED_PAD src0_sel:WORD_1
	v_mfma_f32_16x16x16_f16 v[10:13], v[38:39], v[18:19], v[10:13]
	ds_read_u16 v16, v191 offset:160
	ds_read_u16 v38, v191 offset:432
	;; [unrolled: 1-line block ×4, first 2 shown]
	s_nop 3
	v_cvt_f16_f32_e32 v12, v12
	v_cvt_f16_f32_e32 v13, v13
	s_waitcnt lgkmcnt(0)
	v_perm_b32 v39, v40, v39, s59
	v_perm_b32 v38, v38, v16, s59
	;; [unrolled: 1-line block ×3, first 2 shown]
	v_cvt_f32_f16_e32 v12, v35
	v_cvt_f32_f16_sdwa v13, v35 dst_sel:DWORD dst_unused:UNUSED_PAD src0_sel:WORD_1
	s_nop 1
	v_mfma_f32_16x16x16_f16 v[12:15], v[38:39], v[24:25], v[12:15]
	ds_read_u16 v16, v191 offset:4512
	ds_read_u16 v35, v191 offset:4784
	ds_read_u16 v38, v191 offset:5056
	ds_read_u16 v39, v192 offset:4512
	s_nop 3
	v_cvt_f16_f32_e32 v12, v12
	v_cvt_f16_f32_e32 v13, v13
	v_cvt_f16_f32_e32 v14, v14
	v_cvt_f16_f32_e32 v15, v15
	s_waitcnt lgkmcnt(0)
	v_perm_b32 v39, v39, v38, s59
	v_perm_b32 v38, v35, v16, s59
	v_cvt_f32_f16_e32 v12, v12
	v_cvt_f32_f16_e32 v13, v13
	v_cvt_f32_f16_e32 v14, v14
	v_cvt_f32_f16_e32 v15, v15
	s_nop 1
	v_mfma_f32_16x16x16_f16 v[12:15], v[38:39], v[22:23], v[12:15]
	ds_read_u16 v16, v191 offset:8864
	ds_read_u16 v35, v191 offset:9136
	ds_read_u16 v38, v191 offset:9408
	ds_read_u16 v39, v192 offset:8864
	s_nop 3
	v_cvt_f16_f32_e32 v12, v12
	v_cvt_f16_f32_e32 v13, v13
	v_cvt_f16_f32_e32 v14, v14
	v_cvt_f16_f32_e32 v15, v15
	s_waitcnt lgkmcnt(0)
	v_perm_b32 v39, v39, v38, s59
	v_perm_b32 v38, v35, v16, s59
	v_cvt_f32_f16_e32 v12, v12
	v_cvt_f32_f16_e32 v13, v13
	v_cvt_f32_f16_e32 v14, v14
	v_cvt_f32_f16_e32 v15, v15
	;; [unrolled: 18-line block ×3, first 2 shown]
	v_cvt_f32_f16_e32 v16, v17
	v_cvt_f32_f16_sdwa v17, v17 dst_sel:DWORD dst_unused:UNUSED_PAD src0_sel:WORD_1
	v_mfma_f32_16x16x16_f16 v[12:15], v[38:39], v[18:19], v[12:15]
	ds_read_u16 v38, v191 offset:192
	ds_read_u16 v40, v191 offset:464
	;; [unrolled: 1-line block ×4, first 2 shown]
	s_nop 3
	v_cvt_f16_f32_e32 v14, v14
	v_cvt_f16_f32_e32 v15, v15
	s_waitcnt lgkmcnt(0)
	v_perm_b32 v39, v41, v39, s59
	v_perm_b32 v38, v40, v38, s59
	v_cvt_f32_f16_sdwa v41, v29 dst_sel:DWORD dst_unused:UNUSED_PAD src0_sel:WORD_1
	v_perm_b32 v35, v15, v14, s59
	v_cvt_f32_f16_e32 v14, v34
	v_cvt_f32_f16_sdwa v15, v34 dst_sel:DWORD dst_unused:UNUSED_PAD src0_sel:WORD_1
	s_nop 1
	v_mfma_f32_16x16x16_f16 v[14:17], v[38:39], v[24:25], v[14:17]
	ds_read_u16 v34, v191 offset:4544
	ds_read_u16 v38, v191 offset:4816
	ds_read_u16 v39, v191 offset:5088
	ds_read_u16 v40, v192 offset:4544
	s_nop 3
	v_cvt_f16_f32_e32 v14, v14
	v_cvt_f16_f32_e32 v15, v15
	v_cvt_f16_f32_e32 v16, v16
	v_cvt_f16_f32_e32 v17, v17
	s_waitcnt lgkmcnt(0)
	v_perm_b32 v39, v40, v39, s59
	v_perm_b32 v38, v38, v34, s59
	v_cvt_f32_f16_e32 v14, v14
	v_cvt_f32_f16_e32 v15, v15
	v_cvt_f32_f16_e32 v16, v16
	v_cvt_f32_f16_e32 v17, v17
	s_nop 1
	v_mfma_f32_16x16x16_f16 v[14:17], v[38:39], v[22:23], v[14:17]
	ds_read_u16 v34, v191 offset:8896
	ds_read_u16 v38, v191 offset:9168
	ds_read_u16 v39, v191 offset:9440
	ds_read_u16 v40, v192 offset:8896
	s_nop 3
	v_cvt_f16_f32_e32 v14, v14
	v_cvt_f16_f32_e32 v15, v15
	v_cvt_f16_f32_e32 v16, v16
	v_cvt_f16_f32_e32 v17, v17
	s_waitcnt lgkmcnt(0)
	v_perm_b32 v39, v40, v39, s59
	v_perm_b32 v38, v38, v34, s59
	v_cvt_f32_f16_e32 v14, v14
	v_cvt_f32_f16_e32 v15, v15
	v_cvt_f32_f16_e32 v16, v16
	v_cvt_f32_f16_e32 v17, v17
	;; [unrolled: 18-line block ×3, first 2 shown]
	v_cvt_f32_f16_e32 v40, v29
	s_nop 0
	v_mfma_f32_16x16x16_f16 v[14:17], v[38:39], v[18:19], v[14:17]
	v_cvt_f32_f16_e32 v38, v33
	v_cvt_f32_f16_sdwa v39, v33 dst_sel:DWORD dst_unused:UNUSED_PAD src0_sel:WORD_1
	s_nop 5
	v_cvt_f16_f32_e32 v16, v16
	v_cvt_f16_f32_e32 v17, v17
	v_perm_b32 v34, v17, v16, s59
	ds_read_u16 v16, v191 offset:224
	ds_read_u16 v42, v191 offset:496
	;; [unrolled: 1-line block ×4, first 2 shown]
	s_waitcnt lgkmcnt(2)
	v_perm_b32 v16, v42, v16, s59
	s_waitcnt lgkmcnt(0)
	v_perm_b32 v17, v43, v17, s59
	ds_read_u16 v29, v191 offset:4576
	ds_read_u16 v33, v191 offset:4848
	ds_read_u16 v42, v191 offset:5120
	ds_read_u16 v43, v192 offset:4576
	v_mfma_f32_16x16x16_f16 v[38:41], v[16:17], v[24:25], v[38:41]
	s_nop 7
	v_cvt_f16_f32_e32 v16, v38
	v_cvt_f16_f32_e32 v17, v39
	;; [unrolled: 1-line block ×4, first 2 shown]
	v_cvt_f32_f16_e32 v38, v16
	v_cvt_f32_f16_e32 v39, v17
	s_waitcnt lgkmcnt(0)
	v_perm_b32 v17, v43, v42, s59
	v_perm_b32 v16, v33, v29, s59
	v_cvt_f32_f16_e32 v40, v24
	v_cvt_f32_f16_e32 v41, v25
	s_nop 1
	v_mfma_f32_16x16x16_f16 v[22:25], v[16:17], v[22:23], v[38:41]
	ds_read_u16 v29, v191 offset:8928
	ds_read_u16 v33, v191 offset:9200
	s_nop 0
	ds_read_u16 v38, v191 offset:9472
	ds_read_u16 v39, v192 offset:8928
	s_nop 2
	v_cvt_f16_f32_e32 v16, v22
	v_cvt_f16_f32_e32 v17, v23
	;; [unrolled: 1-line block ×4, first 2 shown]
	v_cvt_f32_f16_e32 v22, v16
	v_cvt_f32_f16_e32 v23, v17
	s_waitcnt lgkmcnt(0)
	v_perm_b32 v17, v39, v38, s59
	v_perm_b32 v16, v33, v29, s59
	v_cvt_f32_f16_e32 v24, v24
	v_cvt_f32_f16_e32 v25, v25
	s_nop 1
	v_mfma_f32_16x16x16_f16 v[20:23], v[16:17], v[20:21], v[22:25]
	ds_read_u16 v16, v191 offset:13280
	ds_read_u16 v17, v191 offset:13552
	s_nop 0
	ds_read_u16 v24, v191 offset:13824
	ds_read_u16 v25, v192 offset:13280
	s_waitcnt lgkmcnt(0)
	s_barrier
	s_nop 0
	v_cvt_f16_f32_e32 v20, v20
	v_cvt_f16_f32_e32 v21, v21
	;; [unrolled: 1-line block ×4, first 2 shown]
	v_perm_b32 v25, v25, v24, s59
	v_perm_b32 v24, v17, v16, s59
	v_cvt_f32_f16_e32 v20, v20
	v_cvt_f32_f16_e32 v21, v21
	v_cvt_f32_f16_e32 v22, v22
	v_cvt_f32_f16_e32 v23, v23
	s_nop 1
	v_mfma_f32_16x16x16_f16 v[16:19], v[24:25], v[18:19], v[20:23]
	s_nop 7
	v_cvt_f16_f32_e32 v18, v18
	v_cvt_f16_f32_e32 v19, v19
	v_perm_b32 v18, v19, v18, s59
	ds_bpermute_b32 v19, v32, v28
	s_waitcnt lgkmcnt(0)
	v_add_f32_e32 v19, v28, v19
	ds_bpermute_b32 v20, v31, v19
	s_waitcnt lgkmcnt(0)
	v_add_f32_e32 v31, v19, v20
	s_cbranch_vccnz .LBB24_127
; %bb.126:                              ;   in Loop: Header=BB24_13 Depth=1
	v_cvt_pk_f16_f32 v4, v4, v5
	v_cvt_pk_f16_f32 v5, v6, v7
	;; [unrolled: 1-line block ×3, first 2 shown]
	global_load_dword v8, v[92:93], off
	v_cvt_pk_f16_f32 v3, v2, v3
	v_max_f32_e32 v9, v30, v30
	v_cvt_pk_f16_f32 v7, v10, v11
	v_cvt_pk_f16_f32 v12, v12, v13
	;; [unrolled: 1-line block ×4, first 2 shown]
	s_waitcnt vmcnt(0)
	v_max_f32_e32 v2, v8, v8
	v_max_f32_e32 v2, v9, v2
	v_sub_f32_e32 v9, v30, v2
	v_mul_f32_e32 v10, 0x3fb8aa3b, v9
	v_fma_f32 v11, v9, s54, -v10
	v_rndne_f32_e32 v15, v10
	v_fmac_f32_e32 v11, 0x32a5705f, v9
	v_sub_f32_e32 v10, v10, v15
	v_add_f32_e32 v10, v10, v11
	v_exp_f32_e32 v10, v10
	v_cvt_i32_f32_e32 v11, v15
	v_cmp_ngt_f32_e32 vcc, s33, v9
	v_sub_f32_e32 v16, v8, v2
	v_ldexp_f32 v10, v10, v11
	v_cndmask_b32_e32 v10, 0, v10, vcc
	v_cmp_nlt_f32_e32 vcc, s69, v9
	s_nop 1
	v_cndmask_b32_e32 v10, v215, v10, vcc
	v_cmp_le_f32_e32 vcc, s38, v9
	s_nop 1
	v_cndmask_b32_e32 v15, 0, v10, vcc
	v_cvt_f16_f32_e32 v8, v15
	v_cmp_ngt_f32_e32 vcc, s33, v16
	v_mul_u32_u24_e32 v17, 0x10001, v8
	v_pk_mul_f16 v11, v3, v17
	v_mul_f32_e32 v3, 0x3fb8aa3b, v16
	v_pk_mul_f16 v9, v5, v17
	v_pk_mul_f16 v8, v6, v17
	;; [unrolled: 1-line block ×4, first 2 shown]
	v_fma_f32 v12, v16, s54, -v3
	v_rndne_f32_e32 v13, v3
	v_fmac_f32_e32 v12, 0x32a5705f, v16
	v_sub_f32_e32 v3, v3, v13
	v_add_f32_e32 v3, v3, v12
	v_exp_f32_e32 v3, v3
	v_cvt_i32_f32_e32 v12, v13
	v_pk_mul_f16 v1, v1, v17
	v_pk_mul_f16 v10, v4, v17
	;; [unrolled: 1-line block ×3, first 2 shown]
	v_ldexp_f32 v3, v3, v12
	v_cndmask_b32_e32 v3, 0, v3, vcc
	v_cmp_nlt_f32_e32 vcc, s69, v16
	v_pk_mul_f16 v27, v27, v17
	v_pk_mul_f16 v37, v37, v17
	v_cndmask_b32_e32 v3, v215, v3, vcc
	v_fmac_f32_e32 v3, v31, v15
	v_pk_mul_f16 v7, v7, v17
	v_pk_mul_f16 v36, v36, v17
	;; [unrolled: 1-line block ×6, first 2 shown]
	v_mov_b64_e32 v[30:31], v[2:3]
	s_branch .LBB24_128
.LBB24_127:                             ;   in Loop: Header=BB24_13 Depth=1
	v_cvt_f16_f32_e32 v2, v2
	v_cvt_f16_f32_e32 v3, v3
	;; [unrolled: 1-line block ×16, first 2 shown]
	v_perm_b32 v4, v10, v4, s59
	v_perm_b32 v5, v12, v5, s59
	;; [unrolled: 1-line block ×8, first 2 shown]
.LBB24_128:                             ;   in Loop: Header=BB24_13 Depth=1
	v_readlane_b32 s98, v255, 44
	v_readlane_b32 s94, v255, 10
	;; [unrolled: 1-line block ×4, first 2 shown]
	s_barrier
	s_mov_b64 s[2:3], exec
	v_readlane_b32 s38, v255, 4
	v_readlane_b32 s39, v255, 5
	s_and_b64 s[38:39], s[2:3], s[38:39]
	v_readlane_b32 s96, v255, 8
	v_readlane_b32 s97, v255, 9
	s_mov_b64 exec, s[38:39]
	s_cbranch_execz .LBB24_130
; %bb.129:                              ;   in Loop: Header=BB24_13 Depth=1
	scratch_load_dwordx2 v[2:3], off, off offset:16 ; 8-byte Folded Reload
	s_waitcnt vmcnt(0)
	global_store_dwordx2 v[2:3], v[30:31], off
.LBB24_130:                             ;   in Loop: Header=BB24_13 Depth=1
	s_or_b64 exec, exec, s[2:3]
	ds_write2_b32 v198, v11, v1 offset1:1
	ds_write2_b32 v198, v10, v26 offset0:8 offset1:9
	ds_write2_b32 v198, v9, v27 offset0:16 offset1:17
	;; [unrolled: 1-line block ×7, first 2 shown]
	v_mov_b32_e32 v1, 50
	s_waitcnt lgkmcnt(0)
	s_barrier
	s_mov_b64 s[2:3], exec
	v_readlane_b32 s38, v255, 12
	v_readlane_b32 s39, v255, 13
	s_and_b64 s[38:39], s[2:3], s[38:39]
	s_mov_b32 s99, 0xc1a00000
	s_mov_b64 exec, s[38:39]
	s_cbranch_execz .LBB24_132
; %bb.131:                              ;   in Loop: Header=BB24_13 Depth=1
	v_add_u32_e32 v1, v208, v219
	ds_read_b32 v1, v1
	v_readlane_b32 s38, v255, 0
	s_waitcnt lgkmcnt(0)
	v_cvt_f32_f16_e32 v2, v1
	v_cvt_f32_f16_sdwa v3, v1 dst_sel:DWORD dst_unused:UNUSED_PAD src0_sel:WORD_1
	v_mad_u64_u32 v[4:5], s[38:39], s38, v216, v[46:47]
	v_ashrrev_i32_e32 v5, 31, v4
	v_lshl_add_u64 v[4:5], v[4:5], 3, v[90:91]
	v_pk_add_f32 v[2:3], v[2:3], 0 op_sel_hi:[1,0]
	v_mov_b32_e32 v1, 0
	global_store_dwordx2 v[4:5], v[2:3], off
.LBB24_132:                             ;   in Loop: Header=BB24_13 Depth=1
	s_or_b64 exec, exec, s[2:3]
	v_cmp_gt_i32_e32 vcc, 50, v1
	s_mov_b64 s[42:43], -1
	s_and_saveexec_b64 s[2:3], vcc
; %bb.133:                              ;   in Loop: Header=BB24_13 Depth=1
	v_cmp_eq_u32_e32 vcc, 0, v1
	s_orn2_b64 s[42:43], vcc, exec
; %bb.134:                              ;   in Loop: Header=BB24_13 Depth=1
	s_or_b64 exec, exec, s[2:3]
	s_mov_b64 s[38:39], 0
	s_mov_b64 s[2:3], 0
                                        ; implicit-def: $vgpr2_vgpr3
	s_and_saveexec_b64 s[40:41], s[42:43]
	s_cbranch_execz .LBB24_222
; %bb.135:                              ;   in Loop: Header=BB24_13 Depth=1
	v_mov_b32_e32 v1, 50
	s_mov_b64 s[2:3], exec
	v_readlane_b32 s42, v255, 14
	v_readlane_b32 s43, v255, 15
	s_and_b64 s[42:43], s[2:3], s[42:43]
	s_mov_b64 exec, s[42:43]
	s_cbranch_execz .LBB24_137
; %bb.136:                              ;   in Loop: Header=BB24_13 Depth=1
	v_add_u32_e32 v1, v208, v199
	ds_read_b32 v1, v1
	v_readlane_b32 s42, v255, 0
	s_waitcnt lgkmcnt(0)
	v_cvt_f32_f16_e32 v2, v1
	v_cvt_f32_f16_sdwa v3, v1 dst_sel:DWORD dst_unused:UNUSED_PAD src0_sel:WORD_1
	v_mad_u64_u32 v[4:5], s[42:43], s42, v76, v[46:47]
	v_ashrrev_i32_e32 v5, 31, v4
	v_lshl_add_u64 v[4:5], v[4:5], 3, v[90:91]
	v_pk_add_f32 v[2:3], v[2:3], 0 op_sel_hi:[1,0]
	v_mov_b32_e32 v1, 0
	global_store_dwordx2 v[4:5], v[2:3], off
.LBB24_137:                             ;   in Loop: Header=BB24_13 Depth=1
	s_or_b64 exec, exec, s[2:3]
	v_cmp_gt_i32_e32 vcc, 50, v1
	s_mov_b64 s[44:45], -1
	s_and_saveexec_b64 s[2:3], vcc
; %bb.138:                              ;   in Loop: Header=BB24_13 Depth=1
	v_cmp_eq_u32_e32 vcc, 0, v1
	s_orn2_b64 s[44:45], vcc, exec
; %bb.139:                              ;   in Loop: Header=BB24_13 Depth=1
	s_or_b64 exec, exec, s[2:3]
	s_mov_b64 s[42:43], 0
                                        ; implicit-def: $vgpr2_vgpr3
	s_and_saveexec_b64 s[2:3], s[44:45]
	s_cbranch_execz .LBB24_221
; %bb.140:                              ;   in Loop: Header=BB24_13 Depth=1
	v_mov_b32_e32 v1, 50
	s_mov_b64 s[42:43], exec
	v_readlane_b32 s44, v255, 16
	v_readlane_b32 s45, v255, 17
	s_and_b64 s[44:45], s[42:43], s[44:45]
	s_mov_b64 exec, s[44:45]
	s_cbranch_execz .LBB24_142
; %bb.141:                              ;   in Loop: Header=BB24_13 Depth=1
	v_add_u32_e32 v1, v208, v200
	ds_read_b32 v1, v1
	v_readlane_b32 s44, v255, 0
	s_waitcnt lgkmcnt(0)
	v_cvt_f32_f16_e32 v2, v1
	v_cvt_f32_f16_sdwa v3, v1 dst_sel:DWORD dst_unused:UNUSED_PAD src0_sel:WORD_1
	v_mad_u64_u32 v[4:5], s[44:45], s44, v214, v[46:47]
	v_ashrrev_i32_e32 v5, 31, v4
	v_lshl_add_u64 v[4:5], v[4:5], 3, v[90:91]
	v_pk_add_f32 v[2:3], v[2:3], 0 op_sel_hi:[1,0]
	v_mov_b32_e32 v1, 0
	global_store_dwordx2 v[4:5], v[2:3], off
.LBB24_142:                             ;   in Loop: Header=BB24_13 Depth=1
	s_or_b64 exec, exec, s[42:43]
	v_cmp_gt_i32_e32 vcc, 50, v1
	s_mov_b64 s[46:47], -1
	s_and_saveexec_b64 s[42:43], vcc
; %bb.143:                              ;   in Loop: Header=BB24_13 Depth=1
	v_cmp_eq_u32_e32 vcc, 0, v1
	s_orn2_b64 s[46:47], vcc, exec
; %bb.144:                              ;   in Loop: Header=BB24_13 Depth=1
	s_or_b64 exec, exec, s[42:43]
	;; [unrolled: 35-line block ×3, first 2 shown]
	s_mov_b64 s[46:47], 0
                                        ; implicit-def: $vgpr2_vgpr3
	s_and_saveexec_b64 s[44:45], s[50:51]
	s_cbranch_execz .LBB24_219
; %bb.150:                              ;   in Loop: Header=BB24_13 Depth=1
	v_mov_b32_e32 v1, 50
	s_mov_b64 s[46:47], exec
	v_readlane_b32 s50, v255, 20
	v_readlane_b32 s51, v255, 21
	s_and_b64 s[50:51], s[46:47], s[50:51]
	s_mov_b64 exec, s[50:51]
	s_cbranch_execz .LBB24_152
; %bb.151:                              ;   in Loop: Header=BB24_13 Depth=1
	scratch_load_dword v1, off, off offset:112 ; 4-byte Folded Reload
	v_readlane_b32 s50, v255, 0
	s_waitcnt vmcnt(0)
	ds_read_b32 v1, v1
	v_mad_u64_u32 v[4:5], s[50:51], s50, v211, v[46:47]
	v_ashrrev_i32_e32 v5, 31, v4
	v_lshl_add_u64 v[4:5], v[4:5], 3, v[90:91]
	s_waitcnt lgkmcnt(0)
	v_cvt_f32_f16_e32 v2, v1
	v_cvt_f32_f16_sdwa v3, v1 dst_sel:DWORD dst_unused:UNUSED_PAD src0_sel:WORD_1
	v_mov_b32_e32 v1, 0
	v_pk_add_f32 v[2:3], v[2:3], 0 op_sel_hi:[1,0]
	global_store_dwordx2 v[4:5], v[2:3], off
.LBB24_152:                             ;   in Loop: Header=BB24_13 Depth=1
	s_or_b64 exec, exec, s[46:47]
	v_cmp_gt_i32_e32 vcc, 50, v1
	s_mov_b64 s[72:73], -1
	s_and_saveexec_b64 s[46:47], vcc
; %bb.153:                              ;   in Loop: Header=BB24_13 Depth=1
	v_cmp_eq_u32_e32 vcc, 0, v1
	s_orn2_b64 s[72:73], vcc, exec
; %bb.154:                              ;   in Loop: Header=BB24_13 Depth=1
	s_or_b64 exec, exec, s[46:47]
	s_mov_b64 s[50:51], 0
                                        ; implicit-def: $vgpr2_vgpr3
	s_and_saveexec_b64 s[46:47], s[72:73]
	s_cbranch_execz .LBB24_218
; %bb.155:                              ;   in Loop: Header=BB24_13 Depth=1
	v_mov_b32_e32 v1, 50
	s_mov_b64 s[50:51], exec
	v_readlane_b32 s72, v255, 22
	v_readlane_b32 s73, v255, 23
	s_and_b64 s[72:73], s[50:51], s[72:73]
	s_mov_b64 exec, s[72:73]
	s_cbranch_execz .LBB24_157
; %bb.156:                              ;   in Loop: Header=BB24_13 Depth=1
	v_add_u32_e32 v1, v208, v201
	ds_read_b32 v1, v1 offset:2176
	v_readlane_b32 s72, v255, 0
	s_waitcnt lgkmcnt(0)
	v_cvt_f32_f16_e32 v2, v1
	v_cvt_f32_f16_sdwa v3, v1 dst_sel:DWORD dst_unused:UNUSED_PAD src0_sel:WORD_1
	v_mad_u64_u32 v[4:5], s[72:73], s72, v210, v[46:47]
	v_ashrrev_i32_e32 v5, 31, v4
	v_lshl_add_u64 v[4:5], v[4:5], 3, v[90:91]
	v_pk_add_f32 v[2:3], v[2:3], 0 op_sel_hi:[1,0]
	v_mov_b32_e32 v1, 0
	global_store_dwordx2 v[4:5], v[2:3], off
.LBB24_157:                             ;   in Loop: Header=BB24_13 Depth=1
	s_or_b64 exec, exec, s[50:51]
	v_cmp_gt_i32_e32 vcc, 50, v1
	s_mov_b64 s[74:75], -1
	s_and_saveexec_b64 s[50:51], vcc
; %bb.158:                              ;   in Loop: Header=BB24_13 Depth=1
	v_cmp_eq_u32_e32 vcc, 0, v1
	s_orn2_b64 s[74:75], vcc, exec
; %bb.159:                              ;   in Loop: Header=BB24_13 Depth=1
	s_or_b64 exec, exec, s[50:51]
	s_mov_b64 s[72:73], 0
                                        ; implicit-def: $vgpr2_vgpr3
	s_and_saveexec_b64 s[50:51], s[74:75]
	s_cbranch_execz .LBB24_217
; %bb.160:                              ;   in Loop: Header=BB24_13 Depth=1
	v_mov_b32_e32 v1, 50
	s_mov_b64 s[72:73], exec
	v_readlane_b32 s74, v255, 24
	v_readlane_b32 s75, v255, 25
	s_and_b64 s[74:75], s[72:73], s[74:75]
	s_mov_b64 exec, s[74:75]
	s_cbranch_execz .LBB24_162
; %bb.161:                              ;   in Loop: Header=BB24_13 Depth=1
	v_add_u32_e32 v1, v208, v201
	ds_read_b32 v1, v1 offset:3264
	v_readlane_b32 s74, v255, 0
	s_waitcnt lgkmcnt(0)
	v_cvt_f32_f16_e32 v2, v1
	v_cvt_f32_f16_sdwa v3, v1 dst_sel:DWORD dst_unused:UNUSED_PAD src0_sel:WORD_1
	v_mad_u64_u32 v[4:5], s[74:75], s74, v207, v[46:47]
	v_ashrrev_i32_e32 v5, 31, v4
	v_lshl_add_u64 v[4:5], v[4:5], 3, v[90:91]
	v_pk_add_f32 v[2:3], v[2:3], 0 op_sel_hi:[1,0]
	v_mov_b32_e32 v1, 0
	global_store_dwordx2 v[4:5], v[2:3], off
.LBB24_162:                             ;   in Loop: Header=BB24_13 Depth=1
	;; [unrolled: 35-line block ×3, first 2 shown]
	s_or_b64 exec, exec, s[74:75]
	v_cmp_gt_i32_e32 vcc, 50, v1
	s_mov_b64 s[78:79], -1
	s_and_saveexec_b64 s[74:75], vcc
; %bb.168:                              ;   in Loop: Header=BB24_13 Depth=1
	v_cmp_eq_u32_e32 vcc, 0, v1
	s_orn2_b64 s[78:79], vcc, exec
; %bb.169:                              ;   in Loop: Header=BB24_13 Depth=1
	s_or_b64 exec, exec, s[74:75]
	s_mov_b64 s[76:77], 0
                                        ; implicit-def: $vgpr2_vgpr3
	s_and_saveexec_b64 s[74:75], s[78:79]
	s_cbranch_execz .LBB24_215
; %bb.170:                              ;   in Loop: Header=BB24_13 Depth=1
	v_mov_b32_e32 v1, 50
	s_mov_b64 s[76:77], exec
	v_readlane_b32 s78, v255, 28
	v_readlane_b32 s79, v255, 29
	s_and_b64 s[78:79], s[76:77], s[78:79]
	s_mov_b64 exec, s[78:79]
	s_cbranch_execz .LBB24_172
; %bb.171:                              ;   in Loop: Header=BB24_13 Depth=1
	scratch_load_dword v1, off, off offset:136 ; 4-byte Folded Reload
	v_readlane_b32 s78, v255, 0
	s_waitcnt vmcnt(0)
	ds_read_b32 v1, v1
	v_mad_u64_u32 v[4:5], s[78:79], s78, v205, v[46:47]
	v_ashrrev_i32_e32 v5, 31, v4
	v_lshl_add_u64 v[4:5], v[4:5], 3, v[90:91]
	s_waitcnt lgkmcnt(0)
	v_cvt_f32_f16_e32 v2, v1
	v_cvt_f32_f16_sdwa v3, v1 dst_sel:DWORD dst_unused:UNUSED_PAD src0_sel:WORD_1
	v_mov_b32_e32 v1, 0
	v_pk_add_f32 v[2:3], v[2:3], 0 op_sel_hi:[1,0]
	global_store_dwordx2 v[4:5], v[2:3], off
.LBB24_172:                             ;   in Loop: Header=BB24_13 Depth=1
	s_or_b64 exec, exec, s[76:77]
	v_cmp_gt_i32_e32 vcc, 50, v1
	s_mov_b64 s[80:81], -1
	s_and_saveexec_b64 s[76:77], vcc
; %bb.173:                              ;   in Loop: Header=BB24_13 Depth=1
	v_cmp_eq_u32_e32 vcc, 0, v1
	s_orn2_b64 s[80:81], vcc, exec
; %bb.174:                              ;   in Loop: Header=BB24_13 Depth=1
	s_or_b64 exec, exec, s[76:77]
	s_mov_b64 s[78:79], 0
                                        ; implicit-def: $vgpr2_vgpr3
	s_and_saveexec_b64 s[76:77], s[80:81]
	s_cbranch_execz .LBB24_214
; %bb.175:                              ;   in Loop: Header=BB24_13 Depth=1
	v_mov_b32_e32 v1, 50
	s_mov_b64 s[78:79], exec
	v_readlane_b32 s80, v255, 30
	v_readlane_b32 s81, v255, 31
	s_and_b64 s[80:81], s[78:79], s[80:81]
	s_mov_b64 exec, s[80:81]
	s_cbranch_execz .LBB24_177
; %bb.176:                              ;   in Loop: Header=BB24_13 Depth=1
	v_add_u32_e32 v1, v208, v201
	ds_read_b32 v1, v1 offset:6528
	v_readlane_b32 s80, v255, 0
	s_waitcnt lgkmcnt(0)
	v_cvt_f32_f16_e32 v2, v1
	v_cvt_f32_f16_sdwa v3, v1 dst_sel:DWORD dst_unused:UNUSED_PAD src0_sel:WORD_1
	v_mad_u64_u32 v[4:5], s[80:81], s80, v159, v[46:47]
	v_ashrrev_i32_e32 v5, 31, v4
	v_lshl_add_u64 v[4:5], v[4:5], 3, v[90:91]
	v_pk_add_f32 v[2:3], v[2:3], 0 op_sel_hi:[1,0]
	v_mov_b32_e32 v1, 0
	global_store_dwordx2 v[4:5], v[2:3], off
.LBB24_177:                             ;   in Loop: Header=BB24_13 Depth=1
	s_or_b64 exec, exec, s[78:79]
	v_cmp_gt_i32_e32 vcc, 50, v1
	s_mov_b64 s[82:83], -1
	s_and_saveexec_b64 s[78:79], vcc
; %bb.178:                              ;   in Loop: Header=BB24_13 Depth=1
	v_cmp_eq_u32_e32 vcc, 0, v1
	s_orn2_b64 s[82:83], vcc, exec
; %bb.179:                              ;   in Loop: Header=BB24_13 Depth=1
	s_or_b64 exec, exec, s[78:79]
	s_mov_b64 s[80:81], 0
                                        ; implicit-def: $vgpr2_vgpr3
	s_and_saveexec_b64 s[78:79], s[82:83]
	s_cbranch_execz .LBB24_213
; %bb.180:                              ;   in Loop: Header=BB24_13 Depth=1
	v_mov_b32_e32 v1, 50
	s_mov_b64 s[80:81], exec
	v_readlane_b32 s82, v255, 32
	v_readlane_b32 s83, v255, 33
	s_and_b64 s[82:83], s[80:81], s[82:83]
	s_mov_b64 exec, s[82:83]
	s_cbranch_execz .LBB24_182
; %bb.181:                              ;   in Loop: Header=BB24_13 Depth=1
	v_add_u32_e32 v1, v208, v201
	ds_read_b32 v1, v1 offset:7616
	v_readlane_b32 s82, v255, 0
	s_waitcnt lgkmcnt(0)
	v_cvt_f32_f16_e32 v2, v1
	v_cvt_f32_f16_sdwa v3, v1 dst_sel:DWORD dst_unused:UNUSED_PAD src0_sel:WORD_1
	v_mad_u64_u32 v[4:5], s[82:83], s82, v75, v[46:47]
	v_ashrrev_i32_e32 v5, 31, v4
	v_lshl_add_u64 v[4:5], v[4:5], 3, v[90:91]
	v_pk_add_f32 v[2:3], v[2:3], 0 op_sel_hi:[1,0]
	v_mov_b32_e32 v1, 0
	global_store_dwordx2 v[4:5], v[2:3], off
.LBB24_182:                             ;   in Loop: Header=BB24_13 Depth=1
	;; [unrolled: 35-line block ×3, first 2 shown]
	s_or_b64 exec, exec, s[82:83]
	v_cmp_gt_i32_e32 vcc, 50, v1
	s_mov_b64 s[86:87], -1
	s_and_saveexec_b64 s[82:83], vcc
; %bb.188:                              ;   in Loop: Header=BB24_13 Depth=1
	v_cmp_eq_u32_e32 vcc, 0, v1
	s_orn2_b64 s[86:87], vcc, exec
; %bb.189:                              ;   in Loop: Header=BB24_13 Depth=1
	s_or_b64 exec, exec, s[82:83]
	s_mov_b64 s[84:85], 0
                                        ; implicit-def: $vgpr2_vgpr3
	s_and_saveexec_b64 s[82:83], s[86:87]
	s_cbranch_execz .LBB24_211
; %bb.190:                              ;   in Loop: Header=BB24_13 Depth=1
	v_mov_b32_e32 v1, 50
	s_mov_b64 s[84:85], exec
	v_readlane_b32 s86, v255, 36
	v_readlane_b32 s87, v255, 37
	s_and_b64 s[86:87], s[84:85], s[86:87]
	s_mov_b64 exec, s[86:87]
	s_cbranch_execz .LBB24_192
; %bb.191:                              ;   in Loop: Header=BB24_13 Depth=1
	scratch_load_dword v1, off, off offset:160 ; 4-byte Folded Reload
	v_readlane_b32 s86, v255, 0
	s_waitcnt vmcnt(0)
	ds_read_b32 v1, v1
	v_mad_u64_u32 v[4:5], s[86:87], s86, v158, v[46:47]
	v_ashrrev_i32_e32 v5, 31, v4
	v_lshl_add_u64 v[4:5], v[4:5], 3, v[90:91]
	s_waitcnt lgkmcnt(0)
	v_cvt_f32_f16_e32 v2, v1
	v_cvt_f32_f16_sdwa v3, v1 dst_sel:DWORD dst_unused:UNUSED_PAD src0_sel:WORD_1
	v_mov_b32_e32 v1, 0
	v_pk_add_f32 v[2:3], v[2:3], 0 op_sel_hi:[1,0]
	global_store_dwordx2 v[4:5], v[2:3], off
.LBB24_192:                             ;   in Loop: Header=BB24_13 Depth=1
	s_or_b64 exec, exec, s[84:85]
	v_cmp_gt_i32_e32 vcc, 50, v1
	s_mov_b64 s[88:89], -1
	s_and_saveexec_b64 s[84:85], vcc
; %bb.193:                              ;   in Loop: Header=BB24_13 Depth=1
	v_cmp_eq_u32_e32 vcc, 0, v1
	s_orn2_b64 s[88:89], vcc, exec
; %bb.194:                              ;   in Loop: Header=BB24_13 Depth=1
	s_or_b64 exec, exec, s[84:85]
	s_mov_b64 s[86:87], 0
                                        ; implicit-def: $vgpr2_vgpr3
	s_and_saveexec_b64 s[84:85], s[88:89]
	s_cbranch_execz .LBB24_210
; %bb.195:                              ;   in Loop: Header=BB24_13 Depth=1
	v_mov_b32_e32 v1, 50
	s_mov_b64 s[86:87], exec
	v_readlane_b32 s88, v255, 38
	v_readlane_b32 s89, v255, 39
	s_and_b64 s[88:89], s[86:87], s[88:89]
	s_mov_b64 exec, s[88:89]
	s_cbranch_execz .LBB24_197
; %bb.196:                              ;   in Loop: Header=BB24_13 Depth=1
	v_add_u32_e32 v1, v208, v201
	ds_read_b32 v1, v1 offset:10880
	v_readlane_b32 s88, v255, 0
	s_waitcnt lgkmcnt(0)
	v_cvt_f32_f16_e32 v2, v1
	v_cvt_f32_f16_sdwa v3, v1 dst_sel:DWORD dst_unused:UNUSED_PAD src0_sel:WORD_1
	v_mad_u64_u32 v[4:5], s[88:89], s88, v157, v[46:47]
	v_ashrrev_i32_e32 v5, 31, v4
	v_lshl_add_u64 v[4:5], v[4:5], 3, v[90:91]
	v_pk_add_f32 v[2:3], v[2:3], 0 op_sel_hi:[1,0]
	v_mov_b32_e32 v1, 0
	global_store_dwordx2 v[4:5], v[2:3], off
.LBB24_197:                             ;   in Loop: Header=BB24_13 Depth=1
	s_or_b64 exec, exec, s[86:87]
	v_cmp_gt_i32_e32 vcc, 50, v1
	s_mov_b64 s[90:91], -1
	s_and_saveexec_b64 s[86:87], vcc
; %bb.198:                              ;   in Loop: Header=BB24_13 Depth=1
	v_cmp_eq_u32_e32 vcc, 0, v1
	s_orn2_b64 s[90:91], vcc, exec
; %bb.199:                              ;   in Loop: Header=BB24_13 Depth=1
	s_or_b64 exec, exec, s[86:87]
	s_mov_b64 s[88:89], 0
                                        ; implicit-def: $vgpr2_vgpr3
	s_and_saveexec_b64 s[86:87], s[90:91]
	s_cbranch_execz .LBB24_209
; %bb.200:                              ;   in Loop: Header=BB24_13 Depth=1
	v_mov_b32_e32 v1, 50
	s_mov_b64 s[88:89], exec
	v_readlane_b32 s90, v255, 40
	v_readlane_b32 s91, v255, 41
	s_and_b64 s[90:91], s[88:89], s[90:91]
	s_mov_b64 exec, s[90:91]
	s_cbranch_execz .LBB24_202
; %bb.201:                              ;   in Loop: Header=BB24_13 Depth=1
	v_add_u32_e32 v1, v208, v201
	ds_read_b32 v1, v1 offset:11968
	v_readlane_b32 s90, v255, 0
	s_waitcnt lgkmcnt(0)
	v_cvt_f32_f16_e32 v2, v1
	v_cvt_f32_f16_sdwa v3, v1 dst_sel:DWORD dst_unused:UNUSED_PAD src0_sel:WORD_1
	v_mad_u64_u32 v[4:5], s[90:91], s90, v47, v[46:47]
	v_ashrrev_i32_e32 v5, 31, v4
	v_lshl_add_u64 v[4:5], v[4:5], 3, v[90:91]
	v_pk_add_f32 v[2:3], v[2:3], 0 op_sel_hi:[1,0]
	v_mov_b32_e32 v1, 0
	global_store_dwordx2 v[4:5], v[2:3], off
.LBB24_202:                             ;   in Loop: Header=BB24_13 Depth=1
	s_or_b64 exec, exec, s[88:89]
	v_cmp_gt_i32_e32 vcc, 50, v1
	s_mov_b64 s[92:93], -1
	s_and_saveexec_b64 s[88:89], vcc
; %bb.203:                              ;   in Loop: Header=BB24_13 Depth=1
	v_cmp_eq_u32_e32 vcc, 0, v1
	s_orn2_b64 s[92:93], vcc, exec
; %bb.204:                              ;   in Loop: Header=BB24_13 Depth=1
	s_or_b64 exec, exec, s[88:89]
	s_mov_b64 s[90:91], 0
                                        ; implicit-def: $vgpr2_vgpr3
	s_and_saveexec_b64 s[88:89], s[92:93]
	s_cbranch_execz .LBB24_208
; %bb.205:                              ;   in Loop: Header=BB24_13 Depth=1
                                        ; implicit-def: $vgpr2_vgpr3
	s_mov_b64 s[92:93], exec
	v_readlane_b32 s94, v255, 42
	v_readlane_b32 s95, v255, 43
	s_and_b64 s[94:95], s[92:93], s[94:95]
	s_xor_b64 s[92:93], s[94:95], s[92:93]
	s_mov_b64 exec, s[94:95]
	s_cbranch_execz .LBB24_207
; %bb.206:                              ;   in Loop: Header=BB24_13 Depth=1
	v_add_u32_e32 v1, v208, v201
	ds_read_b32 v1, v1 offset:13056
	s_mov_b64 s[90:91], exec
	s_waitcnt lgkmcnt(0)
	v_cvt_f32_f16_e32 v2, v1
	v_cvt_f32_f16_sdwa v3, v1 dst_sel:DWORD dst_unused:UNUSED_PAD src0_sel:WORD_1
	v_pk_add_f32 v[2:3], v[2:3], 0 op_sel_hi:[1,0]
.LBB24_207:                             ;   in Loop: Header=BB24_13 Depth=1
	s_or_b64 exec, exec, s[92:93]
	s_and_b64 s[90:91], s[90:91], exec
	v_readlane_b32 s94, v255, 10
	v_readlane_b32 s95, v255, 11
.LBB24_208:                             ;   in Loop: Header=BB24_13 Depth=1
	s_or_b64 exec, exec, s[88:89]
	s_and_b64 s[88:89], s[90:91], exec
.LBB24_209:                             ;   in Loop: Header=BB24_13 Depth=1
	s_or_b64 exec, exec, s[86:87]
	s_and_b64 s[86:87], s[88:89], exec
.LBB24_210:                             ;   in Loop: Header=BB24_13 Depth=1
	s_or_b64 exec, exec, s[84:85]
	s_and_b64 s[84:85], s[86:87], exec
.LBB24_211:                             ;   in Loop: Header=BB24_13 Depth=1
	s_or_b64 exec, exec, s[82:83]
	s_and_b64 s[82:83], s[84:85], exec
.LBB24_212:                             ;   in Loop: Header=BB24_13 Depth=1
	s_or_b64 exec, exec, s[80:81]
	s_and_b64 s[80:81], s[82:83], exec
.LBB24_213:                             ;   in Loop: Header=BB24_13 Depth=1
	s_or_b64 exec, exec, s[78:79]
	s_and_b64 s[78:79], s[80:81], exec
.LBB24_214:                             ;   in Loop: Header=BB24_13 Depth=1
	s_or_b64 exec, exec, s[76:77]
	s_and_b64 s[76:77], s[78:79], exec
.LBB24_215:                             ;   in Loop: Header=BB24_13 Depth=1
	s_or_b64 exec, exec, s[74:75]
	s_and_b64 s[74:75], s[76:77], exec
.LBB24_216:                             ;   in Loop: Header=BB24_13 Depth=1
	s_or_b64 exec, exec, s[72:73]
	s_and_b64 s[72:73], s[74:75], exec
.LBB24_217:                             ;   in Loop: Header=BB24_13 Depth=1
	s_or_b64 exec, exec, s[50:51]
	s_and_b64 s[50:51], s[72:73], exec
.LBB24_218:                             ;   in Loop: Header=BB24_13 Depth=1
	s_or_b64 exec, exec, s[46:47]
	s_and_b64 s[46:47], s[50:51], exec
.LBB24_219:                             ;   in Loop: Header=BB24_13 Depth=1
	s_or_b64 exec, exec, s[44:45]
	s_and_b64 s[44:45], s[46:47], exec
.LBB24_220:                             ;   in Loop: Header=BB24_13 Depth=1
	s_or_b64 exec, exec, s[42:43]
	s_and_b64 s[42:43], s[44:45], exec
.LBB24_221:                             ;   in Loop: Header=BB24_13 Depth=1
	s_or_b64 exec, exec, s[2:3]
	s_and_b64 s[2:3], s[42:43], exec
.LBB24_222:                             ;   in Loop: Header=BB24_13 Depth=1
	s_or_b64 exec, exec, s[40:41]
	s_and_b64 vcc, exec, s[38:39]
	s_cbranch_vccz .LBB24_422
.LBB24_223:                             ;   in Loop: Header=BB24_13 Depth=1
	v_cmp_gt_i32_e64 s[38:39], s68, v216
	v_cmp_le_i32_e32 vcc, s68, v216
	s_nop 0
	v_writelane_b32 v255, s38, 12
	s_nop 1
	v_writelane_b32 v255, s39, 13
	s_and_saveexec_b64 s[38:39], vcc
	s_xor_b64 s[38:39], exec, s[38:39]
; %bb.224:                              ;   in Loop: Header=BB24_13 Depth=1
	v_add_u32_e32 v1, v208, v219
	ds_write_b32 v1, v49
; %bb.225:                              ;   in Loop: Header=BB24_13 Depth=1
	s_andn2_saveexec_b64 s[38:39], s[38:39]
	s_cbranch_execz .LBB24_227
; %bb.226:                              ;   in Loop: Header=BB24_13 Depth=1
	v_mad_u64_u32 v[2:3], s[40:41], v216, s64, v[46:47]
	v_ashrrev_i32_e32 v3, 31, v2
	v_lshl_add_u64 v[2:3], v[2:3], 3, v[110:111]
	global_load_dwordx2 v[2:3], v[2:3], off
	s_waitcnt vmcnt(0)
	v_cvt_pk_f16_f32 v1, v2, v3
	v_pk_mul_f16 v1, v1, v242
	v_add_u32_e32 v2, v208, v219
	ds_write_b32 v2, v1
.LBB24_227:                             ;   in Loop: Header=BB24_13 Depth=1
	s_or_b64 exec, exec, s[38:39]
	v_add_u32_e32 v78, v116, v156
	v_cmp_gt_i32_e64 s[38:39], s68, v78
	v_cmp_le_i32_e32 vcc, s68, v78
	s_nop 0
	v_writelane_b32 v255, s38, 14
	s_nop 1
	v_writelane_b32 v255, s39, 15
	s_and_saveexec_b64 s[38:39], vcc
	s_xor_b64 s[38:39], exec, s[38:39]
; %bb.228:                              ;   in Loop: Header=BB24_13 Depth=1
	v_add_u32_e32 v1, v208, v199
	ds_write_b32 v1, v49
; %bb.229:                              ;   in Loop: Header=BB24_13 Depth=1
	s_andn2_saveexec_b64 s[38:39], s[38:39]
	s_cbranch_execz .LBB24_231
; %bb.230:                              ;   in Loop: Header=BB24_13 Depth=1
	v_mad_u64_u32 v[2:3], s[40:41], v78, s64, v[46:47]
	v_ashrrev_i32_e32 v3, 31, v2
	v_lshl_add_u64 v[2:3], v[2:3], 3, v[110:111]
	global_load_dwordx2 v[2:3], v[2:3], off
	s_waitcnt vmcnt(0)
	v_cvt_pk_f16_f32 v1, v2, v3
	v_pk_mul_f16 v1, v1, v242
	v_add_u32_e32 v2, v208, v199
	ds_write_b32 v2, v1
.LBB24_231:                             ;   in Loop: Header=BB24_13 Depth=1
	s_or_b64 exec, exec, s[38:39]
	v_add_u32_e32 v77, v89, v156
	;; [unrolled: 27-line block ×7, first 2 shown]
	v_cmp_gt_i32_e64 s[38:39], s68, v210
	v_cmp_le_i32_e32 vcc, s68, v210
	s_nop 0
	v_writelane_b32 v255, s38, 26
	s_nop 1
	v_writelane_b32 v255, s39, 27
	s_and_saveexec_b64 s[38:39], vcc
	s_xor_b64 s[38:39], exec, s[38:39]
; %bb.252:                              ;   in Loop: Header=BB24_13 Depth=1
	v_add_u32_e32 v1, v208, v204
	ds_write_b32 v1, v49 offset:1088
; %bb.253:                              ;   in Loop: Header=BB24_13 Depth=1
	s_andn2_saveexec_b64 s[38:39], s[38:39]
	s_cbranch_execz .LBB24_255
; %bb.254:                              ;   in Loop: Header=BB24_13 Depth=1
	v_mad_u64_u32 v[2:3], s[40:41], v210, s64, v[46:47]
	v_ashrrev_i32_e32 v3, 31, v2
	v_lshl_add_u64 v[2:3], v[2:3], 3, v[110:111]
	global_load_dwordx2 v[2:3], v[2:3], off
	s_waitcnt vmcnt(0)
	v_cvt_pk_f16_f32 v1, v2, v3
	v_pk_mul_f16 v1, v1, v242
	v_add_u32_e32 v2, v208, v204
	ds_write_b32 v2, v1 offset:1088
.LBB24_255:                             ;   in Loop: Header=BB24_13 Depth=1
	s_or_b64 exec, exec, s[38:39]
	v_add_u32_e32 v212, v167, v156
	v_cmp_gt_i32_e64 s[38:39], s68, v212
	v_cmp_le_i32_e32 vcc, s68, v212
	s_nop 0
	v_writelane_b32 v255, s38, 28
	s_nop 1
	v_writelane_b32 v255, s39, 29
	s_and_saveexec_b64 s[38:39], vcc
	s_xor_b64 s[38:39], exec, s[38:39]
; %bb.256:                              ;   in Loop: Header=BB24_13 Depth=1
	v_add_u32_e32 v1, v208, v204
	ds_write_b32 v1, v49 offset:2176
; %bb.257:                              ;   in Loop: Header=BB24_13 Depth=1
	s_andn2_saveexec_b64 s[38:39], s[38:39]
	s_cbranch_execz .LBB24_259
; %bb.258:                              ;   in Loop: Header=BB24_13 Depth=1
	v_mad_u64_u32 v[2:3], s[40:41], v212, s64, v[46:47]
	v_ashrrev_i32_e32 v3, 31, v2
	v_lshl_add_u64 v[2:3], v[2:3], 3, v[110:111]
	global_load_dwordx2 v[2:3], v[2:3], off
	s_waitcnt vmcnt(0)
	v_cvt_pk_f16_f32 v1, v2, v3
	v_pk_mul_f16 v1, v1, v242
	v_add_u32_e32 v2, v208, v204
	ds_write_b32 v2, v1 offset:2176
.LBB24_259:                             ;   in Loop: Header=BB24_13 Depth=1
	s_or_b64 exec, exec, s[38:39]
	v_add_u32_e32 v47, v166, v156
	;; [unrolled: 27-line block ×8, first 2 shown]
	v_cmp_gt_i32_e64 s[38:39], s68, v213
	v_cmp_le_i32_e32 vcc, s68, v213
	s_nop 0
	v_writelane_b32 v255, s38, 42
	s_nop 1
	v_writelane_b32 v255, s39, 43
	s_and_saveexec_b64 s[38:39], vcc
	s_xor_b64 s[38:39], exec, s[38:39]
; %bb.284:                              ;   in Loop: Header=BB24_13 Depth=1
	v_add_u32_e32 v1, v208, v204
	ds_write_b32 v1, v49 offset:9792
                                        ; implicit-def: $vgpr110_vgpr111
; %bb.285:                              ;   in Loop: Header=BB24_13 Depth=1
	s_andn2_saveexec_b64 s[38:39], s[38:39]
	s_cbranch_execz .LBB24_287
; %bb.286:                              ;   in Loop: Header=BB24_13 Depth=1
	v_mad_u64_u32 v[2:3], s[40:41], v213, s64, v[46:47]
	v_ashrrev_i32_e32 v3, 31, v2
	v_lshl_add_u64 v[2:3], v[2:3], 3, v[110:111]
	global_load_dwordx2 v[2:3], v[2:3], off
	s_waitcnt vmcnt(0)
	v_cvt_pk_f16_f32 v1, v2, v3
	v_pk_mul_f16 v1, v1, v242
	v_add_u32_e32 v2, v208, v204
	ds_write_b32 v2, v1 offset:9792
.LBB24_287:                             ;   in Loop: Header=BB24_13 Depth=1
	s_or_b64 exec, exec, s[38:39]
	s_waitcnt lgkmcnt(0)
	s_barrier
	ds_read2_b64 v[14:17], v53 offset1:4
	ds_read2_b64 v[10:13], v53 offset0:8 offset1:12
	ds_read2_b64 v[6:9], v53 offset0:16 offset1:20
	;; [unrolled: 1-line block ×3, first 2 shown]
	s_cmp_lt_i32 s58, 2
	v_cmp_ne_u64_e64 s[72:73], 0, v[98:99]
	s_waitcnt lgkmcnt(0)
	s_barrier
	s_cbranch_scc1 .LBB24_302
; %bb.288:                              ;   in Loop: Header=BB24_13 Depth=1
	v_mul_hi_u32 v20, s56, v76
	v_mul_hi_u32 v21, s56, v75
	v_add_u32_e32 v20, v76, v20
	v_add_u32_e32 v21, v75, v21
	v_lshrrev_b32_e32 v20, s57, v20
	v_lshrrev_b32_e32 v21, s57, v21
	v_mul_lo_u32 v20, v20, s68
	v_mul_lo_u32 v21, v21, s68
	v_readlane_b32 s38, v255, 6
	v_sub_u32_e32 v20, v76, v20
	v_sub_u32_e32 v21, v75, v21
	v_readlane_b32 s39, v255, 7
	s_mov_b32 s42, s38
	v_mad_i64_i32 v[118:119], s[38:39], s42, v20, v[98:99]
	v_mad_i64_i32 v[120:121], s[38:39], s42, v21, v[98:99]
	scratch_load_dwordx2 v[20:21], off, off offset:32 ; 8-byte Folded Reload
	v_mul_hi_u32 v18, s56, v78
	v_mul_hi_u32 v19, s56, v77
	v_add_u32_e32 v18, v78, v18
	v_add_u32_e32 v19, v77, v19
	v_lshrrev_b32_e32 v18, s57, v18
	v_lshrrev_b32_e32 v19, s57, v19
	v_mul_lo_u32 v18, v18, s68
	v_mul_lo_u32 v19, v19, s68
	v_sub_u32_e32 v18, v78, v18
	v_sub_u32_e32 v19, v77, v19
	v_mad_i64_i32 v[114:115], s[38:39], s42, v18, v[98:99]
	v_mad_i64_i32 v[116:117], s[38:39], s42, v19, v[98:99]
	v_lshl_add_u64 v[18:19], v[102:103], 0, v[104:105]
	v_and_b32_e32 v33, 64, v238
	v_add_u32_e32 v33, 64, v33
	v_xor_b32_e32 v34, 32, v238
	v_mul_hi_u32 v1, s56, v216
	v_mul_hi_u32 v22, s56, v74
	;; [unrolled: 1-line block ×12, first 2 shown]
	v_cmp_lt_i32_e32 vcc, v34, v33
	v_add_u32_e32 v1, v216, v1
	v_add_u32_e32 v22, v74, v22
	;; [unrolled: 1-line block ×12, first 2 shown]
	v_cndmask_b32_e32 v34, v238, v34, vcc
	v_lshrrev_b32_e32 v1, s57, v1
	v_lshrrev_b32_e32 v22, s57, v22
	;; [unrolled: 1-line block ×12, first 2 shown]
	v_lshlrev_b32_e32 v48, 2, v34
	v_xor_b32_e32 v34, 16, v238
	v_mul_lo_u32 v1, v1, s68
	v_mul_lo_u32 v22, v22, s68
	;; [unrolled: 1-line block ×12, first 2 shown]
	v_cmp_lt_i32_e32 vcc, v34, v33
	s_add_i32 s40, s58, -1
	v_sub_u32_e32 v1, v216, v1
	v_sub_u32_e32 v22, v74, v22
	;; [unrolled: 1-line block ×7, first 2 shown]
	s_waitcnt vmcnt(0)
	v_lshl_add_u64 v[102:103], v[20:21], 0, v[18:19]
	scratch_load_dwordx2 v[20:21], off, off offset:40 ; 8-byte Folded Reload
	v_sub_u32_e32 v28, v211, v28
	v_sub_u32_e32 v29, v205, v29
	;; [unrolled: 1-line block ×5, first 2 shown]
	v_cndmask_b32_e32 v33, v238, v34, vcc
	v_lshlrev_b32_e32 v80, 2, v33
	v_mov_b32_e32 v110, v96
	v_mov_b32_e32 v111, v96
	v_mad_i64_i32 v[112:113], s[38:39], s42, v1, v[98:99]
	v_mad_i64_i32 v[122:123], s[38:39], s42, v22, v[98:99]
	;; [unrolled: 1-line block ×12, first 2 shown]
	v_mov_b32_e32 v81, 0
	v_mov_b32_e32 v84, 0xfeffffff
	;; [unrolled: 1-line block ×3, first 2 shown]
	s_mov_b32 s41, s40
	v_mov_b32_e32 v87, 0
	v_mov_b32_e32 v43, 0
	;; [unrolled: 1-line block ×15, first 2 shown]
	s_waitcnt vmcnt(0)
	v_lshl_add_u64 v[104:105], v[20:21], 0, v[18:19]
	scratch_load_dwordx2 v[20:21], off, off offset:48 ; 8-byte Folded Reload
	s_waitcnt vmcnt(0)
	v_lshl_add_u64 v[144:145], v[20:21], 0, v[18:19]
	scratch_load_dwordx2 v[20:21], off, off offset:56 ; 8-byte Folded Reload
	;; [unrolled: 3-line block ×3, first 2 shown]
	v_lshl_add_u64 v[18:19], v[106:107], 0, v[108:109]
	s_waitcnt vmcnt(0)
	v_lshl_add_u64 v[106:107], v[20:21], 0, v[18:19]
	scratch_load_dwordx2 v[20:21], off, off offset:72 ; 8-byte Folded Reload
	s_waitcnt vmcnt(0)
	v_lshl_add_u64 v[108:109], v[20:21], 0, v[18:19]
	scratch_load_dwordx2 v[20:21], off, off offset:80 ; 8-byte Folded Reload
	;; [unrolled: 3-line block ×3, first 2 shown]
	s_waitcnt vmcnt(0)
	v_lshl_add_u64 v[150:151], v[20:21], 0, v[18:19]
	v_cndmask_b32_e64 v1, 0, 1, s[72:73]
	v_cmp_ne_u32_e64 s[74:75], 1, v1
	s_andn2_b64 vcc, exec, s[72:73]
	s_cbranch_vccnz .LBB24_298
.LBB24_289:                             ;   in Loop: Header=BB24_13 Depth=1
	s_and_saveexec_b64 s[38:39], s[48:49]
	s_xor_b64 s[38:39], exec, s[38:39]
	s_cbranch_execz .LBB24_291
; %bb.290:                              ;   in Loop: Header=BB24_13 Depth=1
	ds_write_b16 v177, v49 offset:17408
	ds_write_b16 v243, v49 offset:17408
	;; [unrolled: 1-line block ×4, first 2 shown]
.LBB24_291:                             ;   in Loop: Header=BB24_13 Depth=1
	s_or_saveexec_b64 s[38:39], s[38:39]
	v_mov_b32_e32 v1, 0
	v_mov_b32_e32 v18, 0
	;; [unrolled: 1-line block ×4, first 2 shown]
	s_xor_b64 exec, exec, s[38:39]
	s_cbranch_execz .LBB24_293
; %bb.292:                              ;   in Loop: Header=BB24_13 Depth=1
	v_lshl_add_u64 v[18:19], v[112:113], 0, v[50:51]
	global_load_ushort v1, v[18:19], off
	v_lshl_add_u64 v[18:19], v[114:115], 0, v[50:51]
	global_load_ushort v20, v[18:19], off
	;; [unrolled: 2-line block ×4, first 2 shown]
	s_waitcnt vmcnt(3)
	ds_write_b16 v177, v1 offset:17408
	s_waitcnt vmcnt(2)
	ds_write_b16 v243, v20 offset:17408
	;; [unrolled: 2-line block ×4, first 2 shown]
	v_lshl_add_u64 v[18:19], v[120:121], 0, v[50:51]
	global_load_ushort v1, v[18:19], off
	v_lshl_add_u64 v[18:19], v[122:123], 0, v[50:51]
	v_lshl_add_u64 v[20:21], v[124:125], 0, v[50:51]
	global_load_ushort v18, v[18:19], off
	s_nop 0
	global_load_ushort v19, v[20:21], off
	v_lshl_add_u64 v[20:21], v[126:127], 0, v[50:51]
	global_load_ushort v20, v[20:21], off
.LBB24_293:                             ;   in Loop: Header=BB24_13 Depth=1
	s_or_b64 exec, exec, s[38:39]
	s_waitcnt vmcnt(3)
	ds_write_b16 v246, v1 offset:17408
	s_waitcnt vmcnt(2)
	ds_write_b16 v247, v18 offset:17408
	;; [unrolled: 2-line block ×4, first 2 shown]
	s_and_saveexec_b64 s[38:39], s[48:49]
	s_xor_b64 s[38:39], exec, s[38:39]
	s_cbranch_execz .LBB24_295
; %bb.294:                              ;   in Loop: Header=BB24_13 Depth=1
	ds_write_b16 v250, v49 offset:17408
	ds_write_b16 v251, v49 offset:17408
	;; [unrolled: 1-line block ×4, first 2 shown]
.LBB24_295:                             ;   in Loop: Header=BB24_13 Depth=1
	s_or_saveexec_b64 s[38:39], s[38:39]
	v_mov_b32_e32 v1, 0
	v_mov_b32_e32 v18, 0
	;; [unrolled: 1-line block ×4, first 2 shown]
	s_xor_b64 exec, exec, s[38:39]
	s_cbranch_execz .LBB24_297
; %bb.296:                              ;   in Loop: Header=BB24_13 Depth=1
	v_lshl_add_u64 v[18:19], v[128:129], 0, v[50:51]
	global_load_ushort v1, v[18:19], off
	v_lshl_add_u64 v[18:19], v[130:131], 0, v[50:51]
	global_load_ushort v20, v[18:19], off
	;; [unrolled: 2-line block ×4, first 2 shown]
	s_waitcnt vmcnt(3)
	ds_write_b16 v250, v1 offset:17408
	s_waitcnt vmcnt(2)
	ds_write_b16 v251, v20 offset:17408
	;; [unrolled: 2-line block ×4, first 2 shown]
	v_lshl_add_u64 v[18:19], v[136:137], 0, v[50:51]
	global_load_ushort v1, v[18:19], off
	v_lshl_add_u64 v[18:19], v[138:139], 0, v[50:51]
	v_lshl_add_u64 v[20:21], v[140:141], 0, v[50:51]
	global_load_ushort v18, v[18:19], off
	s_nop 0
	global_load_ushort v19, v[20:21], off
	v_lshl_add_u64 v[20:21], v[142:143], 0, v[50:51]
	global_load_ushort v20, v[20:21], off
.LBB24_297:                             ;   in Loop: Header=BB24_13 Depth=1
	s_or_b64 exec, exec, s[38:39]
	s_waitcnt vmcnt(3)
	ds_write_b16 v236, v1 offset:17408
	s_waitcnt vmcnt(2)
	ds_write_b16 v234, v18 offset:17408
	;; [unrolled: 2-line block ×4, first 2 shown]
.LBB24_298:                             ;   Parent Loop BB24_13 Depth=1
                                        ; =>  This Inner Loop Header: Depth=2
	v_mov_b32_e32 v1, s55
	v_lshl_add_u64 v[20:21], v[108:109], 0, v[70:71]
	v_lshl_add_u64 v[18:19], v[106:107], 0, v[70:71]
	v_cndmask_b32_e64 v23, v1, v21, s[6:7]
	v_cndmask_b32_e64 v22, v176, v20, s[6:7]
	v_lshl_add_u64 v[20:21], v[148:149], 0, v[70:71]
	v_cndmask_b32_e64 v19, v1, v19, s[4:5]
	v_cndmask_b32_e64 v18, v176, v18, s[4:5]
	;; [unrolled: 1-line block ×4, first 2 shown]
	v_lshl_add_u64 v[20:21], v[150:151], 0, v[70:71]
	scratch_store_dwordx4 off, v[222:225], off
	v_cndmask_b32_e64 v27, v1, v21, s[10:11]
	v_cndmask_b32_e64 v26, v176, v20, s[10:11]
	flat_load_dwordx4 v[18:21], v[18:19]
	v_add_u32_e32 v1, 0x1000, v180
	s_and_b64 vcc, exec, s[74:75]
	s_waitcnt vmcnt(0) lgkmcnt(0)
	ds_write_b128 v179, v[18:21]
	flat_load_dwordx4 v[18:21], v[22:23]
	s_waitcnt vmcnt(0) lgkmcnt(0)
	ds_write_b128 v233, v[18:21]
	flat_load_dwordx4 v[18:21], v[24:25]
	;; [unrolled: 3-line block ×3, first 2 shown]
	s_waitcnt vmcnt(0) lgkmcnt(0)
	ds_write_b128 v227, v[18:21]
	s_waitcnt lgkmcnt(0)
	s_barrier
	ds_read2_b64 v[18:21], v180 offset1:4
	s_waitcnt lgkmcnt(0)
	v_mfma_f32_16x16x16_f16 v[22:25], v[18:19], v[14:15], 0
	v_mfma_f32_16x16x16_f16 v[18:21], v[20:21], v[16:17], v[22:25]
	s_nop 6
	ds_read2_b64 v[22:25], v180 offset0:8 offset1:12
	s_waitcnt lgkmcnt(0)
	v_mfma_f32_16x16x16_f16 v[18:21], v[22:23], v[10:11], v[18:21]
	v_mfma_f32_16x16x16_f16 v[18:21], v[24:25], v[12:13], v[18:21]
	ds_read2_b64 v[22:25], v180 offset0:16 offset1:20
	s_waitcnt lgkmcnt(0)
	v_mfma_f32_16x16x16_f16 v[18:21], v[22:23], v[6:7], v[18:21]
	v_mfma_f32_16x16x16_f16 v[18:21], v[24:25], v[8:9], v[18:21]
	;; [unrolled: 4-line block ×4, first 2 shown]
	s_nop 6
	ds_read2_b64 v[26:29], v1 offset0:40 offset1:44
	s_waitcnt lgkmcnt(0)
	v_mfma_f32_16x16x16_f16 v[22:25], v[26:27], v[10:11], v[22:25]
	v_mfma_f32_16x16x16_f16 v[22:25], v[28:29], v[12:13], v[22:25]
	ds_read2_b64 v[26:29], v1 offset0:48 offset1:52
	s_waitcnt lgkmcnt(0)
	v_mfma_f32_16x16x16_f16 v[22:25], v[26:27], v[6:7], v[22:25]
	v_mfma_f32_16x16x16_f16 v[22:25], v[28:29], v[8:9], v[22:25]
	ds_read2_b64 v[26:29], v1 offset0:56 offset1:60
	v_add_u32_e32 v1, 0x2000, v180
	s_waitcnt lgkmcnt(0)
	v_mfma_f32_16x16x16_f16 v[22:25], v[26:27], v[2:3], v[22:25]
	v_mfma_f32_16x16x16_f16 v[22:25], v[28:29], v[4:5], v[22:25]
	ds_read2_b64 v[26:29], v1 offset0:64 offset1:68
	s_waitcnt lgkmcnt(0)
	v_mfma_f32_16x16x16_f16 v[30:33], v[26:27], v[14:15], 0
	v_mfma_f32_16x16x16_f16 v[26:29], v[28:29], v[16:17], v[30:33]
	s_nop 6
	ds_read2_b64 v[30:33], v1 offset0:72 offset1:76
	s_waitcnt lgkmcnt(0)
	v_mfma_f32_16x16x16_f16 v[26:29], v[30:31], v[10:11], v[26:29]
	v_mfma_f32_16x16x16_f16 v[26:29], v[32:33], v[12:13], v[26:29]
	ds_read2_b64 v[30:33], v1 offset0:80 offset1:84
	s_waitcnt lgkmcnt(0)
	v_mfma_f32_16x16x16_f16 v[26:29], v[30:31], v[6:7], v[26:29]
	v_mfma_f32_16x16x16_f16 v[26:29], v[32:33], v[8:9], v[26:29]
	ds_read2_b64 v[30:33], v1 offset0:88 offset1:92
	v_add_u32_e32 v1, 0x3000, v180
	s_waitcnt lgkmcnt(0)
	v_mfma_f32_16x16x16_f16 v[26:29], v[30:31], v[2:3], v[26:29]
	v_mfma_f32_16x16x16_f16 v[26:29], v[32:33], v[4:5], v[26:29]
	ds_read2_b64 v[30:33], v1 offset0:96 offset1:100
	s_waitcnt lgkmcnt(0)
	v_mfma_f32_16x16x16_f16 v[152:155], v[30:31], v[14:15], 0
	v_mfma_f32_16x16x16_f16 v[30:33], v[32:33], v[16:17], v[152:155]
	s_nop 6
	ds_read2_b64 v[152:155], v1 offset0:104 offset1:108
	s_waitcnt lgkmcnt(0)
	v_mfma_f32_16x16x16_f16 v[30:33], v[152:153], v[10:11], v[30:33]
	v_mfma_f32_16x16x16_f16 v[30:33], v[154:155], v[12:13], v[30:33]
	ds_read2_b64 v[152:155], v1 offset0:112 offset1:116
	s_waitcnt lgkmcnt(0)
	v_mfma_f32_16x16x16_f16 v[30:33], v[152:153], v[6:7], v[30:33]
	v_mfma_f32_16x16x16_f16 v[30:33], v[154:155], v[8:9], v[30:33]
	ds_read2_b64 v[152:155], v1 offset0:120 offset1:124
	s_waitcnt lgkmcnt(0)
	s_barrier
	v_mfma_f32_16x16x16_f16 v[30:33], v[152:153], v[2:3], v[30:33]
	v_mfma_f32_16x16x16_f16 v[30:33], v[154:155], v[4:5], v[30:33]
	s_cbranch_vccnz .LBB24_300
; %bb.299:                              ;   in Loop: Header=BB24_298 Depth=2
	ds_read_b32 v1, v182 offset:17408
	v_mov_b32_e32 v97, v96
	s_waitcnt lgkmcnt(0)
	v_cvt_f32_f16_sdwa v89, v1 dst_sel:DWORD dst_unused:UNUSED_PAD src0_sel:WORD_1
	v_cvt_f32_f16_e32 v88, v1
	ds_read_b32 v1, v183 offset:17408
	v_pk_fma_f32 v[18:19], v[110:111], v[88:89], v[18:19]
	s_waitcnt lgkmcnt(0)
	v_cvt_f32_f16_sdwa v153, v1 dst_sel:DWORD dst_unused:UNUSED_PAD src0_sel:WORD_1
	v_cvt_f32_f16_e32 v152, v1
	v_add_u32_e32 v1, 0x4400, v185
	ds_read2_b32 v[88:89], v1 offset1:1
	v_add_u32_e32 v1, 0x4400, v187
	v_pk_fma_f32 v[20:21], v[96:97], v[152:153], v[20:21]
	s_waitcnt lgkmcnt(0)
	v_cvt_f32_f16_e32 v152, v88
	v_cvt_f32_f16_sdwa v153, v88 dst_sel:DWORD dst_unused:UNUSED_PAD src0_sel:WORD_1
	v_cvt_f32_f16_e32 v88, v89
	v_cvt_f32_f16_sdwa v89, v89 dst_sel:DWORD dst_unused:UNUSED_PAD src0_sel:WORD_1
	v_pk_fma_f32 v[22:23], v[110:111], v[152:153], v[22:23]
	v_pk_fma_f32 v[24:25], v[96:97], v[88:89], v[24:25]
	ds_read2_b32 v[88:89], v1 offset1:1
	v_add_u32_e32 v1, 0x4400, v189
	s_waitcnt lgkmcnt(0)
	v_cvt_f32_f16_e32 v152, v88
	v_cvt_f32_f16_sdwa v153, v88 dst_sel:DWORD dst_unused:UNUSED_PAD src0_sel:WORD_1
	v_cvt_f32_f16_e32 v88, v89
	v_cvt_f32_f16_sdwa v89, v89 dst_sel:DWORD dst_unused:UNUSED_PAD src0_sel:WORD_1
	v_pk_fma_f32 v[26:27], v[110:111], v[152:153], v[26:27]
	v_pk_fma_f32 v[28:29], v[96:97], v[88:89], v[28:29]
	ds_read2_b32 v[88:89], v1 offset1:1
	s_waitcnt lgkmcnt(0)
	v_cvt_f32_f16_e32 v152, v88
	v_cvt_f32_f16_sdwa v153, v88 dst_sel:DWORD dst_unused:UNUSED_PAD src0_sel:WORD_1
	v_cvt_f32_f16_e32 v88, v89
	v_cvt_f32_f16_sdwa v89, v89 dst_sel:DWORD dst_unused:UNUSED_PAD src0_sel:WORD_1
	v_pk_fma_f32 v[30:31], v[110:111], v[152:153], v[30:31]
	v_pk_fma_f32 v[32:33], v[96:97], v[88:89], v[32:33]
.LBB24_300:                             ;   in Loop: Header=BB24_298 Depth=2
	v_add_f32_e32 v1, 0x40051340, v18
	v_max_f32_e32 v72, v84, v84
	v_max_f32_e32 v1, v72, v1
	v_cndmask_b32_e64 v1, v84, v1, s[12:13]
	v_add_f32_e32 v72, 0x40051340, v19
	v_max_f32_e32 v1, v1, v1
	v_max_f32_e32 v1, v1, v72
	v_cndmask_b32_e64 v1, v84, v1, s[12:13]
	;; [unrolled: 4-line block ×16, first 2 shown]
	ds_bpermute_b32 v72, v48, v1
	v_max_f32_e32 v1, v1, v1
	scratch_store_dwordx4 off, v[222:225], off
	s_add_i32 s41, s41, -1
	v_lshl_add_u64 v[112:113], v[112:113], 0, s[66:67]
	s_waitcnt lgkmcnt(0)
	v_max_f32_e32 v72, v72, v72
	v_max_f32_e32 v1, v1, v72
	ds_bpermute_b32 v72, v80, v1
	v_lshl_add_u64 v[114:115], v[114:115], 0, s[66:67]
	v_lshl_add_u64 v[116:117], v[116:117], 0, s[66:67]
	;; [unrolled: 1-line block ×4, first 2 shown]
	s_waitcnt lgkmcnt(0)
	v_max_f32_e32 v72, v72, v72
	v_max_f32_e32 v79, v1, v72
	v_sub_f32_e32 v1, v18, v79
	v_mul_f32_e32 v18, 0x3fb8aa3b, v1
	v_fma_f32 v72, v1, s54, -v18
	v_rndne_f32_e32 v85, v18
	v_fmac_f32_e32 v72, 0x32a5705f, v1
	v_sub_f32_e32 v18, v18, v85
	v_add_f32_e32 v18, v18, v72
	v_exp_f32_e32 v18, v18
	v_cvt_i32_f32_e32 v72, v85
	v_sub_f32_e32 v19, v19, v79
	v_cmp_ngt_f32_e32 vcc, s33, v1
	v_lshl_add_u64 v[122:123], v[122:123], 0, s[66:67]
	v_ldexp_f32 v18, v18, v72
	v_mul_f32_e32 v72, 0x3fb8aa3b, v19
	v_fma_f32 v85, v19, s54, -v72
	v_rndne_f32_e32 v86, v72
	v_fmac_f32_e32 v85, 0x32a5705f, v19
	v_sub_f32_e32 v72, v72, v86
	v_add_f32_e32 v72, v72, v85
	v_exp_f32_e32 v72, v72
	v_cvt_i32_f32_e32 v85, v86
	v_cndmask_b32_e32 v18, 0, v18, vcc
	v_cmp_nlt_f32_e32 vcc, s69, v1
	v_lshl_add_u64 v[124:125], v[124:125], 0, s[66:67]
	v_ldexp_f32 v72, v72, v85
	v_cndmask_b32_e32 v1, v215, v18, vcc
	v_cmp_ngt_f32_e32 vcc, s33, v19
	v_cndmask_b32_e64 v18, 0, v1, s[12:13]
	v_lshl_add_u64 v[126:127], v[126:127], 0, s[66:67]
	v_cndmask_b32_e32 v72, 0, v72, vcc
	v_cmp_nlt_f32_e32 vcc, s69, v19
	v_lshl_add_u64 v[128:129], v[128:129], 0, s[66:67]
	v_lshl_add_u64 v[130:131], v[130:131], 0, s[66:67]
	v_cndmask_b32_e32 v19, v215, v72, vcc
	v_add_f32_e32 v72, v1, v19
	v_mov_b32_e32 v1, s65
	v_cndmask_b32_e64 v1, v1, v19, s[12:13]
	v_sub_f32_e32 v19, v20, v79
	v_mul_f32_e32 v20, 0x3fb8aa3b, v19
	v_fma_f32 v85, v19, s54, -v20
	v_rndne_f32_e32 v86, v20
	v_fmac_f32_e32 v85, 0x32a5705f, v19
	v_sub_f32_e32 v20, v20, v86
	v_add_f32_e32 v20, v20, v85
	v_exp_f32_e32 v20, v20
	v_cvt_i32_f32_e32 v85, v86
	v_cmp_ngt_f32_e32 vcc, s33, v19
	v_cvt_pk_f16_f32 v158, v18, v1
	v_lshl_add_u64 v[132:133], v[132:133], 0, s[66:67]
	v_ldexp_f32 v20, v20, v85
	v_cndmask_b32_e32 v20, 0, v20, vcc
	v_cmp_nlt_f32_e32 vcc, s69, v19
	v_lshl_add_u64 v[134:135], v[134:135], 0, s[66:67]
	v_lshl_add_u64 v[136:137], v[136:137], 0, s[66:67]
	v_cndmask_b32_e32 v19, v215, v20, vcc
	v_mov_b32_e32 v20, s65
	v_add_f32_e32 v72, v72, v19
	v_cndmask_b32_e64 v20, v20, v19, s[12:13]
	v_sub_f32_e32 v19, v21, v79
	v_mul_f32_e32 v21, 0x3fb8aa3b, v19
	v_fma_f32 v85, v19, s54, -v21
	v_rndne_f32_e32 v86, v21
	v_fmac_f32_e32 v85, 0x32a5705f, v19
	v_sub_f32_e32 v21, v21, v86
	v_add_f32_e32 v21, v21, v85
	v_exp_f32_e32 v21, v21
	v_cvt_i32_f32_e32 v85, v86
	v_cmp_ngt_f32_e32 vcc, s33, v19
	v_lshl_add_u64 v[138:139], v[138:139], 0, s[66:67]
	v_lshl_add_u64 v[140:141], v[140:141], 0, s[66:67]
	v_ldexp_f32 v21, v21, v85
	v_cndmask_b32_e32 v21, 0, v21, vcc
	v_cmp_nlt_f32_e32 vcc, s69, v19
	v_mov_b32_e32 v19, s65
	v_lshl_add_u64 v[142:143], v[142:143], 0, s[66:67]
	v_cndmask_b32_e32 v21, v215, v21, vcc
	v_add_f32_e32 v72, v72, v21
	v_cndmask_b32_e64 v89, v19, v21, s[12:13]
	v_sub_f32_e32 v21, v22, v79
	v_mul_f32_e32 v22, 0x3fb8aa3b, v21
	v_cndmask_b32_e64 v19, 0, v72, s[12:13]
	v_fma_f32 v72, v21, s54, -v22
	v_rndne_f32_e32 v85, v22
	v_fmac_f32_e32 v72, 0x32a5705f, v21
	v_sub_f32_e32 v22, v22, v85
	v_add_f32_e32 v22, v22, v72
	v_exp_f32_e32 v22, v22
	v_cvt_i32_f32_e32 v72, v85
	v_cmp_ngt_f32_e32 vcc, s33, v21
	v_cvt_pk_f16_f32 v159, v20, v89
	v_lshl_add_u64 v[106:107], v[106:107], 0, s[60:61]
	v_ldexp_f32 v22, v22, v72
	v_cndmask_b32_e32 v22, 0, v22, vcc
	v_cmp_nlt_f32_e32 vcc, s69, v21
	v_lshl_add_u64 v[108:109], v[108:109], 0, s[60:61]
	v_lshl_add_u64 v[148:149], v[148:149], 0, s[60:61]
	v_cndmask_b32_e32 v21, v215, v22, vcc
	v_add_f32_e32 v72, v21, v19
	v_mov_b32_e32 v22, s65
	v_cndmask_b32_e64 v22, v22, v21, s[14:15]
	v_cndmask_b32_e64 v21, v19, v72, s[14:15]
	v_sub_f32_e32 v19, v23, v79
	v_mul_f32_e32 v23, 0x3fb8aa3b, v19
	v_fma_f32 v72, v19, s54, -v23
	v_rndne_f32_e32 v85, v23
	v_fmac_f32_e32 v72, 0x32a5705f, v19
	v_sub_f32_e32 v23, v23, v85
	v_add_f32_e32 v23, v23, v72
	v_exp_f32_e32 v23, v23
	v_cvt_i32_f32_e32 v72, v85
	v_cmp_ngt_f32_e32 vcc, s33, v19
	v_lshl_add_u64 v[150:151], v[150:151], 0, s[60:61]
	s_cmp_lg_u32 s41, 0
	v_ldexp_f32 v23, v23, v72
	v_cndmask_b32_e32 v23, 0, v23, vcc
	v_cmp_nlt_f32_e32 vcc, s69, v19
	v_mov_b32_e32 v19, s65
	s_nop 0
	v_cndmask_b32_e32 v23, v215, v23, vcc
	v_add_f32_e32 v72, v23, v21
	v_cndmask_b32_e64 v19, v19, v23, s[16:17]
	v_sub_f32_e32 v23, v24, v79
	v_mul_f32_e32 v24, 0x3fb8aa3b, v23
	v_cndmask_b32_e64 v21, v21, v72, s[16:17]
	v_fma_f32 v72, v23, s54, -v24
	v_rndne_f32_e32 v85, v24
	v_fmac_f32_e32 v72, 0x32a5705f, v23
	v_sub_f32_e32 v24, v24, v85
	v_add_f32_e32 v24, v24, v72
	v_exp_f32_e32 v24, v24
	v_cvt_i32_f32_e32 v72, v85
	v_cmp_ngt_f32_e32 vcc, s33, v23
	v_cvt_pk_f16_f32 v156, v22, v19
	v_ldexp_f32 v24, v24, v72
	v_cndmask_b32_e32 v24, 0, v24, vcc
	v_cmp_nlt_f32_e32 vcc, s69, v23
	s_nop 1
	v_cndmask_b32_e32 v23, v215, v24, vcc
	v_add_f32_e32 v72, v23, v21
	v_mov_b32_e32 v24, s65
	v_cndmask_b32_e64 v24, v24, v23, s[18:19]
	v_cndmask_b32_e64 v23, v21, v72, s[18:19]
	v_sub_f32_e32 v21, v25, v79
	v_mul_f32_e32 v25, 0x3fb8aa3b, v21
	v_fma_f32 v72, v21, s54, -v25
	v_rndne_f32_e32 v85, v25
	v_fmac_f32_e32 v72, 0x32a5705f, v21
	v_sub_f32_e32 v25, v25, v85
	v_add_f32_e32 v25, v25, v72
	v_exp_f32_e32 v25, v25
	v_cvt_i32_f32_e32 v72, v85
	v_cmp_ngt_f32_e32 vcc, s33, v21
	v_ldexp_f32 v25, v25, v72
	s_nop 0
	v_cndmask_b32_e32 v25, 0, v25, vcc
	v_cmp_nlt_f32_e32 vcc, s69, v21
	v_mov_b32_e32 v21, s65
	s_nop 0
	v_cndmask_b32_e32 v25, v215, v25, vcc
	v_add_f32_e32 v72, v25, v23
	v_cndmask_b32_e64 v152, v21, v25, s[20:21]
	v_cndmask_b32_e64 v21, v23, v72, s[20:21]
	v_sub_f32_e32 v23, v26, v79
	v_mul_f32_e32 v25, 0x3fb8aa3b, v23
	v_fma_f32 v26, v23, s54, -v25
	v_rndne_f32_e32 v72, v25
	v_fmac_f32_e32 v26, 0x32a5705f, v23
	v_sub_f32_e32 v25, v25, v72
	v_add_f32_e32 v25, v25, v26
	v_exp_f32_e32 v25, v25
	v_cvt_i32_f32_e32 v26, v72
	v_cmp_ngt_f32_e32 vcc, s33, v23
	v_cvt_pk_f16_f32 v157, v24, v152
	v_ldexp_f32 v25, v25, v26
	v_cndmask_b32_e32 v25, 0, v25, vcc
	v_cmp_nlt_f32_e32 vcc, s69, v23
	v_mov_b32_e32 v26, s65
	s_nop 0
	v_cndmask_b32_e32 v23, v215, v25, vcc
	v_add_f32_e32 v25, v23, v21
	v_cndmask_b32_e64 v26, v26, v23, s[22:23]
	v_cndmask_b32_e64 v23, v21, v25, s[22:23]
	v_sub_f32_e32 v21, v27, v79
	v_mul_f32_e32 v25, 0x3fb8aa3b, v21
	v_fma_f32 v27, v21, s54, -v25
	v_rndne_f32_e32 v72, v25
	v_fmac_f32_e32 v27, 0x32a5705f, v21
	v_sub_f32_e32 v25, v25, v72
	v_add_f32_e32 v25, v25, v27
	v_exp_f32_e32 v25, v25
	v_cvt_i32_f32_e32 v27, v72
	v_cmp_ngt_f32_e32 vcc, s33, v21
	v_ldexp_f32 v25, v25, v27
	s_nop 0
	v_cndmask_b32_e32 v25, 0, v25, vcc
	v_cmp_nlt_f32_e32 vcc, s69, v21
	v_mov_b32_e32 v21, s65
	s_nop 0
	v_cndmask_b32_e32 v25, v215, v25, vcc
	v_add_f32_e32 v27, v25, v23
	v_cndmask_b32_e64 v21, v21, v25, s[24:25]
	v_sub_f32_e32 v25, v28, v79
	v_cndmask_b32_e64 v23, v23, v27, s[24:25]
	v_mul_f32_e32 v27, 0x3fb8aa3b, v25
	v_fma_f32 v28, v25, s54, -v27
	v_rndne_f32_e32 v72, v27
	v_fmac_f32_e32 v28, 0x32a5705f, v25
	v_sub_f32_e32 v27, v27, v72
	v_add_f32_e32 v27, v27, v28
	v_exp_f32_e32 v27, v27
	v_cvt_i32_f32_e32 v28, v72
	v_cmp_ngt_f32_e32 vcc, s33, v25
	v_ldexp_f32 v27, v27, v28
	s_nop 0
	v_cndmask_b32_e32 v27, 0, v27, vcc
	v_cmp_nlt_f32_e32 vcc, s69, v25
	v_mov_b32_e32 v28, s65
	s_nop 0
	v_cndmask_b32_e32 v25, v215, v27, vcc
	v_add_f32_e32 v27, v25, v23
	v_cndmask_b32_e64 v28, v28, v25, s[26:27]
	v_cndmask_b32_e64 v25, v23, v27, s[26:27]
	v_sub_f32_e32 v23, v29, v79
	v_mul_f32_e32 v27, 0x3fb8aa3b, v23
	v_fma_f32 v29, v23, s54, -v27
	v_rndne_f32_e32 v72, v27
	v_fmac_f32_e32 v29, 0x32a5705f, v23
	v_sub_f32_e32 v27, v27, v72
	v_add_f32_e32 v27, v27, v29
	v_exp_f32_e32 v27, v27
	v_cvt_i32_f32_e32 v29, v72
	v_cmp_ngt_f32_e32 vcc, s33, v23
	v_ldexp_f32 v27, v27, v29
	s_nop 0
	v_cndmask_b32_e32 v27, 0, v27, vcc
	v_cmp_nlt_f32_e32 vcc, s69, v23
	v_mov_b32_e32 v23, s65
	s_nop 0
	v_cndmask_b32_e32 v27, v215, v27, vcc
	v_add_f32_e32 v29, v27, v25
	v_cndmask_b32_e64 v153, v23, v27, s[28:29]
	v_cndmask_b32_e64 v23, v25, v29, s[28:29]
	v_sub_f32_e32 v25, v30, v79
	v_mul_f32_e32 v27, 0x3fb8aa3b, v25
	v_fma_f32 v29, v25, s54, -v27
	v_rndne_f32_e32 v30, v27
	v_fmac_f32_e32 v29, 0x32a5705f, v25
	v_sub_f32_e32 v27, v27, v30
	v_add_f32_e32 v27, v27, v29
	v_exp_f32_e32 v27, v27
	v_cvt_i32_f32_e32 v29, v30
	v_cmp_ngt_f32_e32 vcc, s33, v25
	v_mov_b32_e32 v30, s65
	v_ldexp_f32 v27, v27, v29
	v_cndmask_b32_e32 v27, 0, v27, vcc
	v_cmp_nlt_f32_e32 vcc, s69, v25
	s_nop 1
	v_cndmask_b32_e32 v25, v215, v27, vcc
	v_add_f32_e32 v27, v25, v23
	v_cndmask_b32_e64 v30, v30, v25, s[0:1]
	v_cndmask_b32_e64 v25, v23, v27, s[0:1]
	v_sub_f32_e32 v23, v31, v79
	v_mul_f32_e32 v27, 0x3fb8aa3b, v23
	v_fma_f32 v29, v23, s54, -v27
	v_rndne_f32_e32 v31, v27
	v_fmac_f32_e32 v29, 0x32a5705f, v23
	v_sub_f32_e32 v27, v27, v31
	v_add_f32_e32 v27, v27, v29
	v_exp_f32_e32 v27, v27
	v_cvt_i32_f32_e32 v29, v31
	v_cmp_ngt_f32_e32 vcc, s33, v23
	v_ldexp_f32 v27, v27, v29
	s_nop 0
	v_cndmask_b32_e32 v27, 0, v27, vcc
	v_cmp_nlt_f32_e32 vcc, s69, v23
	v_mov_b32_e32 v23, s65
	s_nop 0
	v_cndmask_b32_e32 v27, v215, v27, vcc
	v_add_f32_e32 v29, v27, v25
	v_cndmask_b32_e64 v23, v23, v27, s[30:31]
	v_sub_f32_e32 v27, v32, v79
	v_cndmask_b32_e64 v25, v25, v29, s[30:31]
	v_mul_f32_e32 v29, 0x3fb8aa3b, v27
	v_fma_f32 v31, v27, s54, -v29
	v_rndne_f32_e32 v32, v29
	v_fmac_f32_e32 v31, 0x32a5705f, v27
	v_sub_f32_e32 v29, v29, v32
	v_add_f32_e32 v29, v29, v31
	v_exp_f32_e32 v29, v29
	v_cvt_i32_f32_e32 v31, v32
	v_cmp_ngt_f32_e32 vcc, s33, v27
	v_mov_b32_e32 v32, s65
	v_cvt_pk_f16_f32 v152, v30, v23
	v_ldexp_f32 v29, v29, v31
	v_cndmask_b32_e32 v29, 0, v29, vcc
	v_cmp_nlt_f32_e32 vcc, s69, v27
	s_nop 1
	v_cndmask_b32_e32 v27, v215, v29, vcc
	v_add_f32_e32 v29, v27, v25
	v_cndmask_b32_e64 v32, v32, v27, s[34:35]
	v_cndmask_b32_e64 v27, v25, v29, s[34:35]
	v_sub_f32_e32 v25, v33, v79
	v_mul_f32_e32 v29, 0x3fb8aa3b, v25
	v_fma_f32 v31, v25, s54, -v29
	v_rndne_f32_e32 v33, v29
	v_fmac_f32_e32 v31, 0x32a5705f, v25
	v_sub_f32_e32 v29, v29, v33
	v_add_f32_e32 v29, v29, v31
	v_exp_f32_e32 v29, v29
	v_cvt_i32_f32_e32 v31, v33
	v_cmp_ngt_f32_e32 vcc, s33, v25
	v_ldexp_f32 v29, v29, v31
	s_nop 0
	v_cndmask_b32_e32 v29, 0, v29, vcc
	v_cmp_nlt_f32_e32 vcc, s69, v25
	v_mov_b32_e32 v25, s65
	s_nop 0
	v_cndmask_b32_e32 v29, v215, v29, vcc
	v_add_f32_e32 v31, v29, v27
	v_cndmask_b32_e64 v72, v25, v29, s[36:37]
	v_sub_f32_e32 v25, v84, v79
	v_cndmask_b32_e64 v97, v27, v31, s[36:37]
	v_mul_f32_e32 v27, 0x3fb8aa3b, v25
	v_fma_f32 v29, v25, s54, -v27
	v_rndne_f32_e32 v31, v27
	v_fmac_f32_e32 v29, 0x32a5705f, v25
	v_sub_f32_e32 v27, v27, v31
	v_add_f32_e32 v27, v27, v29
	v_exp_f32_e32 v27, v27
	v_cvt_i32_f32_e32 v29, v31
	v_cmp_ngt_f32_e32 vcc, s33, v25
	v_ldexp_f32 v27, v27, v29
	s_nop 0
	v_cndmask_b32_e32 v27, 0, v27, vcc
	v_cmp_nlt_f32_e32 vcc, s69, v25
	s_nop 1
	v_cndmask_b32_e32 v27, v215, v27, vcc
	v_cmp_le_f32_e32 vcc, s99, v25
	s_nop 1
	v_cndmask_b32_e32 v25, 0, v27, vcc
	v_fmac_f32_e32 v97, v73, v25
	v_cvt_f16_f32_e32 v25, v25
	v_mul_u32_u24_e32 v155, 0x10001, v25
	v_pk_mul_f16 v29, v38, v155
	v_pk_mul_f16 v33, v37, v155
	;; [unrolled: 1-line block ×3, first 2 shown]
	v_mov_b32_e32 v38, s55
	v_lshl_add_u64 v[36:37], v[104:105], 0, v[70:71]
	v_pk_mul_f16 v88, v45, v155
	v_pk_mul_f16 v86, v35, v155
	v_pk_mul_f16 v85, v34, v155
	v_pk_mul_f16 v84, v44, v155
	v_pk_mul_f16 v45, v43, v155
	v_pk_mul_f16 v44, v42, v155
	v_lshl_add_u64 v[34:35], v[102:103], 0, v[70:71]
	v_cndmask_b32_e64 v43, v38, v37, s[6:7]
	v_cndmask_b32_e64 v42, v176, v36, s[6:7]
	v_lshl_add_u64 v[36:37], v[144:145], 0, v[70:71]
	v_pk_mul_f16 v25, v41, v155
	v_pk_mul_f16 v27, v40, v155
	v_cndmask_b32_e64 v35, v38, v35, s[4:5]
	v_cndmask_b32_e64 v34, v176, v34, s[4:5]
	;; [unrolled: 1-line block ×4, first 2 shown]
	v_lshl_add_u64 v[36:37], v[146:147], 0, v[70:71]
	v_pk_mul_f16 v154, v83, v155
	v_pk_mul_f16 v83, v39, v155
	v_cndmask_b32_e64 v39, v38, v37, s[10:11]
	v_cndmask_b32_e64 v38, v176, v36, s[10:11]
	flat_load_dwordx4 v[34:37], v[34:35]
	v_pk_mul_f16 v73, v82, v155
	v_pk_mul_f16 v82, v81, v155
	;; [unrolled: 1-line block ×3, first 2 shown]
	v_cvt_pk_f16_f32 v155, v28, v153
	v_cvt_pk_f16_f32 v153, v32, v72
	v_cvt_f32_f16_sdwa v23, v88 dst_sel:DWORD dst_unused:UNUSED_PAD src0_sel:WORD_1
	v_cvt_f32_f16_sdwa v87, v44 dst_sel:DWORD dst_unused:UNUSED_PAD src0_sel:WORD_1
	v_lshl_add_u64 v[102:103], v[102:103], 0, s[62:63]
	v_lshl_add_u64 v[104:105], v[104:105], 0, s[62:63]
	;; [unrolled: 1-line block ×4, first 2 shown]
	s_waitcnt vmcnt(0) lgkmcnt(0)
	ds_write_b128 v179, v[34:37]
	flat_load_dwordx4 v[34:37], v[42:43]
	s_waitcnt vmcnt(0) lgkmcnt(0)
	ds_write_b128 v233, v[34:37]
	flat_load_dwordx4 v[34:37], v[40:41]
	;; [unrolled: 3-line block ×3, first 2 shown]
	s_waitcnt vmcnt(0) lgkmcnt(0)
	ds_write_b128 v227, v[34:37]
	s_waitcnt lgkmcnt(0)
	s_barrier
	ds_read_u16 v38, v191 offset:272
	ds_read_u16 v39, v191 offset:544
	ds_read_u16 v40, v192
	ds_read_u16 v41, v192 offset:32
	v_cvt_f32_f16_e32 v34, v154
	v_cvt_f32_f16_sdwa v35, v154 dst_sel:DWORD dst_unused:UNUSED_PAD src0_sel:WORD_1
	v_cvt_f32_f16_e32 v36, v73
	s_waitcnt lgkmcnt(1)
	v_perm_b32 v39, v40, v39, s59
	ds_read_u16 v40, v191
	ds_read_u16 v42, v191 offset:32
	v_cvt_f32_f16_sdwa v37, v73 dst_sel:DWORD dst_unused:UNUSED_PAD src0_sel:WORD_1
	v_cvt_pk_f16_f32 v154, v26, v21
	s_waitcnt lgkmcnt(1)
	v_perm_b32 v38, v38, v40, s59
	s_nop 1
	v_mfma_f32_16x16x16_f16 v[34:37], v[38:39], v[158:159], v[34:37]
	ds_read_u16 v38, v191 offset:4352
	ds_read_u16 v40, v191 offset:4624
	;; [unrolled: 1-line block ×4, first 2 shown]
	s_nop 3
	v_cvt_f16_f32_e32 v1, v34
	v_cvt_f16_f32_e32 v18, v35
	;; [unrolled: 1-line block ×4, first 2 shown]
	s_waitcnt lgkmcnt(0)
	v_perm_b32 v39, v43, v39, s59
	v_perm_b32 v38, v40, v38, s59
	v_cvt_f32_f16_e32 v34, v1
	v_cvt_f32_f16_e32 v35, v18
	;; [unrolled: 1-line block ×4, first 2 shown]
	s_nop 1
	v_mfma_f32_16x16x16_f16 v[34:37], v[38:39], v[156:157], v[34:37]
	ds_read_u16 v22, v191 offset:8704
	ds_read_u16 v24, v191 offset:8976
	;; [unrolled: 1-line block ×4, first 2 shown]
	s_nop 3
	v_cvt_f16_f32_e32 v18, v35
	v_cvt_f16_f32_e32 v19, v36
	;; [unrolled: 1-line block ×4, first 2 shown]
	v_cvt_f32_f16_e32 v35, v18
	v_cvt_f32_f16_e32 v36, v19
	s_waitcnt lgkmcnt(0)
	v_perm_b32 v19, v39, v38, s59
	v_perm_b32 v18, v24, v22, s59
	v_cvt_f32_f16_e32 v34, v1
	v_cvt_f32_f16_e32 v37, v20
	ds_read_u16 v22, v191 offset:13056
	ds_read_u16 v24, v191 offset:13328
	;; [unrolled: 1-line block ×4, first 2 shown]
	v_mfma_f32_16x16x16_f16 v[18:21], v[18:19], v[154:155], v[34:37]
	s_waitcnt lgkmcnt(0)
	s_nop 1
	v_perm_b32 v35, v28, v26, s59
	v_perm_b32 v34, v24, v22, s59
	s_nop 2
	v_cvt_f16_f32_e32 v1, v18
	v_cvt_f16_f32_e32 v19, v19
	;; [unrolled: 1-line block ×4, first 2 shown]
	v_cvt_f32_f16_e32 v18, v1
	ds_read_u16 v1, v191 offset:304
	ds_read_u16 v26, v191 offset:576
	v_cvt_f32_f16_e32 v19, v19
	v_cvt_f32_f16_e32 v20, v20
	;; [unrolled: 1-line block ×5, first 2 shown]
	v_mfma_f32_16x16x16_f16 v[18:21], v[34:35], v[152:153], v[18:21]
	s_waitcnt lgkmcnt(0)
	v_perm_b32 v35, v41, v26, s59
	v_perm_b32 v34, v1, v42, s59
	v_cvt_f32_f16_sdwa v25, v25 dst_sel:DWORD dst_unused:UNUSED_PAD src0_sel:WORD_1
	ds_read_u16 v26, v191 offset:4384
	ds_read_u16 v28, v191 offset:4656
	;; [unrolled: 1-line block ×4, first 2 shown]
	v_mfma_f32_16x16x16_f16 v[22:25], v[34:35], v[158:159], v[22:25]
	s_waitcnt lgkmcnt(2)
	v_perm_b32 v34, v28, v26, s59
	s_waitcnt lgkmcnt(0)
	v_perm_b32 v35, v32, v30, s59
	ds_read_u16 v26, v191 offset:8736
	ds_read_u16 v28, v191 offset:9008
	;; [unrolled: 1-line block ×4, first 2 shown]
	v_cvt_f16_f32_e32 v1, v22
	v_cvt_f16_f32_e32 v23, v23
	;; [unrolled: 1-line block ×4, first 2 shown]
	v_cvt_f32_f16_e32 v22, v1
	v_cvt_f32_f16_e32 v23, v23
	;; [unrolled: 1-line block ×5, first 2 shown]
	v_cvt_f32_f16_sdwa v37, v27 dst_sel:DWORD dst_unused:UNUSED_PAD src0_sel:WORD_1
	v_mfma_f32_16x16x16_f16 v[22:25], v[34:35], v[156:157], v[22:25]
	s_waitcnt lgkmcnt(0)
	v_perm_b32 v35, v32, v30, s59
	v_perm_b32 v34, v28, v26, s59
	ds_read_u16 v26, v191 offset:13088
	ds_read_u16 v28, v191 offset:13360
	;; [unrolled: 1-line block ×4, first 2 shown]
	s_nop 0
	v_cvt_f16_f32_e32 v1, v22
	v_cvt_f16_f32_e32 v23, v23
	;; [unrolled: 1-line block ×4, first 2 shown]
	v_cvt_f32_f16_e32 v22, v1
	v_cvt_f32_f16_e32 v23, v23
	;; [unrolled: 1-line block ×4, first 2 shown]
	s_nop 1
	v_mfma_f32_16x16x16_f16 v[22:25], v[34:35], v[154:155], v[22:25]
	s_waitcnt lgkmcnt(0)
	v_perm_b32 v35, v32, v30, s59
	v_perm_b32 v34, v28, v26, s59
	s_nop 4
	v_cvt_f16_f32_e32 v1, v22
	v_cvt_f16_f32_e32 v23, v23
	;; [unrolled: 1-line block ×4, first 2 shown]
	v_cvt_f32_f16_e32 v22, v1
	ds_read_u16 v1, v191 offset:64
	ds_read_u16 v26, v191 offset:336
	;; [unrolled: 1-line block ×4, first 2 shown]
	v_cvt_f32_f16_e32 v23, v23
	v_cvt_f32_f16_e32 v24, v24
	;; [unrolled: 1-line block ×3, first 2 shown]
	s_waitcnt lgkmcnt(2)
	v_perm_b32 v26, v26, v1, s59
	s_waitcnt lgkmcnt(0)
	v_perm_b32 v27, v30, v28, s59
	v_mfma_f32_16x16x16_f16 v[22:25], v[34:35], v[152:153], v[22:25]
	v_cvt_f32_f16_e32 v34, v29
	v_cvt_f32_f16_sdwa v35, v29 dst_sel:DWORD dst_unused:UNUSED_PAD src0_sel:WORD_1
	s_nop 1
	v_mfma_f32_16x16x16_f16 v[26:29], v[26:27], v[158:159], v[34:37]
	ds_read_u16 v30, v191 offset:4416
	ds_read_u16 v32, v191 offset:4688
	s_nop 0
	ds_read_u16 v34, v191 offset:4960
	ds_read_u16 v35, v192 offset:4416
	s_nop 2
	v_cvt_f16_f32_e32 v1, v26
	v_cvt_f16_f32_e32 v27, v27
	;; [unrolled: 1-line block ×4, first 2 shown]
	s_waitcnt lgkmcnt(0)
	v_perm_b32 v35, v35, v34, s59
	v_perm_b32 v34, v32, v30, s59
	v_cvt_f32_f16_e32 v26, v1
	v_cvt_f32_f16_e32 v27, v27
	;; [unrolled: 1-line block ×4, first 2 shown]
	s_nop 1
	v_mfma_f32_16x16x16_f16 v[26:29], v[34:35], v[156:157], v[26:29]
	ds_read_u16 v30, v191 offset:8768
	ds_read_u16 v32, v191 offset:9040
	;; [unrolled: 1-line block ×4, first 2 shown]
	s_nop 3
	v_cvt_f16_f32_e32 v1, v26
	v_cvt_f16_f32_e32 v27, v27
	;; [unrolled: 1-line block ×4, first 2 shown]
	s_waitcnt lgkmcnt(0)
	v_perm_b32 v35, v35, v34, s59
	v_perm_b32 v34, v32, v30, s59
	v_cvt_f32_f16_e32 v26, v1
	v_cvt_f32_f16_e32 v27, v27
	v_cvt_f32_f16_e32 v28, v28
	v_cvt_f32_f16_e32 v29, v29
	s_nop 1
	v_mfma_f32_16x16x16_f16 v[26:29], v[34:35], v[154:155], v[26:29]
	ds_read_u16 v30, v191 offset:13120
	ds_read_u16 v32, v191 offset:13392
	;; [unrolled: 1-line block ×4, first 2 shown]
	s_nop 3
	v_cvt_f16_f32_e32 v1, v26
	v_cvt_f16_f32_e32 v27, v27
	;; [unrolled: 1-line block ×4, first 2 shown]
	v_cvt_f32_f16_e32 v26, v1
	s_waitcnt lgkmcnt(0)
	v_perm_b32 v35, v35, v34, s59
	v_perm_b32 v34, v32, v30, s59
	ds_read_u16 v1, v191 offset:96
	ds_read_u16 v30, v191 offset:368
	;; [unrolled: 1-line block ×4, first 2 shown]
	v_cvt_f32_f16_e32 v27, v27
	v_cvt_f32_f16_e32 v28, v28
	;; [unrolled: 1-line block ×3, first 2 shown]
	s_waitcnt lgkmcnt(2)
	v_perm_b32 v30, v30, v1, s59
	v_cvt_f32_f16_e32 v32, v33
	v_mfma_f32_16x16x16_f16 v[26:29], v[34:35], v[152:153], v[26:29]
	v_cvt_f32_f16_e32 v34, v31
	v_cvt_f32_f16_sdwa v35, v31 dst_sel:DWORD dst_unused:UNUSED_PAD src0_sel:WORD_1
	s_waitcnt lgkmcnt(0)
	v_perm_b32 v31, v37, v36, s59
	v_cvt_f32_f16_sdwa v33, v33 dst_sel:DWORD dst_unused:UNUSED_PAD src0_sel:WORD_1
	s_nop 1
	v_mfma_f32_16x16x16_f16 v[30:33], v[30:31], v[158:159], v[32:35]
	s_nop 2
	ds_read_u16 v34, v191 offset:4448
	ds_read_u16 v36, v191 offset:4720
	ds_read_u16 v35, v191 offset:4992
	ds_read_u16 v37, v192 offset:4448
	s_nop 0
	v_cvt_f16_f32_e32 v1, v30
	v_cvt_f16_f32_e32 v31, v31
	;; [unrolled: 1-line block ×4, first 2 shown]
	s_waitcnt lgkmcnt(0)
	v_perm_b32 v35, v37, v35, s59
	v_perm_b32 v34, v36, v34, s59
	v_cvt_f32_f16_e32 v30, v1
	v_cvt_f32_f16_e32 v31, v31
	v_cvt_f32_f16_e32 v32, v32
	v_cvt_f32_f16_e32 v33, v33
	s_nop 1
	v_mfma_f32_16x16x16_f16 v[30:33], v[34:35], v[156:157], v[30:33]
	ds_read_u16 v34, v191 offset:8800
	ds_read_u16 v36, v191 offset:9072
	;; [unrolled: 1-line block ×4, first 2 shown]
	s_nop 3
	v_cvt_f16_f32_e32 v1, v30
	v_cvt_f16_f32_e32 v31, v31
	;; [unrolled: 1-line block ×4, first 2 shown]
	s_waitcnt lgkmcnt(0)
	v_perm_b32 v35, v37, v35, s59
	v_perm_b32 v34, v36, v34, s59
	v_cvt_f32_f16_e32 v30, v1
	v_cvt_f32_f16_e32 v31, v31
	;; [unrolled: 1-line block ×4, first 2 shown]
	s_nop 1
	v_mfma_f32_16x16x16_f16 v[30:33], v[34:35], v[154:155], v[30:33]
	ds_read_u16 v34, v191 offset:13152
	ds_read_u16 v36, v191 offset:13424
	;; [unrolled: 1-line block ×4, first 2 shown]
	s_nop 3
	v_cvt_f16_f32_e32 v1, v30
	v_cvt_f16_f32_e32 v31, v31
	;; [unrolled: 1-line block ×4, first 2 shown]
	v_cvt_f32_f16_e32 v30, v1
	ds_read_u16 v1, v191 offset:128
	ds_read_u16 v38, v191 offset:400
	;; [unrolled: 1-line block ×4, first 2 shown]
	s_waitcnt lgkmcnt(4)
	v_perm_b32 v35, v37, v35, s59
	v_perm_b32 v34, v36, v34, s59
	v_cvt_f32_f16_e32 v31, v31
	v_cvt_f32_f16_e32 v32, v32
	;; [unrolled: 1-line block ×3, first 2 shown]
	s_waitcnt lgkmcnt(0)
	v_perm_b32 v39, v40, v39, s59
	v_perm_b32 v38, v38, v1, s59
	v_mfma_f32_16x16x16_f16 v[30:33], v[34:35], v[152:153], v[30:33]
	v_cvt_f32_f16_e32 v34, v86
	v_cvt_f32_f16_sdwa v35, v86 dst_sel:DWORD dst_unused:UNUSED_PAD src0_sel:WORD_1
	v_cvt_f32_f16_e32 v36, v85
	v_cvt_f32_f16_sdwa v37, v85 dst_sel:DWORD dst_unused:UNUSED_PAD src0_sel:WORD_1
	v_cvt_f32_f16_sdwa v85, v45 dst_sel:DWORD dst_unused:UNUSED_PAD src0_sel:WORD_1
	v_cvt_f32_f16_e32 v86, v44
	v_mfma_f32_16x16x16_f16 v[34:37], v[38:39], v[158:159], v[34:37]
	ds_read_u16 v38, v191 offset:4480
	ds_read_u16 v40, v191 offset:4752
	;; [unrolled: 1-line block ×4, first 2 shown]
	s_nop 3
	v_cvt_f16_f32_e32 v1, v34
	v_cvt_f16_f32_e32 v35, v35
	;; [unrolled: 1-line block ×4, first 2 shown]
	s_waitcnt lgkmcnt(0)
	v_perm_b32 v39, v41, v39, s59
	v_perm_b32 v38, v40, v38, s59
	v_cvt_f32_f16_e32 v34, v1
	v_cvt_f32_f16_e32 v35, v35
	v_cvt_f32_f16_e32 v36, v36
	v_cvt_f32_f16_e32 v37, v37
	s_nop 1
	v_mfma_f32_16x16x16_f16 v[34:37], v[38:39], v[156:157], v[34:37]
	ds_read_u16 v38, v191 offset:8832
	ds_read_u16 v40, v191 offset:9104
	;; [unrolled: 1-line block ×4, first 2 shown]
	s_nop 3
	v_cvt_f16_f32_e32 v1, v34
	v_cvt_f16_f32_e32 v35, v35
	;; [unrolled: 1-line block ×4, first 2 shown]
	s_waitcnt lgkmcnt(0)
	v_perm_b32 v39, v41, v39, s59
	v_perm_b32 v38, v40, v38, s59
	v_cvt_f32_f16_e32 v34, v1
	v_cvt_f32_f16_e32 v35, v35
	;; [unrolled: 1-line block ×4, first 2 shown]
	s_nop 1
	v_mfma_f32_16x16x16_f16 v[34:37], v[38:39], v[154:155], v[34:37]
	ds_read_u16 v38, v191 offset:13184
	ds_read_u16 v40, v191 offset:13456
	;; [unrolled: 1-line block ×4, first 2 shown]
	s_nop 3
	v_cvt_f16_f32_e32 v1, v34
	v_cvt_f16_f32_e32 v35, v35
	;; [unrolled: 1-line block ×4, first 2 shown]
	v_cvt_f32_f16_e32 v34, v1
	ds_read_u16 v1, v191 offset:160
	ds_read_u16 v42, v191 offset:432
	;; [unrolled: 1-line block ×4, first 2 shown]
	s_waitcnt lgkmcnt(4)
	v_perm_b32 v39, v41, v39, s59
	v_perm_b32 v38, v40, v38, s59
	v_cvt_f32_f16_e32 v35, v35
	v_cvt_f32_f16_e32 v36, v36
	;; [unrolled: 1-line block ×3, first 2 shown]
	s_waitcnt lgkmcnt(0)
	v_perm_b32 v43, v72, v43, s59
	v_perm_b32 v42, v42, v1, s59
	v_mfma_f32_16x16x16_f16 v[34:37], v[38:39], v[152:153], v[34:37]
	v_cvt_f32_f16_e32 v38, v84
	v_cvt_f32_f16_sdwa v39, v84 dst_sel:DWORD dst_unused:UNUSED_PAD src0_sel:WORD_1
	v_cvt_f32_f16_e32 v40, v83
	v_cvt_f32_f16_sdwa v41, v83 dst_sel:DWORD dst_unused:UNUSED_PAD src0_sel:WORD_1
	v_cvt_f32_f16_e32 v84, v45
	s_nop 2
	v_cvt_pk_f16_f32 v35, v34, v35
	v_mfma_f32_16x16x16_f16 v[38:41], v[42:43], v[158:159], v[38:41]
	ds_read_u16 v42, v191 offset:4512
	ds_read_u16 v72, v191 offset:4784
	;; [unrolled: 1-line block ×4, first 2 shown]
	v_cvt_pk_f16_f32 v34, v36, v37
	v_cvt_pk_f16_f32 v37, v30, v31
	s_nop 1
	v_cvt_f16_f32_e32 v1, v38
	v_cvt_f16_f32_e32 v39, v39
	;; [unrolled: 1-line block ×4, first 2 shown]
	s_waitcnt lgkmcnt(0)
	v_perm_b32 v43, v73, v43, s59
	v_perm_b32 v42, v72, v42, s59
	v_cvt_f32_f16_e32 v38, v1
	v_cvt_f32_f16_e32 v39, v39
	v_cvt_f32_f16_e32 v40, v40
	v_cvt_f32_f16_e32 v41, v41
	v_cvt_pk_f16_f32 v36, v32, v33
	s_nop 0
	v_mfma_f32_16x16x16_f16 v[38:41], v[42:43], v[156:157], v[38:41]
	ds_read_u16 v42, v191 offset:8864
	ds_read_u16 v72, v191 offset:9136
	;; [unrolled: 1-line block ×4, first 2 shown]
	s_nop 3
	v_cvt_f16_f32_e32 v1, v38
	v_cvt_f16_f32_e32 v39, v39
	;; [unrolled: 1-line block ×4, first 2 shown]
	s_waitcnt lgkmcnt(0)
	v_perm_b32 v43, v73, v43, s59
	v_perm_b32 v42, v72, v42, s59
	v_cvt_f32_f16_e32 v38, v1
	v_cvt_f32_f16_e32 v39, v39
	;; [unrolled: 1-line block ×4, first 2 shown]
	s_nop 1
	v_mfma_f32_16x16x16_f16 v[38:41], v[42:43], v[154:155], v[38:41]
	ds_read_u16 v42, v191 offset:13216
	ds_read_u16 v72, v191 offset:13488
	;; [unrolled: 1-line block ×4, first 2 shown]
	s_nop 3
	v_cvt_f16_f32_e32 v1, v38
	v_cvt_f16_f32_e32 v39, v39
	;; [unrolled: 1-line block ×4, first 2 shown]
	s_waitcnt lgkmcnt(0)
	v_perm_b32 v43, v73, v43, s59
	v_perm_b32 v42, v72, v42, s59
	v_cvt_f32_f16_e32 v38, v1
	v_cvt_f32_f16_e32 v39, v39
	;; [unrolled: 1-line block ×4, first 2 shown]
	s_nop 1
	v_mfma_f32_16x16x16_f16 v[38:41], v[42:43], v[152:153], v[38:41]
	ds_read_u16 v1, v191 offset:192
	ds_read_u16 v42, v191 offset:464
	;; [unrolled: 1-line block ×4, first 2 shown]
	s_waitcnt lgkmcnt(2)
	v_perm_b32 v42, v42, v1, s59
	s_waitcnt lgkmcnt(0)
	v_perm_b32 v43, v72, v43, s59
	s_nop 1
	v_mfma_f32_16x16x16_f16 v[42:45], v[42:43], v[158:159], v[84:87]
	ds_read_u16 v72, v191 offset:4544
	ds_read_u16 v83, v191 offset:4816
	;; [unrolled: 1-line block ×4, first 2 shown]
	v_cvt_f32_f16_sdwa v85, v82 dst_sel:DWORD dst_unused:UNUSED_PAD src0_sel:WORD_1
	v_cvt_f32_f16_e32 v86, v81
	s_nop 1
	v_cvt_f16_f32_e32 v1, v42
	v_cvt_f16_f32_e32 v43, v43
	;; [unrolled: 1-line block ×4, first 2 shown]
	s_waitcnt lgkmcnt(0)
	v_perm_b32 v73, v84, v73, s59
	v_perm_b32 v72, v83, v72, s59
	v_cvt_f32_f16_e32 v42, v1
	v_cvt_f32_f16_e32 v43, v43
	;; [unrolled: 1-line block ×4, first 2 shown]
	v_cvt_f32_f16_sdwa v87, v81 dst_sel:DWORD dst_unused:UNUSED_PAD src0_sel:WORD_1
	s_nop 0
	v_mfma_f32_16x16x16_f16 v[42:45], v[72:73], v[156:157], v[42:45]
	ds_read_u16 v72, v191 offset:8896
	ds_read_u16 v83, v191 offset:9168
	;; [unrolled: 1-line block ×4, first 2 shown]
	s_nop 3
	v_cvt_f16_f32_e32 v1, v42
	v_cvt_f16_f32_e32 v43, v43
	v_cvt_f16_f32_e32 v44, v44
	v_cvt_f16_f32_e32 v45, v45
	s_waitcnt lgkmcnt(0)
	v_perm_b32 v73, v84, v73, s59
	v_perm_b32 v72, v83, v72, s59
	v_cvt_f32_f16_e32 v42, v1
	v_cvt_f32_f16_e32 v43, v43
	;; [unrolled: 1-line block ×4, first 2 shown]
	s_nop 1
	v_mfma_f32_16x16x16_f16 v[42:45], v[72:73], v[154:155], v[42:45]
	ds_read_u16 v72, v191 offset:13248
	ds_read_u16 v83, v191 offset:13520
	ds_read_u16 v73, v191 offset:13792
	ds_read_u16 v84, v192 offset:13248
	s_nop 3
	v_cvt_f16_f32_e32 v1, v42
	v_cvt_f16_f32_e32 v43, v43
	;; [unrolled: 1-line block ×4, first 2 shown]
	s_waitcnt lgkmcnt(0)
	v_perm_b32 v73, v84, v73, s59
	v_perm_b32 v72, v83, v72, s59
	v_cvt_f32_f16_e32 v42, v1
	v_cvt_f32_f16_e32 v43, v43
	;; [unrolled: 1-line block ×5, first 2 shown]
	s_nop 0
	v_mfma_f32_16x16x16_f16 v[42:45], v[72:73], v[152:153], v[42:45]
	ds_read_u16 v1, v191 offset:224
	ds_read_u16 v72, v191 offset:496
	;; [unrolled: 1-line block ×4, first 2 shown]
	s_waitcnt lgkmcnt(2)
	v_perm_b32 v72, v72, v1, s59
	s_nop 1
	v_cvt_pk_f16_f32 v43, v42, v43
	s_waitcnt lgkmcnt(0)
	v_perm_b32 v73, v83, v73, s59
	v_cvt_pk_f16_f32 v42, v44, v45
	v_cvt_pk_f16_f32 v44, v38, v39
	v_mfma_f32_16x16x16_f16 v[82:85], v[72:73], v[158:159], v[84:87]
	s_nop 2
	ds_read_u16 v86, v191 offset:4576
	ds_read_u16 v87, v191 offset:4848
	;; [unrolled: 1-line block ×4, first 2 shown]
	v_cvt_pk_f16_f32 v39, v40, v41
	v_cvt_pk_f16_f32 v38, v26, v27
	v_cvt_f16_f32_e32 v72, v83
	v_cvt_f16_f32_e32 v73, v84
	;; [unrolled: 1-line block ×4, first 2 shown]
	v_cvt_f32_f16_e32 v83, v72
	v_cvt_f32_f16_e32 v84, v73
	s_waitcnt lgkmcnt(0)
	v_perm_b32 v73, v89, v88, s59
	v_perm_b32 v72, v87, v86, s59
	v_cvt_f32_f16_e32 v82, v1
	v_cvt_f32_f16_e32 v85, v81
	ds_read_u16 v86, v191 offset:8928
	ds_read_u16 v87, v191 offset:9200
	;; [unrolled: 1-line block ×4, first 2 shown]
	v_mfma_f32_16x16x16_f16 v[82:85], v[72:73], v[156:157], v[82:85]
	v_cvt_pk_f16_f32 v40, v28, v29
	v_cvt_pk_f16_f32 v45, v22, v23
	;; [unrolled: 1-line block ×3, first 2 shown]
	s_nop 4
	v_cvt_f16_f32_e32 v72, v83
	v_cvt_f16_f32_e32 v73, v84
	;; [unrolled: 1-line block ×4, first 2 shown]
	v_cvt_f32_f16_e32 v83, v72
	v_cvt_f32_f16_e32 v84, v73
	s_waitcnt lgkmcnt(0)
	v_perm_b32 v73, v89, v88, s59
	v_perm_b32 v72, v87, v86, s59
	v_cvt_f32_f16_e32 v82, v1
	v_cvt_f32_f16_e32 v85, v81
	s_nop 1
	v_mfma_f32_16x16x16_f16 v[82:85], v[72:73], v[154:155], v[82:85]
	s_nop 7
	v_cvt_f16_f32_e32 v73, v82
	v_cvt_f16_f32_e32 v81, v83
	v_cvt_f16_f32_e32 v82, v84
	v_cvt_f16_f32_e32 v83, v85
	ds_read_u16 v1, v191 offset:13280
	ds_read_u16 v72, v191 offset:13552
	;; [unrolled: 1-line block ×4, first 2 shown]
	v_cvt_f32_f16_e32 v86, v73
	v_cvt_f32_f16_e32 v87, v81
	s_waitcnt lgkmcnt(2)
	v_perm_b32 v72, v72, v1, s59
	v_cvt_f32_f16_e32 v88, v82
	s_waitcnt lgkmcnt(0)
	v_perm_b32 v73, v85, v84, s59
	v_cvt_f32_f16_e32 v89, v83
	s_barrier
	s_nop 0
	v_mfma_f32_16x16x16_f16 v[82:85], v[72:73], v[152:153], v[86:89]
	s_nop 7
	v_cvt_pk_f16_f32 v81, v82, v83
	v_cvt_pk_f16_f32 v87, v84, v85
	;; [unrolled: 1-line block ×4, first 2 shown]
	s_cbranch_scc0 .LBB24_303
; %bb.301:                              ;   in Loop: Header=BB24_298 Depth=2
	v_mov_b32_e32 v73, v97
	v_mov_b32_e32 v84, v79
	v_cndmask_b32_e64 v1, 0, 1, s[72:73]
	v_cmp_ne_u32_e64 s[74:75], 1, v1
	s_andn2_b64 vcc, exec, s[72:73]
	s_cbranch_vccz .LBB24_289
	s_branch .LBB24_298
.LBB24_302:                             ;   in Loop: Header=BB24_13 Depth=1
	v_mov_b32_e32 v79, 0xfeffffff
	s_mov_b32 s64, 0
	v_mov_b32_e32 v97, 0
	v_mov_b32_e32 v82, 0
	;; [unrolled: 1-line block ×17, first 2 shown]
	s_branch .LBB24_304
.LBB24_303:                             ;   in Loop: Header=BB24_13 Depth=1
	s_lshl_b32 s64, s40, 6
	v_add_u32_e32 v88, 12, v172
	v_add_u32_e32 v89, 8, v172
	;; [unrolled: 1-line block ×3, first 2 shown]
	v_mbcnt_lo_u32_b32 v146, -1, 0
	v_mov_b32_e32 v117, v0
.LBB24_304:                             ;   in Loop: Header=BB24_13 Depth=1
	v_readlane_b32 s38, v254, 4
	v_cmp_eq_u64_e32 vcc, 0, v[98:99]
	s_sub_i32 s40, s38, s64
	v_cmp_ne_u64_e64 s[80:81], 0, v[98:99]
	v_readlane_b32 s39, v254, 5
	s_cbranch_vccnz .LBB24_322
; %bb.305:                              ;   in Loop: Header=BB24_13 Depth=1
	v_cmp_le_i32_e32 vcc, s40, v46
	s_and_saveexec_b64 s[38:39], vcc
	s_xor_b64 s[38:39], exec, s[38:39]
	s_cbranch_execz .LBB24_307
; %bb.306:                              ;   in Loop: Header=BB24_13 Depth=1
	ds_write_b16 v177, v49 offset:17408
	ds_write_b16 v243, v49 offset:17408
.LBB24_307:                             ;   in Loop: Header=BB24_13 Depth=1
	s_or_saveexec_b64 s[38:39], s[38:39]
	s_lshl_b64 s[42:43], s[64:65], 1
	v_lshl_add_u64 v[18:19], v[98:99], 0, s[42:43]
	v_lshlrev_b32_e32 v48, 1, v46
	v_lshl_add_u64 v[18:19], v[18:19], 0, v[48:49]
	v_mov_b32_e32 v1, 0
	v_mov_b32_e32 v20, 0
	s_xor_b64 exec, exec, s[38:39]
	s_cbranch_execz .LBB24_309
; %bb.308:                              ;   in Loop: Header=BB24_13 Depth=1
	v_mul_hi_u32 v1, s56, v216
	v_add_u32_e32 v1, v216, v1
	v_lshrrev_b32_e32 v1, s57, v1
	v_mul_lo_u32 v1, v1, s68
	v_sub_u32_e32 v1, v216, v1
	v_mad_i64_i32 v[20:21], s[42:43], v1, s96, 0
	v_lshl_add_u64 v[20:21], v[20:21], 1, v[18:19]
	global_load_ushort v1, v[20:21], off
	v_mul_hi_u32 v20, s56, v78
	v_add_u32_e32 v20, v78, v20
	v_lshrrev_b32_e32 v20, s57, v20
	v_mul_lo_u32 v20, v20, s68
	v_sub_u32_e32 v20, v78, v20
	v_mad_i64_i32 v[20:21], s[42:43], v20, s96, 0
	v_lshl_add_u64 v[20:21], v[20:21], 1, v[18:19]
	global_load_ushort v20, v[20:21], off
	s_waitcnt vmcnt(1)
	ds_write_b16 v177, v1 offset:17408
	s_waitcnt vmcnt(0)
	ds_write_b16 v243, v20 offset:17408
	v_mul_hi_u32 v1, s56, v77
	v_add_u32_e32 v1, v77, v1
	v_lshrrev_b32_e32 v1, s57, v1
	v_mul_lo_u32 v1, v1, s68
	v_sub_u32_e32 v1, v77, v1
	v_mad_i64_i32 v[20:21], s[42:43], v1, s96, 0
	v_lshl_add_u64 v[20:21], v[20:21], 1, v[18:19]
	global_load_ushort v1, v[20:21], off
	v_mul_hi_u32 v20, s56, v76
	v_add_u32_e32 v20, v76, v20
	v_lshrrev_b32_e32 v20, s57, v20
	v_mul_lo_u32 v20, v20, s68
	v_sub_u32_e32 v20, v76, v20
	v_mad_i64_i32 v[20:21], s[42:43], v20, s96, 0
	v_lshl_add_u64 v[20:21], v[20:21], 1, v[18:19]
	global_load_ushort v20, v[20:21], off
.LBB24_309:                             ;   in Loop: Header=BB24_13 Depth=1
	s_or_b64 exec, exec, s[38:39]
	s_waitcnt vmcnt(1)
	ds_write_b16 v244, v1 offset:17408
	s_waitcnt vmcnt(0)
	ds_write_b16 v245, v20 offset:17408
	s_and_saveexec_b64 s[38:39], vcc
	s_xor_b64 s[38:39], exec, s[38:39]
	s_cbranch_execz .LBB24_311
; %bb.310:                              ;   in Loop: Header=BB24_13 Depth=1
	ds_write_b16 v246, v49 offset:17408
	ds_write_b16 v247, v49 offset:17408
.LBB24_311:                             ;   in Loop: Header=BB24_13 Depth=1
	s_or_saveexec_b64 s[38:39], s[38:39]
	v_mov_b32_e32 v1, 0
	v_mov_b32_e32 v20, 0
	s_xor_b64 exec, exec, s[38:39]
	s_cbranch_execz .LBB24_313
; %bb.312:                              ;   in Loop: Header=BB24_13 Depth=1
	v_mul_hi_u32 v1, s56, v75
	v_add_u32_e32 v1, v75, v1
	v_lshrrev_b32_e32 v1, s57, v1
	v_mul_lo_u32 v1, v1, s68
	v_sub_u32_e32 v1, v75, v1
	v_mad_i64_i32 v[20:21], s[42:43], v1, s96, 0
	v_lshl_add_u64 v[20:21], v[20:21], 1, v[18:19]
	global_load_ushort v1, v[20:21], off
	v_mul_hi_u32 v20, s56, v74
	v_add_u32_e32 v20, v74, v20
	v_lshrrev_b32_e32 v20, s57, v20
	v_mul_lo_u32 v20, v20, s68
	v_sub_u32_e32 v20, v74, v20
	v_mad_i64_i32 v[20:21], s[42:43], v20, s96, 0
	v_lshl_add_u64 v[20:21], v[20:21], 1, v[18:19]
	global_load_ushort v20, v[20:21], off
	s_waitcnt vmcnt(1)
	ds_write_b16 v246, v1 offset:17408
	s_waitcnt vmcnt(0)
	ds_write_b16 v247, v20 offset:17408
	v_mul_hi_u32 v1, s56, v241
	v_add_u32_e32 v1, v241, v1
	v_lshrrev_b32_e32 v1, s57, v1
	v_mul_lo_u32 v1, v1, s68
	v_sub_u32_e32 v1, v241, v1
	v_mad_i64_i32 v[20:21], s[42:43], v1, s96, 0
	v_lshl_add_u64 v[20:21], v[20:21], 1, v[18:19]
	global_load_ushort v1, v[20:21], off
	v_mul_hi_u32 v20, s56, v210
	v_add_u32_e32 v20, v210, v20
	v_lshrrev_b32_e32 v20, s57, v20
	v_mul_lo_u32 v20, v20, s68
	v_sub_u32_e32 v20, v210, v20
	v_mad_i64_i32 v[20:21], s[42:43], v20, s96, 0
	v_lshl_add_u64 v[20:21], v[20:21], 1, v[18:19]
	global_load_ushort v20, v[20:21], off
.LBB24_313:                             ;   in Loop: Header=BB24_13 Depth=1
	s_or_b64 exec, exec, s[38:39]
	s_waitcnt vmcnt(1)
	ds_write_b16 v248, v1 offset:17408
	s_waitcnt vmcnt(0)
	ds_write_b16 v249, v20 offset:17408
	s_and_saveexec_b64 s[38:39], vcc
	s_xor_b64 s[38:39], exec, s[38:39]
	s_cbranch_execz .LBB24_315
; %bb.314:                              ;   in Loop: Header=BB24_13 Depth=1
	ds_write_b16 v250, v49 offset:17408
	ds_write_b16 v251, v49 offset:17408
.LBB24_315:                             ;   in Loop: Header=BB24_13 Depth=1
	s_or_saveexec_b64 s[38:39], s[38:39]
	v_mov_b32_e32 v1, 0
	v_mov_b32_e32 v20, 0
	s_xor_b64 exec, exec, s[38:39]
	s_cbranch_execz .LBB24_317
; %bb.316:                              ;   in Loop: Header=BB24_13 Depth=1
	v_mul_hi_u32 v1, s56, v212
	v_add_u32_e32 v1, v212, v1
	v_lshrrev_b32_e32 v1, s57, v1
	v_mul_lo_u32 v1, v1, s68
	v_sub_u32_e32 v1, v212, v1
	v_mad_i64_i32 v[20:21], s[42:43], v1, s96, 0
	v_lshl_add_u64 v[20:21], v[20:21], 1, v[18:19]
	global_load_ushort v1, v[20:21], off
	v_mul_hi_u32 v20, s56, v47
	v_add_u32_e32 v20, v47, v20
	v_lshrrev_b32_e32 v20, s57, v20
	v_mul_lo_u32 v20, v20, s68
	v_sub_u32_e32 v20, v47, v20
	v_mad_i64_i32 v[20:21], s[42:43], v20, s96, 0
	v_lshl_add_u64 v[20:21], v[20:21], 1, v[18:19]
	global_load_ushort v20, v[20:21], off
	s_waitcnt vmcnt(1)
	ds_write_b16 v250, v1 offset:17408
	s_waitcnt vmcnt(0)
	ds_write_b16 v251, v20 offset:17408
	v_mul_hi_u32 v1, s56, v214
	v_add_u32_e32 v1, v214, v1
	v_lshrrev_b32_e32 v1, s57, v1
	v_mul_lo_u32 v1, v1, s68
	v_sub_u32_e32 v1, v214, v1
	v_mad_i64_i32 v[20:21], s[42:43], v1, s96, 0
	v_lshl_add_u64 v[20:21], v[20:21], 1, v[18:19]
	global_load_ushort v1, v[20:21], off
	v_mul_hi_u32 v20, s56, v211
	v_add_u32_e32 v20, v211, v20
	v_lshrrev_b32_e32 v20, s57, v20
	v_mul_lo_u32 v20, v20, s68
	v_sub_u32_e32 v20, v211, v20
	v_mad_i64_i32 v[20:21], s[42:43], v20, s96, 0
	v_lshl_add_u64 v[20:21], v[20:21], 1, v[18:19]
	global_load_ushort v20, v[20:21], off
.LBB24_317:                             ;   in Loop: Header=BB24_13 Depth=1
	s_or_b64 exec, exec, s[38:39]
	s_waitcnt vmcnt(1)
	ds_write_b16 v252, v1 offset:17408
	s_waitcnt vmcnt(0)
	ds_write_b16 v253, v20 offset:17408
	s_and_saveexec_b64 s[38:39], vcc
	s_xor_b64 s[38:39], exec, s[38:39]
	s_cbranch_execz .LBB24_319
; %bb.318:                              ;   in Loop: Header=BB24_13 Depth=1
	ds_write_b16 v236, v49 offset:17408
	ds_write_b16 v234, v49 offset:17408
                                        ; implicit-def: $vgpr18_vgpr19
.LBB24_319:                             ;   in Loop: Header=BB24_13 Depth=1
	s_or_saveexec_b64 s[38:39], s[38:39]
	v_mov_b32_e32 v1, 0
	v_mov_b32_e32 v20, 0
	s_xor_b64 exec, exec, s[38:39]
	s_cbranch_execz .LBB24_321
; %bb.320:                              ;   in Loop: Header=BB24_13 Depth=1
	v_mul_hi_u32 v1, s56, v205
	v_add_u32_e32 v1, v205, v1
	v_lshrrev_b32_e32 v1, s57, v1
	v_mul_lo_u32 v1, v1, s68
	v_sub_u32_e32 v1, v205, v1
	v_mad_i64_i32 v[20:21], s[42:43], v1, s96, 0
	v_lshl_add_u64 v[20:21], v[20:21], 1, v[18:19]
	global_load_ushort v1, v[20:21], off
	v_mul_hi_u32 v20, s56, v206
	v_add_u32_e32 v20, v206, v20
	v_lshrrev_b32_e32 v20, s57, v20
	v_mul_lo_u32 v20, v20, s68
	v_sub_u32_e32 v20, v206, v20
	v_mad_i64_i32 v[20:21], s[42:43], v20, s96, 0
	v_lshl_add_u64 v[20:21], v[20:21], 1, v[18:19]
	global_load_ushort v20, v[20:21], off
	s_waitcnt vmcnt(1)
	ds_write_b16 v236, v1 offset:17408
	s_waitcnt vmcnt(0)
	ds_write_b16 v234, v20 offset:17408
	v_mul_hi_u32 v1, s56, v207
	v_add_u32_e32 v1, v207, v1
	v_lshrrev_b32_e32 v1, s57, v1
	v_mul_lo_u32 v1, v1, s68
	v_sub_u32_e32 v1, v207, v1
	v_mad_i64_i32 v[20:21], s[42:43], v1, s96, 0
	v_lshl_add_u64 v[20:21], v[20:21], 1, v[18:19]
	global_load_ushort v1, v[20:21], off
	v_mul_hi_u32 v20, s56, v213
	v_add_u32_e32 v20, v213, v20
	v_lshrrev_b32_e32 v20, s57, v20
	v_mul_lo_u32 v20, v20, s68
	v_sub_u32_e32 v20, v213, v20
	v_mad_i64_i32 v[20:21], s[42:43], v20, s96, 0
	v_lshl_add_u64 v[18:19], v[20:21], 1, v[18:19]
	global_load_ushort v20, v[18:19], off
.LBB24_321:                             ;   in Loop: Header=BB24_13 Depth=1
	s_or_b64 exec, exec, s[38:39]
	s_waitcnt vmcnt(1)
	ds_write_b16 v237, v1 offset:17408
	s_waitcnt vmcnt(0)
	ds_write_b16 v232, v20 offset:17408
.LBB24_322:                             ;   in Loop: Header=BB24_13 Depth=1
	s_mul_i32 s38, s64, s53
	s_mul_hi_u32 s39, s64, s52
	s_add_i32 s39, s39, s38
	s_mul_i32 s38, s64, s52
	s_lshl_b64 s[38:39], s[38:39], 2
	v_lshl_add_u64 v[18:19], v[100:101], 0, s[38:39]
	v_lshl_add_u64 v[20:21], v[54:55], 2, v[18:19]
	v_lshlrev_b32_e32 v48, 2, v52
	v_cmp_gt_i32_e64 s[72:73], s40, v178
	v_lshl_add_u64 v[20:21], v[20:21], 0, v[48:49]
	v_mov_b32_e32 v1, s55
	v_lshl_add_u64 v[22:23], v[56:57], 2, v[18:19]
	v_lshl_add_u64 v[24:25], v[58:59], 2, v[18:19]
	;; [unrolled: 1-line block ×3, first 2 shown]
	v_cndmask_b32_e64 v21, v1, v21, s[72:73]
	v_cndmask_b32_e64 v20, v176, v20, s[72:73]
	v_cmp_gt_i32_e64 s[78:79], s40, v240
	v_lshl_add_u64 v[18:19], v[18:19], 0, v[48:49]
	scratch_store_dwordx4 off, v[222:225], off
	v_cndmask_b32_e64 v27, v1, v19, s[78:79]
	v_cndmask_b32_e64 v26, v176, v18, s[78:79]
	flat_load_dwordx4 v[18:21], v[20:21]
	v_cmp_gt_i32_e64 s[74:75], s40, v235
	v_lshl_add_u64 v[22:23], v[22:23], 0, v[48:49]
	v_cmp_gt_i32_e64 s[76:77], s40, v229
	v_cndmask_b32_e64 v23, v1, v23, s[74:75]
	v_cndmask_b32_e64 v22, v176, v22, s[74:75]
	v_lshl_add_u64 v[24:25], v[24:25], 0, v[48:49]
	v_cndmask_b32_e64 v25, v1, v25, s[76:77]
	v_cndmask_b32_e64 v24, v176, v24, s[76:77]
	v_add_u32_e32 v1, 0x1000, v180
	s_mov_b32 s58, s98
	s_andn2_b64 vcc, exec, s[80:81]
	s_waitcnt vmcnt(0) lgkmcnt(0)
	ds_write_b128 v179, v[18:21]
	flat_load_dwordx4 v[18:21], v[22:23]
	s_waitcnt vmcnt(0) lgkmcnt(0)
	ds_write_b128 v233, v[18:21]
	flat_load_dwordx4 v[18:21], v[24:25]
	;; [unrolled: 3-line block ×3, first 2 shown]
	s_waitcnt vmcnt(0) lgkmcnt(0)
	ds_write_b128 v227, v[18:21]
	s_waitcnt lgkmcnt(0)
	s_barrier
	ds_read2_b64 v[18:21], v180 offset1:4
	s_waitcnt lgkmcnt(0)
	v_mfma_f32_16x16x16_f16 v[22:25], v[18:19], v[14:15], 0
	v_mfma_f32_16x16x16_f16 v[18:21], v[20:21], v[16:17], v[22:25]
	s_nop 6
	ds_read2_b64 v[22:25], v180 offset0:8 offset1:12
	s_waitcnt lgkmcnt(0)
	v_mfma_f32_16x16x16_f16 v[18:21], v[22:23], v[10:11], v[18:21]
	v_mfma_f32_16x16x16_f16 v[18:21], v[24:25], v[12:13], v[18:21]
	ds_read2_b64 v[22:25], v180 offset0:16 offset1:20
	s_waitcnt lgkmcnt(0)
	v_mfma_f32_16x16x16_f16 v[18:21], v[22:23], v[6:7], v[18:21]
	v_mfma_f32_16x16x16_f16 v[18:21], v[24:25], v[8:9], v[18:21]
	;; [unrolled: 4-line block ×3, first 2 shown]
	s_nop 6
	ds_read2_b64 v[18:21], v1 offset0:32 offset1:36
	s_waitcnt lgkmcnt(0)
	v_mfma_f32_16x16x16_f16 v[22:25], v[18:19], v[14:15], 0
	v_mfma_f32_16x16x16_f16 v[18:21], v[20:21], v[16:17], v[22:25]
	s_nop 6
	ds_read2_b64 v[22:25], v1 offset0:40 offset1:44
	s_waitcnt lgkmcnt(0)
	v_mfma_f32_16x16x16_f16 v[18:21], v[22:23], v[10:11], v[18:21]
	v_mfma_f32_16x16x16_f16 v[18:21], v[24:25], v[12:13], v[18:21]
	ds_read2_b64 v[22:25], v1 offset0:48 offset1:52
	s_waitcnt lgkmcnt(0)
	v_mfma_f32_16x16x16_f16 v[18:21], v[22:23], v[6:7], v[18:21]
	v_mfma_f32_16x16x16_f16 v[18:21], v[24:25], v[8:9], v[18:21]
	ds_read2_b64 v[22:25], v1 offset0:56 offset1:60
	v_add_u32_e32 v1, 0x2000, v180
	s_waitcnt lgkmcnt(0)
	v_mfma_f32_16x16x16_f16 v[18:21], v[22:23], v[2:3], v[18:21]
	v_mfma_f32_16x16x16_f16 v[22:25], v[24:25], v[4:5], v[18:21]
	s_nop 6
	ds_read2_b64 v[18:21], v1 offset0:64 offset1:68
	s_waitcnt lgkmcnt(0)
	v_mfma_f32_16x16x16_f16 v[30:33], v[18:19], v[14:15], 0
	v_mfma_f32_16x16x16_f16 v[18:21], v[20:21], v[16:17], v[30:33]
	s_nop 6
	ds_read2_b64 v[30:33], v1 offset0:72 offset1:76
	s_waitcnt lgkmcnt(0)
	v_mfma_f32_16x16x16_f16 v[18:21], v[30:31], v[10:11], v[18:21]
	v_mfma_f32_16x16x16_f16 v[18:21], v[32:33], v[12:13], v[18:21]
	ds_read2_b64 v[30:33], v1 offset0:80 offset1:84
	s_waitcnt lgkmcnt(0)
	v_mfma_f32_16x16x16_f16 v[18:21], v[30:31], v[6:7], v[18:21]
	v_mfma_f32_16x16x16_f16 v[18:21], v[32:33], v[8:9], v[18:21]
	ds_read2_b64 v[30:33], v1 offset0:88 offset1:92
	v_add_u32_e32 v1, 0x3000, v180
	s_waitcnt lgkmcnt(0)
	v_mfma_f32_16x16x16_f16 v[18:21], v[30:31], v[2:3], v[18:21]
	v_mfma_f32_16x16x16_f16 v[18:21], v[32:33], v[4:5], v[18:21]
	ds_read2_b64 v[30:33], v1 offset0:96 offset1:100
	s_waitcnt lgkmcnt(0)
	v_mfma_f32_16x16x16_f16 v[98:101], v[30:31], v[14:15], 0
	v_mfma_f32_16x16x16_f16 v[14:17], v[32:33], v[16:17], v[98:101]
	ds_read2_b64 v[30:33], v1 offset0:104 offset1:108
	s_waitcnt lgkmcnt(0)
	v_mfma_f32_16x16x16_f16 v[14:17], v[30:31], v[10:11], v[14:17]
	v_mfma_f32_16x16x16_f16 v[10:13], v[32:33], v[12:13], v[14:17]
	s_nop 6
	ds_read2_b64 v[14:17], v1 offset0:112 offset1:116
	s_waitcnt lgkmcnt(0)
	v_mfma_f32_16x16x16_f16 v[10:13], v[14:15], v[6:7], v[10:13]
	v_mfma_f32_16x16x16_f16 v[6:9], v[16:17], v[8:9], v[10:13]
	s_nop 6
	ds_read2_b64 v[10:13], v1 offset0:120 offset1:124
	s_waitcnt lgkmcnt(0)
	v_mfma_f32_16x16x16_f16 v[6:9], v[10:11], v[2:3], v[6:9]
	s_barrier
	v_mfma_f32_16x16x16_f16 v[14:17], v[12:13], v[4:5], v[6:9]
	s_cbranch_vccnz .LBB24_324
; %bb.323:                              ;   in Loop: Header=BB24_13 Depth=1
	ds_read_b32 v1, v182 offset:17408
	s_waitcnt lgkmcnt(0)
	v_cvt_f32_f16_sdwa v3, v1 dst_sel:DWORD dst_unused:UNUSED_PAD src0_sel:WORD_1
	v_cvt_f32_f16_e32 v2, v1
	ds_read_b32 v1, v183 offset:17408
	v_pk_fma_f32 v[26:27], v[96:97], v[2:3], v[26:27] op_sel_hi:[0,1,1]
	s_waitcnt lgkmcnt(0)
	v_cvt_f32_f16_sdwa v5, v1 dst_sel:DWORD dst_unused:UNUSED_PAD src0_sel:WORD_1
	v_cvt_f32_f16_e32 v4, v1
	v_add_u32_e32 v1, 0x4400, v185
	ds_read2_b32 v[2:3], v1 offset1:1
	v_add_u32_e32 v1, 0x4400, v187
	v_pk_fma_f32 v[28:29], v[96:97], v[4:5], v[28:29] op_sel_hi:[0,1,1]
	s_waitcnt lgkmcnt(0)
	v_cvt_f32_f16_e32 v4, v2
	v_cvt_f32_f16_sdwa v5, v2 dst_sel:DWORD dst_unused:UNUSED_PAD src0_sel:WORD_1
	v_cvt_f32_f16_e32 v2, v3
	v_cvt_f32_f16_sdwa v3, v3 dst_sel:DWORD dst_unused:UNUSED_PAD src0_sel:WORD_1
	v_pk_fma_f32 v[22:23], v[96:97], v[4:5], v[22:23] op_sel_hi:[0,1,1]
	v_pk_fma_f32 v[24:25], v[96:97], v[2:3], v[24:25] op_sel_hi:[0,1,1]
	ds_read2_b32 v[2:3], v1 offset1:1
	v_add_u32_e32 v1, 0x4400, v189
	s_waitcnt lgkmcnt(0)
	v_cvt_f32_f16_e32 v4, v2
	v_cvt_f32_f16_sdwa v5, v2 dst_sel:DWORD dst_unused:UNUSED_PAD src0_sel:WORD_1
	v_cvt_f32_f16_e32 v2, v3
	v_cvt_f32_f16_sdwa v3, v3 dst_sel:DWORD dst_unused:UNUSED_PAD src0_sel:WORD_1
	v_pk_fma_f32 v[18:19], v[96:97], v[4:5], v[18:19] op_sel_hi:[0,1,1]
	v_pk_fma_f32 v[20:21], v[96:97], v[2:3], v[20:21] op_sel_hi:[0,1,1]
	ds_read2_b32 v[2:3], v1 offset1:1
	s_waitcnt lgkmcnt(0)
	v_cvt_f32_f16_e32 v4, v2
	v_cvt_f32_f16_sdwa v5, v2 dst_sel:DWORD dst_unused:UNUSED_PAD src0_sel:WORD_1
	v_cvt_f32_f16_e32 v2, v3
	v_cvt_f32_f16_sdwa v3, v3 dst_sel:DWORD dst_unused:UNUSED_PAD src0_sel:WORD_1
	v_pk_fma_f32 v[14:15], v[96:97], v[4:5], v[14:15] op_sel_hi:[0,1,1]
	v_pk_fma_f32 v[16:17], v[96:97], v[2:3], v[16:17] op_sel_hi:[0,1,1]
.LBB24_324:                             ;   in Loop: Header=BB24_13 Depth=1
	v_add_f32_e32 v1, 0x40051340, v26
	v_max_f32_e32 v2, v79, v79
	v_cmp_gt_u32_e64 s[46:47], s40, v181
	v_max_f32_e32 v1, v2, v1
	v_add_f32_e32 v2, 0x40051340, v27
	v_cndmask_b32_e64 v1, v79, v1, s[46:47]
	v_max_f32_e32 v3, v1, v1
	v_cmp_gt_u32_e64 s[50:51], s40, v226
	v_max_f32_e32 v2, v3, v2
	v_cmp_gt_u32_e64 s[44:45], s40, v174
	v_cndmask_b32_e64 v1, v1, v2, s[50:51]
	v_add_f32_e32 v2, 0x40051340, v28
	v_max_f32_e32 v3, v1, v1
	v_max_f32_e32 v2, v3, v2
	v_cndmask_b32_e64 v1, v1, v2, s[44:45]
	v_add_f32_e32 v2, 0x40051340, v29
	v_max_f32_e32 v3, v1, v1
	v_cmp_gt_u32_e64 s[42:43], s40, v190
	v_max_f32_e32 v2, v3, v2
	v_cmp_gt_u32_e64 s[38:39], s40, v184
	v_cndmask_b32_e64 v1, v1, v2, s[42:43]
	v_add_f32_e32 v2, 0x40051340, v22
	v_max_f32_e32 v3, v1, v1
	v_max_f32_e32 v2, v3, v2
	v_cndmask_b32_e64 v1, v1, v2, s[38:39]
	v_add_f32_e32 v2, 0x40051340, v23
	;; [unrolled: 10-line block ×7, first 2 shown]
	v_max_f32_e32 v3, v1, v1
	v_cmp_gt_u32_e64 s[40:41], s40, v221
	v_max_f32_e32 v2, v3, v2
	v_xor_b32_e32 v3, 32, v238
	v_cndmask_b32_e64 v1, v1, v2, s[40:41]
	v_and_b32_e32 v2, 64, v238
	v_add_u32_e32 v2, 64, v2
	v_cmp_lt_i32_e32 vcc, v3, v2
	scratch_store_dwordx4 off, v[222:225], off
	s_nop 0
	v_cndmask_b32_e32 v3, v238, v3, vcc
	v_lshlrev_b32_e32 v32, 2, v3
	ds_bpermute_b32 v3, v32, v1
	v_max_f32_e32 v1, v1, v1
	s_waitcnt lgkmcnt(0)
	v_max_f32_e32 v3, v3, v3
	v_max_f32_e32 v1, v1, v3
	v_xor_b32_e32 v3, 16, v238
	v_cmp_lt_i32_e32 vcc, v3, v2
	s_nop 1
	v_cndmask_b32_e32 v2, v238, v3, vcc
	v_lshlrev_b32_e32 v31, 2, v2
	ds_bpermute_b32 v2, v31, v1
	s_waitcnt lgkmcnt(0)
	v_max_f32_e32 v2, v2, v2
	v_max_f32_e32 v30, v1, v2
	v_sub_f32_e32 v1, v26, v30
	v_mul_f32_e32 v2, 0x3fb8aa3b, v1
	v_fma_f32 v3, v1, s54, -v2
	v_rndne_f32_e32 v4, v2
	v_fmac_f32_e32 v3, 0x32a5705f, v1
	v_sub_f32_e32 v2, v2, v4
	v_add_f32_e32 v2, v2, v3
	v_exp_f32_e32 v2, v2
	v_cvt_i32_f32_e32 v3, v4
	v_cmp_ngt_f32_e32 vcc, s33, v1
	v_ldexp_f32 v2, v2, v3
	s_nop 0
	v_cndmask_b32_e32 v2, 0, v2, vcc
	v_cmp_nlt_f32_e32 vcc, s69, v1
	s_nop 1
	v_cndmask_b32_e32 v1, v215, v2, vcc
	v_cndmask_b32_e64 v2, 0, v1, s[46:47]
	v_sub_f32_e32 v1, v27, v30
	v_mul_f32_e32 v3, 0x3fb8aa3b, v1
	v_fma_f32 v4, v1, s54, -v3
	v_rndne_f32_e32 v5, v3
	v_fmac_f32_e32 v4, 0x32a5705f, v1
	v_sub_f32_e32 v3, v3, v5
	v_add_f32_e32 v3, v3, v4
	v_exp_f32_e32 v3, v3
	v_cvt_i32_f32_e32 v4, v5
	v_cmp_ngt_f32_e32 vcc, s33, v1
	v_ldexp_f32 v3, v3, v4
	s_nop 0
	v_cndmask_b32_e32 v3, 0, v3, vcc
	v_cmp_nlt_f32_e32 vcc, s69, v1
	v_mov_b32_e32 v1, s65
	s_nop 0
	v_cndmask_b32_e32 v3, v215, v3, vcc
	v_add_f32_e32 v4, v3, v2
	v_cndmask_b32_e64 v1, v1, v3, s[50:51]
	v_cndmask_b32_e64 v3, v2, v4, s[50:51]
	v_sub_f32_e32 v4, v28, v30
	v_mul_f32_e32 v5, 0x3fb8aa3b, v4
	v_fma_f32 v6, v4, s54, -v5
	v_rndne_f32_e32 v7, v5
	v_fmac_f32_e32 v6, 0x32a5705f, v4
	v_sub_f32_e32 v5, v5, v7
	v_add_f32_e32 v5, v5, v6
	v_exp_f32_e32 v5, v5
	v_cvt_i32_f32_e32 v6, v7
	v_cmp_ngt_f32_e32 vcc, s33, v4
	v_ldexp_f32 v5, v5, v6
	s_nop 0
	v_cndmask_b32_e32 v5, 0, v5, vcc
	v_cmp_nlt_f32_e32 vcc, s69, v4
	v_mov_b32_e32 v4, s65
	s_nop 0
	v_cndmask_b32_e32 v5, v215, v5, vcc
	v_add_f32_e32 v6, v3, v5
	v_cndmask_b32_e64 v4, v4, v5, s[44:45]
	v_cndmask_b32_e64 v5, v3, v6, s[44:45]
	v_sub_f32_e32 v3, v29, v30
	v_mul_f32_e32 v6, 0x3fb8aa3b, v3
	v_fma_f32 v7, v3, s54, -v6
	v_rndne_f32_e32 v8, v6
	v_fmac_f32_e32 v7, 0x32a5705f, v3
	v_sub_f32_e32 v6, v6, v8
	v_add_f32_e32 v6, v6, v7
	v_exp_f32_e32 v6, v6
	v_cvt_i32_f32_e32 v7, v8
	v_cmp_ngt_f32_e32 vcc, s33, v3
	v_ldexp_f32 v6, v6, v7
	s_nop 0
	v_cndmask_b32_e32 v6, 0, v6, vcc
	v_cmp_nlt_f32_e32 vcc, s69, v3
	v_mov_b32_e32 v3, s65
	s_nop 0
	v_cndmask_b32_e32 v6, v215, v6, vcc
	v_add_f32_e32 v7, v5, v6
	v_cndmask_b32_e64 v80, v3, v6, s[42:43]
	v_cndmask_b32_e64 v3, v5, v7, s[42:43]
	v_sub_f32_e32 v5, v22, v30
	v_mul_f32_e32 v6, 0x3fb8aa3b, v5
	v_fma_f32 v7, v5, s54, -v6
	v_rndne_f32_e32 v8, v6
	v_fmac_f32_e32 v7, 0x32a5705f, v5
	v_sub_f32_e32 v6, v6, v8
	v_add_f32_e32 v6, v6, v7
	v_exp_f32_e32 v6, v6
	v_cvt_i32_f32_e32 v7, v8
	v_cmp_ngt_f32_e32 vcc, s33, v5
	v_ldexp_f32 v6, v6, v7
	s_nop 0
	v_cndmask_b32_e32 v6, 0, v6, vcc
	v_cmp_nlt_f32_e32 vcc, s69, v5
	s_nop 1
	v_cndmask_b32_e32 v5, v215, v6, vcc
	v_add_f32_e32 v7, v5, v3
	v_mov_b32_e32 v6, s65
	v_cndmask_b32_e64 v6, v6, v5, s[38:39]
	v_cndmask_b32_e64 v5, v3, v7, s[38:39]
	v_sub_f32_e32 v3, v23, v30
	v_mul_f32_e32 v7, 0x3fb8aa3b, v3
	v_fma_f32 v8, v3, s54, -v7
	v_rndne_f32_e32 v9, v7
	v_fmac_f32_e32 v8, 0x32a5705f, v3
	v_sub_f32_e32 v7, v7, v9
	v_add_f32_e32 v7, v7, v8
	v_exp_f32_e32 v7, v7
	v_cvt_i32_f32_e32 v8, v9
	v_cmp_ngt_f32_e32 vcc, s33, v3
	s_mul_i32 s38, s64, s71
	s_mul_hi_u32 s39, s64, s70
	v_ldexp_f32 v7, v7, v8
	v_cndmask_b32_e32 v7, 0, v7, vcc
	v_cmp_nlt_f32_e32 vcc, s69, v3
	v_mov_b32_e32 v3, s65
	s_add_i32 s39, s39, s38
	v_cndmask_b32_e32 v7, v215, v7, vcc
	v_add_f32_e32 v8, v7, v5
	v_cndmask_b32_e64 v3, v3, v7, s[98:99]
	v_sub_f32_e32 v7, v24, v30
	v_cndmask_b32_e64 v5, v5, v8, s[98:99]
	v_mul_f32_e32 v8, 0x3fb8aa3b, v7
	v_fma_f32 v9, v7, s54, -v8
	v_rndne_f32_e32 v10, v8
	v_fmac_f32_e32 v9, 0x32a5705f, v7
	v_sub_f32_e32 v8, v8, v10
	v_add_f32_e32 v8, v8, v9
	v_exp_f32_e32 v8, v8
	v_cvt_i32_f32_e32 v9, v10
	v_cmp_ngt_f32_e32 vcc, s33, v7
	s_mov_b32 s99, 0xc1a00000
	s_mul_i32 s38, s64, s70
	v_ldexp_f32 v8, v8, v9
	v_cndmask_b32_e32 v8, 0, v8, vcc
	v_cmp_nlt_f32_e32 vcc, s69, v7
	s_lshl_b64 s[38:39], s[38:39], 2
	s_nop 0
	v_cndmask_b32_e32 v7, v215, v8, vcc
	v_add_f32_e32 v9, v7, v5
	v_mov_b32_e32 v8, s65
	v_cndmask_b32_e64 v8, v8, v7, s[96:97]
	v_cndmask_b32_e64 v7, v5, v9, s[96:97]
	v_sub_f32_e32 v5, v25, v30
	v_mul_f32_e32 v9, 0x3fb8aa3b, v5
	v_fma_f32 v10, v5, s54, -v9
	v_rndne_f32_e32 v11, v9
	v_fmac_f32_e32 v10, 0x32a5705f, v5
	v_sub_f32_e32 v9, v9, v11
	v_add_f32_e32 v9, v9, v10
	v_exp_f32_e32 v9, v9
	v_cvt_i32_f32_e32 v10, v11
	v_cmp_ngt_f32_e32 vcc, s33, v5
	v_ldexp_f32 v9, v9, v10
	s_nop 0
	v_cndmask_b32_e32 v9, 0, v9, vcc
	v_cmp_nlt_f32_e32 vcc, s69, v5
	v_mov_b32_e32 v5, s65
	s_nop 0
	v_cndmask_b32_e32 v9, v215, v9, vcc
	v_add_f32_e32 v10, v9, v7
	v_cndmask_b32_e64 v84, v5, v9, s[94:95]
	v_cndmask_b32_e64 v5, v7, v10, s[94:95]
	v_sub_f32_e32 v7, v18, v30
	v_mul_f32_e32 v9, 0x3fb8aa3b, v7
	v_fma_f32 v10, v7, s54, -v9
	v_rndne_f32_e32 v11, v9
	v_fmac_f32_e32 v10, 0x32a5705f, v7
	v_sub_f32_e32 v9, v9, v11
	v_add_f32_e32 v9, v9, v10
	v_exp_f32_e32 v9, v9
	v_cvt_i32_f32_e32 v10, v11
	v_cmp_ngt_f32_e32 vcc, s33, v7
	v_ldexp_f32 v9, v9, v10
	s_nop 0
	v_cndmask_b32_e32 v9, 0, v9, vcc
	v_cmp_nlt_f32_e32 vcc, s69, v7
	v_mov_b32_e32 v10, s65
	s_nop 0
	v_cndmask_b32_e32 v7, v215, v9, vcc
	v_add_f32_e32 v9, v7, v5
	v_cndmask_b32_e64 v10, v10, v7, s[92:93]
	v_cndmask_b32_e64 v7, v5, v9, s[92:93]
	v_sub_f32_e32 v5, v19, v30
	v_mul_f32_e32 v9, 0x3fb8aa3b, v5
	v_fma_f32 v11, v5, s54, -v9
	v_rndne_f32_e32 v12, v9
	v_fmac_f32_e32 v11, 0x32a5705f, v5
	v_sub_f32_e32 v9, v9, v12
	v_add_f32_e32 v9, v9, v11
	v_exp_f32_e32 v9, v9
	v_cvt_i32_f32_e32 v11, v12
	v_cmp_ngt_f32_e32 vcc, s33, v5
	v_ldexp_f32 v9, v9, v11
	s_nop 0
	v_cndmask_b32_e32 v9, 0, v9, vcc
	v_cmp_nlt_f32_e32 vcc, s69, v5
	v_mov_b32_e32 v5, s65
	s_nop 0
	v_cndmask_b32_e32 v9, v215, v9, vcc
	v_add_f32_e32 v11, v9, v7
	v_cndmask_b32_e64 v5, v5, v9, s[90:91]
	v_sub_f32_e32 v9, v20, v30
	v_cndmask_b32_e64 v7, v7, v11, s[90:91]
	v_mul_f32_e32 v11, 0x3fb8aa3b, v9
	v_fma_f32 v12, v9, s54, -v11
	v_rndne_f32_e32 v13, v11
	v_fmac_f32_e32 v12, 0x32a5705f, v9
	v_sub_f32_e32 v11, v11, v13
	v_add_f32_e32 v11, v11, v12
	v_exp_f32_e32 v11, v11
	v_cvt_i32_f32_e32 v12, v13
	v_cmp_ngt_f32_e32 vcc, s33, v9
	v_ldexp_f32 v11, v11, v12
	s_nop 0
	v_cndmask_b32_e32 v11, 0, v11, vcc
	v_cmp_nlt_f32_e32 vcc, s69, v9
	v_mov_b32_e32 v12, s65
	s_nop 0
	v_cndmask_b32_e32 v9, v215, v11, vcc
	v_add_f32_e32 v11, v9, v7
	v_cndmask_b32_e64 v12, v12, v9, s[88:89]
	v_cndmask_b32_e64 v9, v7, v11, s[88:89]
	v_sub_f32_e32 v7, v21, v30
	v_mul_f32_e32 v11, 0x3fb8aa3b, v7
	v_fma_f32 v13, v7, s54, -v11
	v_rndne_f32_e32 v18, v11
	v_fmac_f32_e32 v13, 0x32a5705f, v7
	v_sub_f32_e32 v11, v11, v18
	v_add_f32_e32 v11, v11, v13
	v_exp_f32_e32 v11, v11
	v_cvt_i32_f32_e32 v13, v18
	v_cmp_ngt_f32_e32 vcc, s33, v7
	v_ldexp_f32 v11, v11, v13
	s_nop 0
	v_cndmask_b32_e32 v11, 0, v11, vcc
	v_cmp_nlt_f32_e32 vcc, s69, v7
	v_mov_b32_e32 v7, s65
	s_nop 0
	v_cndmask_b32_e32 v11, v215, v11, vcc
	v_add_f32_e32 v13, v11, v9
	v_cndmask_b32_e64 v85, v7, v11, s[86:87]
	v_cndmask_b32_e64 v7, v9, v13, s[86:87]
	v_sub_f32_e32 v9, v14, v30
	v_mul_f32_e32 v11, 0x3fb8aa3b, v9
	v_fma_f32 v13, v9, s54, -v11
	v_rndne_f32_e32 v14, v11
	v_fmac_f32_e32 v13, 0x32a5705f, v9
	v_sub_f32_e32 v11, v11, v14
	v_add_f32_e32 v11, v11, v13
	v_exp_f32_e32 v11, v11
	v_cvt_i32_f32_e32 v13, v14
	v_cmp_ngt_f32_e32 vcc, s33, v9
	v_mov_b32_e32 v14, s65
	v_ldexp_f32 v11, v11, v13
	v_cndmask_b32_e32 v11, 0, v11, vcc
	v_cmp_nlt_f32_e32 vcc, s69, v9
	s_nop 1
	v_cndmask_b32_e32 v9, v215, v11, vcc
	v_add_f32_e32 v11, v9, v7
	v_cndmask_b32_e64 v14, v14, v9, s[84:85]
	v_cndmask_b32_e64 v9, v7, v11, s[84:85]
	v_sub_f32_e32 v7, v15, v30
	v_mul_f32_e32 v11, 0x3fb8aa3b, v7
	v_fma_f32 v13, v7, s54, -v11
	v_rndne_f32_e32 v15, v11
	v_fmac_f32_e32 v13, 0x32a5705f, v7
	v_sub_f32_e32 v11, v11, v15
	v_add_f32_e32 v11, v11, v13
	v_exp_f32_e32 v11, v11
	v_cvt_i32_f32_e32 v13, v15
	v_cmp_ngt_f32_e32 vcc, s33, v7
	v_ldexp_f32 v11, v11, v13
	s_nop 0
	v_cndmask_b32_e32 v11, 0, v11, vcc
	v_cmp_nlt_f32_e32 vcc, s69, v7
	v_mov_b32_e32 v7, s65
	s_nop 0
	v_cndmask_b32_e32 v11, v215, v11, vcc
	v_add_f32_e32 v13, v11, v9
	v_cndmask_b32_e64 v7, v7, v11, s[82:83]
	v_sub_f32_e32 v11, v16, v30
	v_cndmask_b32_e64 v9, v9, v13, s[82:83]
	v_mul_f32_e32 v13, 0x3fb8aa3b, v11
	v_fma_f32 v15, v11, s54, -v13
	v_rndne_f32_e32 v16, v13
	v_fmac_f32_e32 v15, 0x32a5705f, v11
	v_sub_f32_e32 v13, v13, v16
	v_add_f32_e32 v13, v13, v15
	v_exp_f32_e32 v13, v13
	v_cvt_i32_f32_e32 v15, v16
	v_cmp_ngt_f32_e32 vcc, s33, v11
	v_mov_b32_e32 v16, s65
	v_ldexp_f32 v13, v13, v15
	v_cndmask_b32_e32 v13, 0, v13, vcc
	v_cmp_nlt_f32_e32 vcc, s69, v11
	s_nop 1
	v_cndmask_b32_e32 v11, v215, v13, vcc
	v_add_f32_e32 v13, v11, v9
	v_cndmask_b32_e64 v16, v16, v11, s[80:81]
	v_cndmask_b32_e64 v11, v9, v13, s[80:81]
	v_sub_f32_e32 v9, v17, v30
	v_mul_f32_e32 v13, 0x3fb8aa3b, v9
	v_fma_f32 v15, v9, s54, -v13
	v_rndne_f32_e32 v17, v13
	v_fmac_f32_e32 v15, 0x32a5705f, v9
	v_sub_f32_e32 v13, v13, v17
	v_add_f32_e32 v13, v13, v15
	v_exp_f32_e32 v13, v13
	v_cvt_i32_f32_e32 v15, v17
	v_cmp_ngt_f32_e32 vcc, s33, v9
	v_ldexp_f32 v13, v13, v15
	s_nop 0
	v_cndmask_b32_e32 v13, 0, v13, vcc
	v_cmp_nlt_f32_e32 vcc, s69, v9
	v_mov_b32_e32 v9, s65
	s_nop 0
	v_cndmask_b32_e32 v13, v215, v13, vcc
	v_add_f32_e32 v15, v13, v11
	v_cndmask_b32_e64 v86, v9, v13, s[40:41]
	v_sub_f32_e32 v9, v79, v30
	v_cndmask_b32_e64 v28, v11, v15, s[40:41]
	v_mul_f32_e32 v11, 0x3fb8aa3b, v9
	v_fma_f32 v13, v9, s54, -v11
	v_rndne_f32_e32 v15, v11
	v_fmac_f32_e32 v13, 0x32a5705f, v9
	v_sub_f32_e32 v11, v11, v15
	v_add_f32_e32 v11, v11, v13
	v_exp_f32_e32 v11, v11
	v_cvt_i32_f32_e32 v13, v15
	v_cmp_ngt_f32_e32 vcc, s33, v9
	v_ldexp_f32 v11, v11, v13
	s_nop 0
	v_cndmask_b32_e32 v11, 0, v11, vcc
	v_cmp_nlt_f32_e32 vcc, s69, v9
	s_nop 1
	v_cndmask_b32_e32 v11, v215, v11, vcc
	v_cmp_le_f32_e32 vcc, s99, v9
	s_nop 1
	v_cndmask_b32_e32 v9, 0, v11, vcc
	v_fmac_f32_e32 v28, v97, v9
	v_cvt_f16_f32_e32 v9, v9
	v_cmp_eq_u64_e32 vcc, 0, v[92:93]
	s_and_b64 vcc, exec, vcc
	v_mul_u32_u24_e32 v18, 0x10001, v9
	v_pk_mul_f16 v73, v83, v18
	v_pk_mul_f16 v72, v82, v18
	;; [unrolled: 1-line block ×16, first 2 shown]
	v_lshl_add_u64 v[18:19], v[94:95], 0, s[38:39]
	v_lshl_add_u64 v[22:23], v[64:65], 2, v[18:19]
	;; [unrolled: 1-line block ×3, first 2 shown]
	v_mov_b32_e32 v39, s55
	v_lshl_add_u64 v[22:23], v[22:23], 0, v[48:49]
	v_lshl_add_u64 v[20:21], v[20:21], 0, v[48:49]
	v_cndmask_b32_e64 v27, v39, v23, s[74:75]
	v_cndmask_b32_e64 v26, v176, v22, s[74:75]
	v_lshl_add_u64 v[22:23], v[66:67], 2, v[18:19]
	v_lshl_add_u64 v[18:19], v[68:69], 2, v[18:19]
	v_cndmask_b32_e64 v21, v39, v21, s[72:73]
	v_cndmask_b32_e64 v20, v176, v20, s[72:73]
	;; [unrolled: 4-line block ×3, first 2 shown]
	v_cndmask_b32_e64 v23, v39, v19, s[78:79]
	v_cndmask_b32_e64 v22, v176, v18, s[78:79]
	flat_load_dwordx4 v[18:21], v[20:21]
	s_waitcnt vmcnt(0) lgkmcnt(0)
	ds_write_b128 v179, v[18:21]
	flat_load_dwordx4 v[18:21], v[26:27]
	s_waitcnt vmcnt(0) lgkmcnt(0)
	ds_write_b128 v233, v[18:21]
	flat_load_dwordx4 v[18:21], v[24:25]
	v_cvt_pk_f16_f32 v25, v4, v80
	s_waitcnt vmcnt(0) lgkmcnt(0)
	ds_write_b128 v231, v[18:21]
	flat_load_dwordx4 v[18:21], v[22:23]
	s_waitcnt vmcnt(0) lgkmcnt(0)
	ds_write_b128 v227, v[18:21]
	s_waitcnt lgkmcnt(0)
	s_barrier
	ds_read_u16 v22, v191 offset:272
	ds_read_u16 v23, v191 offset:544
	ds_read_u16 v24, v192
	ds_read_u16 v39, v192 offset:32
	v_cvt_f32_f16_e32 v18, v73
	v_cvt_f32_f16_sdwa v19, v73 dst_sel:DWORD dst_unused:UNUSED_PAD src0_sel:WORD_1
	v_cvt_f32_f16_e32 v20, v72
	s_waitcnt lgkmcnt(1)
	v_perm_b32 v23, v24, v23, s59
	ds_read_u16 v24, v191
	ds_read_u16 v40, v191 offset:32
	v_cvt_f32_f16_sdwa v21, v72 dst_sel:DWORD dst_unused:UNUSED_PAD src0_sel:WORD_1
	s_waitcnt lgkmcnt(1)
	v_perm_b32 v22, v22, v24, s59
	v_cvt_pk_f16_f32 v24, v2, v1
	s_nop 1
	v_mfma_f32_16x16x16_f16 v[18:21], v[22:23], v[24:25], v[18:21]
	ds_read_u16 v22, v191 offset:4352
	ds_read_u16 v23, v191 offset:4624
	;; [unrolled: 1-line block ×4, first 2 shown]
	s_nop 3
	v_cvt_f16_f32_e32 v1, v18
	v_cvt_f16_f32_e32 v2, v19
	;; [unrolled: 1-line block ×4, first 2 shown]
	s_waitcnt lgkmcnt(0)
	v_perm_b32 v27, v27, v26, s59
	v_perm_b32 v26, v23, v22, s59
	v_cvt_f32_f16_e32 v18, v1
	v_cvt_f32_f16_e32 v19, v2
	;; [unrolled: 1-line block ×4, first 2 shown]
	v_cvt_pk_f16_f32 v23, v8, v84
	v_cvt_pk_f16_f32 v22, v6, v3
	s_nop 1
	v_mfma_f32_16x16x16_f16 v[18:21], v[26:27], v[22:23], v[18:21]
	s_nop 7
	v_cvt_f16_f32_e32 v1, v18
	v_cvt_f16_f32_e32 v2, v19
	ds_read_u16 v6, v191 offset:8704
	ds_read_u16 v8, v191 offset:8976
	;; [unrolled: 1-line block ×4, first 2 shown]
	v_cvt_f16_f32_e32 v3, v20
	v_cvt_f16_f32_e32 v4, v21
	v_cvt_f32_f16_e32 v81, v2
	s_waitcnt lgkmcnt(2)
	v_perm_b32 v2, v8, v6, s59
	v_cvt_f32_f16_e32 v82, v3
	s_waitcnt lgkmcnt(0)
	v_perm_b32 v3, v19, v18, s59
	v_cvt_f32_f16_e32 v80, v1
	v_cvt_f32_f16_e32 v83, v4
	v_cvt_pk_f16_f32 v21, v12, v85
	v_cvt_pk_f16_f32 v20, v10, v5
	ds_read_u16 v6, v191 offset:13056
	ds_read_u16 v8, v191 offset:13328
	;; [unrolled: 1-line block ×4, first 2 shown]
	v_mfma_f32_16x16x16_f16 v[2:5], v[2:3], v[20:21], v[80:83]
	v_cvt_pk_f16_f32 v19, v16, v86
	s_waitcnt lgkmcnt(2)
	v_perm_b32 v26, v8, v6, s59
	v_cvt_pk_f16_f32 v18, v14, v7
	s_waitcnt lgkmcnt(0)
	v_perm_b32 v27, v12, v10, s59
	ds_read_u16 v8, v191 offset:304
	ds_read_u16 v10, v191 offset:576
	v_cvt_f16_f32_e32 v1, v2
	v_cvt_f16_f32_e32 v3, v3
	;; [unrolled: 1-line block ×4, first 2 shown]
	v_cvt_f32_f16_e32 v2, v1
	v_cvt_f32_f16_e32 v3, v3
	;; [unrolled: 1-line block ×5, first 2 shown]
	v_cvt_f32_f16_sdwa v7, v41 dst_sel:DWORD dst_unused:UNUSED_PAD src0_sel:WORD_1
	v_mfma_f32_16x16x16_f16 v[2:5], v[26:27], v[18:19], v[2:5]
	s_waitcnt lgkmcnt(0)
	v_perm_b32 v27, v39, v10, s59
	v_perm_b32 v26, v8, v40, s59
	ds_read_u16 v8, v191 offset:4384
	ds_read_u16 v10, v191 offset:4656
	;; [unrolled: 1-line block ×4, first 2 shown]
	s_nop 0
	v_cvt_f16_f32_e32 v1, v4
	v_cvt_f16_f32_e32 v4, v5
	v_cvt_f32_f16_sdwa v5, v45 dst_sel:DWORD dst_unused:UNUSED_PAD src0_sel:WORD_1
	v_perm_b32 v1, v4, v1, s59
	v_cvt_f32_f16_e32 v4, v45
	s_nop 1
	v_mfma_f32_16x16x16_f16 v[4:7], v[26:27], v[24:25], v[4:7]
	s_waitcnt lgkmcnt(0)
	v_perm_b32 v27, v14, v12, s59
	v_perm_b32 v26, v10, v8, s59
	ds_read_u16 v8, v191 offset:8736
	ds_read_u16 v10, v191 offset:9008
	ds_read_u16 v12, v191 offset:9280
	ds_read_u16 v14, v192 offset:8736
	s_nop 0
	v_cvt_f16_f32_e32 v4, v4
	v_cvt_f16_f32_e32 v5, v5
	v_cvt_f16_f32_e32 v6, v6
	v_cvt_f16_f32_e32 v7, v7
	v_cvt_f32_f16_e32 v4, v4
	v_cvt_f32_f16_e32 v5, v5
	v_cvt_f32_f16_e32 v6, v6
	v_cvt_f32_f16_e32 v7, v7
	s_nop 1
	v_mfma_f32_16x16x16_f16 v[4:7], v[26:27], v[22:23], v[4:7]
	s_waitcnt lgkmcnt(0)
	v_perm_b32 v27, v14, v12, s59
	v_perm_b32 v26, v10, v8, s59
	ds_read_u16 v8, v191 offset:13088
	ds_read_u16 v10, v191 offset:13360
	ds_read_u16 v12, v191 offset:13632
	ds_read_u16 v14, v192 offset:13088
	s_nop 0
	v_cvt_f16_f32_e32 v4, v4
	v_cvt_f16_f32_e32 v5, v5
	v_cvt_f16_f32_e32 v6, v6
	v_cvt_f16_f32_e32 v7, v7
	v_cvt_f32_f16_e32 v4, v4
	v_cvt_f32_f16_e32 v5, v5
	v_cvt_f32_f16_e32 v6, v6
	;; [unrolled: 18-line block ×3, first 2 shown]
	v_cvt_f32_f16_e32 v7, v7
	s_waitcnt lgkmcnt(0)
	v_perm_b32 v39, v16, v14, s59
	v_cvt_f32_f16_e32 v8, v9
	v_mfma_f32_16x16x16_f16 v[4:7], v[26:27], v[18:19], v[4:7]
	v_cvt_f32_f16_sdwa v9, v9 dst_sel:DWORD dst_unused:UNUSED_PAD src0_sel:WORD_1
	s_nop 6
	v_cvt_f16_f32_e32 v6, v6
	v_cvt_f16_f32_e32 v7, v7
	v_perm_b32 v26, v7, v6, s59
	v_cvt_f32_f16_e32 v6, v38
	v_cvt_f32_f16_sdwa v7, v38 dst_sel:DWORD dst_unused:UNUSED_PAD src0_sel:WORD_1
	v_perm_b32 v38, v12, v10, s59
	ds_read_u16 v10, v191 offset:4416
	ds_read_u16 v12, v191 offset:4688
	;; [unrolled: 1-line block ×4, first 2 shown]
	v_mfma_f32_16x16x16_f16 v[6:9], v[38:39], v[24:25], v[6:9]
	s_waitcnt lgkmcnt(0)
	v_perm_b32 v39, v16, v14, s59
	v_perm_b32 v38, v12, v10, s59
	ds_read_u16 v10, v191 offset:8768
	ds_read_u16 v12, v191 offset:9040
	;; [unrolled: 1-line block ×4, first 2 shown]
	s_nop 0
	v_cvt_f16_f32_e32 v6, v6
	v_cvt_f16_f32_e32 v7, v7
	;; [unrolled: 1-line block ×4, first 2 shown]
	v_cvt_f32_f16_e32 v6, v6
	v_cvt_f32_f16_e32 v7, v7
	;; [unrolled: 1-line block ×4, first 2 shown]
	s_nop 1
	v_mfma_f32_16x16x16_f16 v[6:9], v[38:39], v[22:23], v[6:9]
	s_waitcnt lgkmcnt(0)
	v_perm_b32 v39, v16, v14, s59
	v_perm_b32 v38, v12, v10, s59
	ds_read_u16 v10, v191 offset:13120
	ds_read_u16 v12, v191 offset:13392
	;; [unrolled: 1-line block ×4, first 2 shown]
	s_nop 0
	v_cvt_f16_f32_e32 v6, v6
	v_cvt_f16_f32_e32 v7, v7
	;; [unrolled: 1-line block ×4, first 2 shown]
	v_cvt_f32_f16_e32 v6, v6
	v_cvt_f32_f16_e32 v7, v7
	v_cvt_f32_f16_e32 v8, v8
	v_cvt_f32_f16_e32 v9, v9
	s_nop 1
	v_mfma_f32_16x16x16_f16 v[6:9], v[38:39], v[20:21], v[6:9]
	s_waitcnt lgkmcnt(0)
	v_perm_b32 v39, v16, v14, s59
	v_perm_b32 v38, v12, v10, s59
	v_cvt_f32_f16_e32 v10, v11
	v_cvt_f32_f16_sdwa v11, v11 dst_sel:DWORD dst_unused:UNUSED_PAD src0_sel:WORD_1
	s_nop 2
	v_cvt_f16_f32_e32 v6, v6
	v_cvt_f16_f32_e32 v7, v7
	;; [unrolled: 1-line block ×4, first 2 shown]
	v_cvt_f32_f16_e32 v6, v6
	v_cvt_f32_f16_e32 v7, v7
	;; [unrolled: 1-line block ×4, first 2 shown]
	s_nop 1
	v_mfma_f32_16x16x16_f16 v[6:9], v[38:39], v[18:19], v[6:9]
	ds_read_u16 v12, v191 offset:96
	ds_read_u16 v14, v191 offset:368
	;; [unrolled: 1-line block ×4, first 2 shown]
	s_nop 3
	v_cvt_f16_f32_e32 v8, v8
	v_cvt_f16_f32_e32 v9, v9
	s_waitcnt lgkmcnt(0)
	v_perm_b32 v39, v38, v16, s59
	v_perm_b32 v38, v14, v12, s59
	;; [unrolled: 1-line block ×3, first 2 shown]
	v_cvt_f32_f16_e32 v8, v37
	v_cvt_f32_f16_sdwa v9, v37 dst_sel:DWORD dst_unused:UNUSED_PAD src0_sel:WORD_1
	ds_read_u16 v12, v191 offset:4448
	ds_read_u16 v14, v191 offset:4720
	ds_read_u16 v16, v191 offset:4992
	ds_read_u16 v37, v192 offset:4448
	v_mfma_f32_16x16x16_f16 v[8:11], v[38:39], v[24:25], v[8:11]
	s_waitcnt lgkmcnt(2)
	v_perm_b32 v38, v14, v12, s59
	s_waitcnt lgkmcnt(0)
	v_perm_b32 v39, v37, v16, s59
	ds_read_u16 v12, v191 offset:8800
	ds_read_u16 v14, v191 offset:9072
	;; [unrolled: 1-line block ×4, first 2 shown]
	v_cvt_f16_f32_e32 v8, v8
	v_cvt_f16_f32_e32 v9, v9
	;; [unrolled: 1-line block ×4, first 2 shown]
	v_cvt_f32_f16_e32 v8, v8
	v_cvt_f32_f16_e32 v9, v9
	;; [unrolled: 1-line block ×4, first 2 shown]
	s_nop 1
	v_mfma_f32_16x16x16_f16 v[8:11], v[38:39], v[22:23], v[8:11]
	s_waitcnt lgkmcnt(0)
	v_perm_b32 v39, v37, v16, s59
	v_perm_b32 v38, v14, v12, s59
	ds_read_u16 v12, v191 offset:13152
	ds_read_u16 v14, v191 offset:13424
	;; [unrolled: 1-line block ×4, first 2 shown]
	s_nop 0
	v_cvt_f16_f32_e32 v8, v8
	v_cvt_f16_f32_e32 v9, v9
	;; [unrolled: 1-line block ×4, first 2 shown]
	v_cvt_f32_f16_e32 v8, v8
	v_cvt_f32_f16_e32 v9, v9
	;; [unrolled: 1-line block ×4, first 2 shown]
	s_nop 1
	v_mfma_f32_16x16x16_f16 v[8:11], v[38:39], v[20:21], v[8:11]
	s_waitcnt lgkmcnt(0)
	v_perm_b32 v39, v37, v16, s59
	v_perm_b32 v38, v14, v12, s59
	v_cvt_f32_f16_e32 v12, v13
	v_cvt_f32_f16_sdwa v13, v13 dst_sel:DWORD dst_unused:UNUSED_PAD src0_sel:WORD_1
	s_nop 2
	v_cvt_f16_f32_e32 v8, v8
	v_cvt_f16_f32_e32 v9, v9
	;; [unrolled: 1-line block ×4, first 2 shown]
	v_cvt_f32_f16_e32 v8, v8
	v_cvt_f32_f16_e32 v9, v9
	;; [unrolled: 1-line block ×4, first 2 shown]
	s_nop 1
	v_mfma_f32_16x16x16_f16 v[8:11], v[38:39], v[18:19], v[8:11]
	ds_read_u16 v14, v191 offset:128
	ds_read_u16 v16, v191 offset:400
	;; [unrolled: 1-line block ×4, first 2 shown]
	s_nop 3
	v_cvt_f16_f32_e32 v10, v10
	v_cvt_f16_f32_e32 v11, v11
	s_waitcnt lgkmcnt(0)
	v_perm_b32 v39, v39, v38, s59
	v_perm_b32 v38, v16, v14, s59
	;; [unrolled: 1-line block ×3, first 2 shown]
	v_cvt_f32_f16_e32 v10, v36
	v_cvt_f32_f16_sdwa v11, v36 dst_sel:DWORD dst_unused:UNUSED_PAD src0_sel:WORD_1
	s_nop 1
	v_mfma_f32_16x16x16_f16 v[10:13], v[38:39], v[24:25], v[10:13]
	ds_read_u16 v14, v191 offset:4480
	ds_read_u16 v16, v191 offset:4752
	ds_read_u16 v36, v191 offset:5024
	ds_read_u16 v38, v192 offset:4480
	s_nop 3
	v_cvt_f16_f32_e32 v10, v10
	v_cvt_f16_f32_e32 v11, v11
	v_cvt_f16_f32_e32 v12, v12
	v_cvt_f16_f32_e32 v13, v13
	s_waitcnt lgkmcnt(0)
	v_perm_b32 v39, v38, v36, s59
	v_perm_b32 v38, v16, v14, s59
	v_cvt_f32_f16_e32 v10, v10
	v_cvt_f32_f16_e32 v11, v11
	v_cvt_f32_f16_e32 v12, v12
	v_cvt_f32_f16_e32 v13, v13
	s_nop 1
	v_mfma_f32_16x16x16_f16 v[10:13], v[38:39], v[22:23], v[10:13]
	ds_read_u16 v14, v191 offset:8832
	ds_read_u16 v16, v191 offset:9104
	ds_read_u16 v36, v191 offset:9376
	ds_read_u16 v38, v192 offset:8832
	s_nop 3
	v_cvt_f16_f32_e32 v10, v10
	v_cvt_f16_f32_e32 v11, v11
	v_cvt_f16_f32_e32 v12, v12
	v_cvt_f16_f32_e32 v13, v13
	s_waitcnt lgkmcnt(0)
	v_perm_b32 v39, v38, v36, s59
	v_perm_b32 v38, v16, v14, s59
	v_cvt_f32_f16_e32 v10, v10
	v_cvt_f32_f16_e32 v11, v11
	v_cvt_f32_f16_e32 v12, v12
	v_cvt_f32_f16_e32 v13, v13
	;; [unrolled: 18-line block ×3, first 2 shown]
	v_cvt_f32_f16_e32 v14, v15
	v_cvt_f32_f16_sdwa v15, v15 dst_sel:DWORD dst_unused:UNUSED_PAD src0_sel:WORD_1
	v_mfma_f32_16x16x16_f16 v[10:13], v[38:39], v[18:19], v[10:13]
	ds_read_u16 v16, v191 offset:160
	ds_read_u16 v38, v191 offset:432
	;; [unrolled: 1-line block ×4, first 2 shown]
	s_nop 3
	v_cvt_f16_f32_e32 v12, v12
	v_cvt_f16_f32_e32 v13, v13
	s_waitcnt lgkmcnt(0)
	v_perm_b32 v39, v40, v39, s59
	v_perm_b32 v38, v38, v16, s59
	;; [unrolled: 1-line block ×3, first 2 shown]
	v_cvt_f32_f16_e32 v12, v35
	v_cvt_f32_f16_sdwa v13, v35 dst_sel:DWORD dst_unused:UNUSED_PAD src0_sel:WORD_1
	s_nop 1
	v_mfma_f32_16x16x16_f16 v[12:15], v[38:39], v[24:25], v[12:15]
	ds_read_u16 v16, v191 offset:4512
	ds_read_u16 v35, v191 offset:4784
	ds_read_u16 v38, v191 offset:5056
	ds_read_u16 v39, v192 offset:4512
	s_nop 3
	v_cvt_f16_f32_e32 v12, v12
	v_cvt_f16_f32_e32 v13, v13
	v_cvt_f16_f32_e32 v14, v14
	v_cvt_f16_f32_e32 v15, v15
	s_waitcnt lgkmcnt(0)
	v_perm_b32 v39, v39, v38, s59
	v_perm_b32 v38, v35, v16, s59
	v_cvt_f32_f16_e32 v12, v12
	v_cvt_f32_f16_e32 v13, v13
	v_cvt_f32_f16_e32 v14, v14
	v_cvt_f32_f16_e32 v15, v15
	s_nop 1
	v_mfma_f32_16x16x16_f16 v[12:15], v[38:39], v[22:23], v[12:15]
	ds_read_u16 v16, v191 offset:8864
	ds_read_u16 v35, v191 offset:9136
	ds_read_u16 v38, v191 offset:9408
	ds_read_u16 v39, v192 offset:8864
	s_nop 3
	v_cvt_f16_f32_e32 v12, v12
	v_cvt_f16_f32_e32 v13, v13
	v_cvt_f16_f32_e32 v14, v14
	v_cvt_f16_f32_e32 v15, v15
	s_waitcnt lgkmcnt(0)
	v_perm_b32 v39, v39, v38, s59
	v_perm_b32 v38, v35, v16, s59
	v_cvt_f32_f16_e32 v12, v12
	v_cvt_f32_f16_e32 v13, v13
	v_cvt_f32_f16_e32 v14, v14
	v_cvt_f32_f16_e32 v15, v15
	;; [unrolled: 18-line block ×3, first 2 shown]
	v_cvt_f32_f16_e32 v16, v17
	v_cvt_f32_f16_sdwa v17, v17 dst_sel:DWORD dst_unused:UNUSED_PAD src0_sel:WORD_1
	v_mfma_f32_16x16x16_f16 v[12:15], v[38:39], v[18:19], v[12:15]
	ds_read_u16 v38, v191 offset:192
	ds_read_u16 v40, v191 offset:464
	;; [unrolled: 1-line block ×4, first 2 shown]
	s_nop 3
	v_cvt_f16_f32_e32 v14, v14
	v_cvt_f16_f32_e32 v15, v15
	s_waitcnt lgkmcnt(0)
	v_perm_b32 v39, v41, v39, s59
	v_perm_b32 v38, v40, v38, s59
	v_cvt_f32_f16_sdwa v41, v29 dst_sel:DWORD dst_unused:UNUSED_PAD src0_sel:WORD_1
	v_perm_b32 v35, v15, v14, s59
	v_cvt_f32_f16_e32 v14, v34
	v_cvt_f32_f16_sdwa v15, v34 dst_sel:DWORD dst_unused:UNUSED_PAD src0_sel:WORD_1
	s_nop 1
	v_mfma_f32_16x16x16_f16 v[14:17], v[38:39], v[24:25], v[14:17]
	ds_read_u16 v34, v191 offset:4544
	ds_read_u16 v38, v191 offset:4816
	ds_read_u16 v39, v191 offset:5088
	ds_read_u16 v40, v192 offset:4544
	s_nop 3
	v_cvt_f16_f32_e32 v14, v14
	v_cvt_f16_f32_e32 v15, v15
	v_cvt_f16_f32_e32 v16, v16
	v_cvt_f16_f32_e32 v17, v17
	s_waitcnt lgkmcnt(0)
	v_perm_b32 v39, v40, v39, s59
	v_perm_b32 v38, v38, v34, s59
	v_cvt_f32_f16_e32 v14, v14
	v_cvt_f32_f16_e32 v15, v15
	v_cvt_f32_f16_e32 v16, v16
	v_cvt_f32_f16_e32 v17, v17
	s_nop 1
	v_mfma_f32_16x16x16_f16 v[14:17], v[38:39], v[22:23], v[14:17]
	ds_read_u16 v34, v191 offset:8896
	ds_read_u16 v38, v191 offset:9168
	ds_read_u16 v39, v191 offset:9440
	ds_read_u16 v40, v192 offset:8896
	s_nop 3
	v_cvt_f16_f32_e32 v14, v14
	v_cvt_f16_f32_e32 v15, v15
	v_cvt_f16_f32_e32 v16, v16
	v_cvt_f16_f32_e32 v17, v17
	s_waitcnt lgkmcnt(0)
	v_perm_b32 v39, v40, v39, s59
	v_perm_b32 v38, v38, v34, s59
	v_cvt_f32_f16_e32 v14, v14
	v_cvt_f32_f16_e32 v15, v15
	v_cvt_f32_f16_e32 v16, v16
	v_cvt_f32_f16_e32 v17, v17
	;; [unrolled: 18-line block ×3, first 2 shown]
	v_cvt_f32_f16_e32 v40, v29
	s_nop 0
	v_mfma_f32_16x16x16_f16 v[14:17], v[38:39], v[18:19], v[14:17]
	v_cvt_f32_f16_e32 v38, v33
	v_cvt_f32_f16_sdwa v39, v33 dst_sel:DWORD dst_unused:UNUSED_PAD src0_sel:WORD_1
	s_nop 5
	v_cvt_f16_f32_e32 v16, v16
	v_cvt_f16_f32_e32 v17, v17
	v_perm_b32 v34, v17, v16, s59
	ds_read_u16 v16, v191 offset:224
	ds_read_u16 v42, v191 offset:496
	;; [unrolled: 1-line block ×4, first 2 shown]
	s_waitcnt lgkmcnt(2)
	v_perm_b32 v16, v42, v16, s59
	s_waitcnt lgkmcnt(0)
	v_perm_b32 v17, v43, v17, s59
	ds_read_u16 v29, v191 offset:4576
	ds_read_u16 v33, v191 offset:4848
	;; [unrolled: 1-line block ×4, first 2 shown]
	v_mfma_f32_16x16x16_f16 v[38:41], v[16:17], v[24:25], v[38:41]
	s_nop 7
	v_cvt_f16_f32_e32 v16, v38
	v_cvt_f16_f32_e32 v17, v39
	;; [unrolled: 1-line block ×4, first 2 shown]
	v_cvt_f32_f16_e32 v38, v16
	v_cvt_f32_f16_e32 v39, v17
	s_waitcnt lgkmcnt(0)
	v_perm_b32 v17, v43, v42, s59
	v_perm_b32 v16, v33, v29, s59
	v_cvt_f32_f16_e32 v40, v24
	v_cvt_f32_f16_e32 v41, v25
	s_nop 1
	v_mfma_f32_16x16x16_f16 v[22:25], v[16:17], v[22:23], v[38:41]
	ds_read_u16 v29, v191 offset:8928
	ds_read_u16 v33, v191 offset:9200
	s_nop 0
	ds_read_u16 v38, v191 offset:9472
	ds_read_u16 v39, v192 offset:8928
	s_nop 2
	v_cvt_f16_f32_e32 v16, v22
	v_cvt_f16_f32_e32 v17, v23
	;; [unrolled: 1-line block ×4, first 2 shown]
	v_cvt_f32_f16_e32 v22, v16
	v_cvt_f32_f16_e32 v23, v17
	s_waitcnt lgkmcnt(0)
	v_perm_b32 v17, v39, v38, s59
	v_perm_b32 v16, v33, v29, s59
	v_cvt_f32_f16_e32 v24, v24
	v_cvt_f32_f16_e32 v25, v25
	s_nop 1
	v_mfma_f32_16x16x16_f16 v[20:23], v[16:17], v[20:21], v[22:25]
	ds_read_u16 v16, v191 offset:13280
	ds_read_u16 v17, v191 offset:13552
	s_nop 0
	ds_read_u16 v24, v191 offset:13824
	ds_read_u16 v25, v192 offset:13280
	s_waitcnt lgkmcnt(0)
	s_barrier
	s_nop 0
	v_cvt_f16_f32_e32 v20, v20
	v_cvt_f16_f32_e32 v21, v21
	;; [unrolled: 1-line block ×4, first 2 shown]
	v_perm_b32 v25, v25, v24, s59
	v_perm_b32 v24, v17, v16, s59
	v_cvt_f32_f16_e32 v20, v20
	v_cvt_f32_f16_e32 v21, v21
	;; [unrolled: 1-line block ×4, first 2 shown]
	s_nop 1
	v_mfma_f32_16x16x16_f16 v[16:19], v[24:25], v[18:19], v[20:23]
	s_nop 7
	v_cvt_f16_f32_e32 v18, v18
	v_cvt_f16_f32_e32 v19, v19
	v_perm_b32 v18, v19, v18, s59
	ds_bpermute_b32 v19, v32, v28
	s_waitcnt lgkmcnt(0)
	v_add_f32_e32 v19, v28, v19
	ds_bpermute_b32 v20, v31, v19
	s_waitcnt lgkmcnt(0)
	v_add_f32_e32 v31, v19, v20
	s_cbranch_vccnz .LBB24_326
; %bb.325:                              ;   in Loop: Header=BB24_13 Depth=1
	global_load_dword v19, v[92:93], off
	v_cvt_pk_f16_f32 v2, v2, v3
	v_cvt_pk_f16_f32 v3, v4, v5
	;; [unrolled: 1-line block ×3, first 2 shown]
	v_max_f32_e32 v6, v30, v30
	v_cvt_pk_f16_f32 v20, v10, v11
	v_cvt_pk_f16_f32 v5, v8, v9
	v_cvt_pk_f16_f32 v12, v12, v13
	v_cvt_pk_f16_f32 v14, v14, v15
	v_cvt_pk_f16_f32 v15, v16, v17
	s_waitcnt vmcnt(0)
	v_max_f32_e32 v7, v19, v19
	v_max_f32_e32 v10, v6, v7
	v_sub_f32_e32 v6, v30, v10
	v_sub_f32_e32 v7, v19, v10
	v_mul_f32_e32 v8, 0x3fb8aa3b, v6
	v_mul_f32_e32 v9, 0x3fb8aa3b, v7
	v_fma_f32 v11, v6, s54, -v8
	v_rndne_f32_e32 v13, v8
	v_fma_f32 v19, v7, s54, -v9
	v_rndne_f32_e32 v21, v9
	v_fmac_f32_e32 v11, 0x32a5705f, v6
	v_sub_f32_e32 v8, v8, v13
	v_fmac_f32_e32 v19, 0x32a5705f, v7
	v_sub_f32_e32 v9, v9, v21
	v_add_f32_e32 v8, v8, v11
	v_cvt_i32_f32_e32 v13, v13
	v_add_f32_e32 v9, v9, v19
	v_exp_f32_e32 v8, v8
	v_cvt_i32_f32_e32 v21, v21
	v_exp_f32_e32 v9, v9
	v_cmp_ngt_f32_e32 vcc, s33, v6
	v_ldexp_f32 v8, v8, v13
	v_ldexp_f32 v9, v9, v21
	v_cndmask_b32_e32 v8, 0, v8, vcc
	v_cmp_ngt_f32_e32 vcc, s33, v7
	s_nop 1
	v_cndmask_b32_e32 v9, 0, v9, vcc
	v_cmp_nlt_f32_e32 vcc, s69, v6
	s_nop 1
	v_cndmask_b32_e32 v8, v215, v8, vcc
	v_cmp_le_f32_e32 vcc, s99, v6
	s_nop 1
	v_cndmask_b32_e32 v6, 0, v8, vcc
	v_cvt_f16_f32_e32 v8, v6
	v_cmp_nlt_f32_e32 vcc, s69, v7
	v_mul_u32_u24_e32 v13, 0x10001, v8
	s_nop 0
	v_cndmask_b32_e32 v11, v215, v9, vcc
	v_fmac_f32_e32 v11, v31, v6
	v_pk_mul_f16 v9, v2, v13
	v_pk_mul_f16 v1, v1, v13
	;; [unrolled: 1-line block ×16, first 2 shown]
	v_mov_b64_e32 v[30:31], v[10:11]
	s_branch .LBB24_327
.LBB24_326:                             ;   in Loop: Header=BB24_13 Depth=1
	v_cvt_f16_f32_e32 v19, v2
	v_cvt_f16_f32_e32 v20, v3
	v_cvt_f16_f32_e32 v21, v4
	v_cvt_f16_f32_e32 v22, v5
	v_cvt_f16_f32_e32 v23, v6
	v_cvt_f16_f32_e32 v7, v7
	v_cvt_f16_f32_e32 v6, v8
	v_cvt_f16_f32_e32 v8, v9
	v_cvt_f16_f32_e32 v5, v10
	v_cvt_f16_f32_e32 v4, v12
	v_cvt_f16_f32_e32 v3, v14
	v_cvt_f16_f32_e32 v2, v16
	v_cvt_f16_f32_e32 v9, v17
	v_cvt_f16_f32_e32 v10, v15
	v_cvt_f16_f32_e32 v12, v13
	v_cvt_f16_f32_e32 v11, v11
	v_perm_b32 v2, v9, v2, s59
	v_perm_b32 v3, v10, v3, s59
	;; [unrolled: 1-line block ×8, first 2 shown]
.LBB24_327:                             ;   in Loop: Header=BB24_13 Depth=1
	v_readlane_b32 s64, v254, 59
	s_mov_b32 s98, s58
	v_readlane_b32 s94, v255, 10
	v_readlane_b32 s95, v255, 11
	s_mov_b64 s[38:39], exec
	v_readlane_b32 s40, v255, 4
	v_readlane_b32 s41, v255, 5
	s_and_b64 s[40:41], s[38:39], s[40:41]
	v_readlane_b32 s96, v255, 8
	v_readlane_b32 s97, v255, 9
	s_mov_b64 exec, s[40:41]
	s_cbranch_execz .LBB24_329
; %bb.328:                              ;   in Loop: Header=BB24_13 Depth=1
	scratch_load_dword v10, off, off offset:28 ; 4-byte Folded Reload
	s_waitcnt vmcnt(0)
	ds_write2_b32 v10, v30, v31 offset0:64 offset1:65
.LBB24_329:                             ;   in Loop: Header=BB24_13 Depth=1
	s_or_b64 exec, exec, s[38:39]
	s_waitcnt lgkmcnt(0)
	s_barrier
	ds_write2_b32 v193, v9, v1 offset1:1
	ds_write2_b32 v193, v8, v26 offset0:8 offset1:9
	ds_write2_b32 v193, v7, v27 offset0:16 offset1:17
	;; [unrolled: 1-line block ×7, first 2 shown]
	v_mov_b32_e32 v1, 50
	s_waitcnt lgkmcnt(0)
	s_barrier
	s_mov_b64 s[38:39], exec
	v_readlane_b32 s40, v255, 12
	v_readlane_b32 s41, v255, 13
	s_and_b64 s[40:41], s[38:39], s[40:41]
	s_mov_b64 exec, s[40:41]
	s_cbranch_execz .LBB24_331
; %bb.330:                              ;   in Loop: Header=BB24_13 Depth=1
	scratch_load_dword v2, off, off offset:24 ; 4-byte Folded Reload
	ds_read_b32 v1, v209 offset:260
	v_readlane_b32 s40, v255, 0
	s_waitcnt vmcnt(0)
	ds_read_b32 v4, v2
	v_mad_u64_u32 v[2:3], s[40:41], s40, v216, v[46:47]
	v_ashrrev_i32_e32 v3, 31, v2
	v_lshl_add_u64 v[2:3], v[2:3], 3, v[90:91]
	s_waitcnt lgkmcnt(0)
	v_cvt_f32_f16_sdwa v5, v4 dst_sel:DWORD dst_unused:UNUSED_PAD src0_sel:WORD_1
	v_cvt_f32_f16_e32 v4, v4
	v_pk_add_f32 v[4:5], v[4:5], 0 op_sel_hi:[1,0]
	s_nop 0
	v_div_scale_f32 v6, s[40:41], v1, v1, v5
	v_rcp_f32_e32 v7, v6
	s_nop 0
	v_fma_f32 v8, -v6, v7, 1.0
	v_fmac_f32_e32 v7, v8, v7
	v_div_scale_f32 v8, vcc, v5, v1, v5
	v_mul_f32_e32 v9, v8, v7
	v_fma_f32 v10, -v6, v9, v8
	v_fmac_f32_e32 v9, v10, v7
	v_fma_f32 v6, -v6, v9, v8
	v_div_fmas_f32 v6, v6, v7, v9
	v_div_fixup_f32 v5, v6, v1, v5
	v_div_scale_f32 v6, s[40:41], v1, v1, v4
	v_rcp_f32_e32 v7, v6
	s_nop 0
	v_fma_f32 v8, -v6, v7, 1.0
	v_fmac_f32_e32 v7, v8, v7
	v_div_scale_f32 v8, vcc, v4, v1, v4
	v_mul_f32_e32 v9, v8, v7
	v_fma_f32 v10, -v6, v9, v8
	v_fmac_f32_e32 v9, v10, v7
	v_fma_f32 v6, -v6, v9, v8
	v_div_fmas_f32 v6, v6, v7, v9
	v_div_fixup_f32 v4, v6, v1, v4
	v_mov_b32_e32 v1, 0
	global_store_dwordx2 v[2:3], v[4:5], off
.LBB24_331:                             ;   in Loop: Header=BB24_13 Depth=1
	s_or_b64 exec, exec, s[38:39]
	v_cmp_gt_i32_e32 vcc, 50, v1
	s_mov_b64 s[40:41], -1
	s_and_saveexec_b64 s[38:39], vcc
; %bb.332:                              ;   in Loop: Header=BB24_13 Depth=1
	v_cmp_eq_u32_e32 vcc, 0, v1
	s_orn2_b64 s[40:41], vcc, exec
; %bb.333:                              ;   in Loop: Header=BB24_13 Depth=1
	s_or_b64 exec, exec, s[38:39]
                                        ; implicit-def: $vgpr2_vgpr3
	s_and_saveexec_b64 s[38:39], s[40:41]
	s_cbranch_execz .LBB24_421
; %bb.334:                              ;   in Loop: Header=BB24_13 Depth=1
	v_mov_b32_e32 v1, 50
	s_mov_b64 s[40:41], exec
	v_readlane_b32 s42, v255, 14
	v_readlane_b32 s43, v255, 15
	s_and_b64 s[42:43], s[40:41], s[42:43]
	s_mov_b64 exec, s[42:43]
	s_cbranch_execz .LBB24_336
; %bb.335:                              ;   in Loop: Header=BB24_13 Depth=1
	scratch_load_dword v2, off, off offset:96 ; 4-byte Folded Reload
	v_add_u32_e32 v1, 0x440, v209
	ds_read_b32 v1, v1 offset:260
	v_readlane_b32 s42, v255, 0
	s_waitcnt vmcnt(0)
	ds_read_b32 v4, v2
	v_mad_u64_u32 v[2:3], s[42:43], s42, v78, v[46:47]
	v_ashrrev_i32_e32 v3, 31, v2
	v_lshl_add_u64 v[2:3], v[2:3], 3, v[90:91]
	s_waitcnt lgkmcnt(0)
	v_cvt_f32_f16_sdwa v5, v4 dst_sel:DWORD dst_unused:UNUSED_PAD src0_sel:WORD_1
	v_cvt_f32_f16_e32 v4, v4
	v_pk_add_f32 v[4:5], v[4:5], 0 op_sel_hi:[1,0]
	s_nop 0
	v_div_scale_f32 v6, s[42:43], v1, v1, v5
	v_rcp_f32_e32 v7, v6
	s_nop 0
	v_fma_f32 v8, -v6, v7, 1.0
	v_fmac_f32_e32 v7, v8, v7
	v_div_scale_f32 v8, vcc, v5, v1, v5
	v_mul_f32_e32 v9, v8, v7
	v_fma_f32 v10, -v6, v9, v8
	v_fmac_f32_e32 v9, v10, v7
	v_fma_f32 v6, -v6, v9, v8
	v_div_fmas_f32 v6, v6, v7, v9
	v_div_fixup_f32 v5, v6, v1, v5
	v_div_scale_f32 v6, s[42:43], v1, v1, v4
	v_rcp_f32_e32 v7, v6
	s_nop 0
	v_fma_f32 v8, -v6, v7, 1.0
	v_fmac_f32_e32 v7, v8, v7
	v_div_scale_f32 v8, vcc, v4, v1, v4
	v_mul_f32_e32 v9, v8, v7
	v_fma_f32 v10, -v6, v9, v8
	v_fmac_f32_e32 v9, v10, v7
	v_fma_f32 v6, -v6, v9, v8
	v_div_fmas_f32 v6, v6, v7, v9
	v_div_fixup_f32 v4, v6, v1, v4
	v_mov_b32_e32 v1, 0
	global_store_dwordx2 v[2:3], v[4:5], off
.LBB24_336:                             ;   in Loop: Header=BB24_13 Depth=1
	s_or_b64 exec, exec, s[40:41]
	v_cmp_gt_i32_e32 vcc, 50, v1
	s_mov_b64 s[44:45], -1
	s_and_saveexec_b64 s[40:41], vcc
; %bb.337:                              ;   in Loop: Header=BB24_13 Depth=1
	v_cmp_eq_u32_e32 vcc, 0, v1
	s_orn2_b64 s[44:45], vcc, exec
; %bb.338:                              ;   in Loop: Header=BB24_13 Depth=1
	s_or_b64 exec, exec, s[40:41]
	s_mov_b64 s[42:43], s[2:3]
                                        ; implicit-def: $vgpr2_vgpr3
	s_and_saveexec_b64 s[40:41], s[44:45]
	s_cbranch_execz .LBB24_420
; %bb.339:                              ;   in Loop: Header=BB24_13 Depth=1
	v_mov_b32_e32 v1, 50
	s_mov_b64 s[42:43], exec
	v_readlane_b32 s44, v255, 16
	v_readlane_b32 s45, v255, 17
	s_and_b64 s[44:45], s[42:43], s[44:45]
	s_mov_b64 exec, s[44:45]
	s_cbranch_execz .LBB24_341
; %bb.340:                              ;   in Loop: Header=BB24_13 Depth=1
	scratch_load_dword v2, off, off offset:104 ; 4-byte Folded Reload
	v_add_u32_e32 v1, 0x880, v209
	ds_read_b32 v1, v1 offset:260
	v_readlane_b32 s44, v255, 0
	s_waitcnt vmcnt(0)
	ds_read_b32 v4, v2
	v_mad_u64_u32 v[2:3], s[44:45], s44, v77, v[46:47]
	v_ashrrev_i32_e32 v3, 31, v2
	v_lshl_add_u64 v[2:3], v[2:3], 3, v[90:91]
	s_waitcnt lgkmcnt(0)
	v_cvt_f32_f16_sdwa v5, v4 dst_sel:DWORD dst_unused:UNUSED_PAD src0_sel:WORD_1
	v_cvt_f32_f16_e32 v4, v4
	v_pk_add_f32 v[4:5], v[4:5], 0 op_sel_hi:[1,0]
	s_nop 0
	v_div_scale_f32 v6, s[44:45], v1, v1, v5
	v_rcp_f32_e32 v7, v6
	s_nop 0
	v_fma_f32 v8, -v6, v7, 1.0
	v_fmac_f32_e32 v7, v8, v7
	v_div_scale_f32 v8, vcc, v5, v1, v5
	v_mul_f32_e32 v9, v8, v7
	v_fma_f32 v10, -v6, v9, v8
	v_fmac_f32_e32 v9, v10, v7
	v_fma_f32 v6, -v6, v9, v8
	v_div_fmas_f32 v6, v6, v7, v9
	v_div_fixup_f32 v5, v6, v1, v5
	v_div_scale_f32 v6, s[44:45], v1, v1, v4
	v_rcp_f32_e32 v7, v6
	s_nop 0
	v_fma_f32 v8, -v6, v7, 1.0
	v_fmac_f32_e32 v7, v8, v7
	v_div_scale_f32 v8, vcc, v4, v1, v4
	v_mul_f32_e32 v9, v8, v7
	v_fma_f32 v10, -v6, v9, v8
	v_fmac_f32_e32 v9, v10, v7
	v_fma_f32 v6, -v6, v9, v8
	v_div_fmas_f32 v6, v6, v7, v9
	v_div_fixup_f32 v4, v6, v1, v4
	v_mov_b32_e32 v1, 0
	global_store_dwordx2 v[2:3], v[4:5], off
.LBB24_341:                             ;   in Loop: Header=BB24_13 Depth=1
	s_or_b64 exec, exec, s[42:43]
	v_cmp_gt_i32_e32 vcc, 50, v1
	s_mov_b64 s[46:47], -1
	s_and_saveexec_b64 s[42:43], vcc
; %bb.342:                              ;   in Loop: Header=BB24_13 Depth=1
	v_cmp_eq_u32_e32 vcc, 0, v1
	s_orn2_b64 s[46:47], vcc, exec
; %bb.343:                              ;   in Loop: Header=BB24_13 Depth=1
	s_or_b64 exec, exec, s[42:43]
	s_mov_b64 s[44:45], s[2:3]
                                        ; implicit-def: $vgpr2_vgpr3
	s_and_saveexec_b64 s[42:43], s[46:47]
	s_cbranch_execz .LBB24_419
; %bb.344:                              ;   in Loop: Header=BB24_13 Depth=1
	v_mov_b32_e32 v1, 50
	s_mov_b64 s[44:45], exec
	v_readlane_b32 s46, v255, 18
	v_readlane_b32 s47, v255, 19
	s_and_b64 s[46:47], s[44:45], s[46:47]
	s_mov_b64 exec, s[46:47]
	s_cbranch_execz .LBB24_346
; %bb.345:                              ;   in Loop: Header=BB24_13 Depth=1
	scratch_load_dword v2, off, off offset:108 ; 4-byte Folded Reload
	v_add_u32_e32 v1, 0xcc0, v209
	ds_read_b32 v1, v1 offset:260
	v_readlane_b32 s46, v255, 0
	s_waitcnt vmcnt(0)
	ds_read_b32 v4, v2
	v_mad_u64_u32 v[2:3], s[46:47], s46, v76, v[46:47]
	v_ashrrev_i32_e32 v3, 31, v2
	v_lshl_add_u64 v[2:3], v[2:3], 3, v[90:91]
	s_waitcnt lgkmcnt(0)
	v_cvt_f32_f16_sdwa v5, v4 dst_sel:DWORD dst_unused:UNUSED_PAD src0_sel:WORD_1
	v_cvt_f32_f16_e32 v4, v4
	v_pk_add_f32 v[4:5], v[4:5], 0 op_sel_hi:[1,0]
	s_nop 0
	v_div_scale_f32 v6, s[46:47], v1, v1, v5
	v_rcp_f32_e32 v7, v6
	s_nop 0
	v_fma_f32 v8, -v6, v7, 1.0
	v_fmac_f32_e32 v7, v8, v7
	v_div_scale_f32 v8, vcc, v5, v1, v5
	v_mul_f32_e32 v9, v8, v7
	v_fma_f32 v10, -v6, v9, v8
	v_fmac_f32_e32 v9, v10, v7
	v_fma_f32 v6, -v6, v9, v8
	v_div_fmas_f32 v6, v6, v7, v9
	v_div_fixup_f32 v5, v6, v1, v5
	v_div_scale_f32 v6, s[46:47], v1, v1, v4
	v_rcp_f32_e32 v7, v6
	s_nop 0
	v_fma_f32 v8, -v6, v7, 1.0
	v_fmac_f32_e32 v7, v8, v7
	v_div_scale_f32 v8, vcc, v4, v1, v4
	v_mul_f32_e32 v9, v8, v7
	v_fma_f32 v10, -v6, v9, v8
	v_fmac_f32_e32 v9, v10, v7
	v_fma_f32 v6, -v6, v9, v8
	v_div_fmas_f32 v6, v6, v7, v9
	v_div_fixup_f32 v4, v6, v1, v4
	v_mov_b32_e32 v1, 0
	global_store_dwordx2 v[2:3], v[4:5], off
.LBB24_346:                             ;   in Loop: Header=BB24_13 Depth=1
	s_or_b64 exec, exec, s[44:45]
	v_cmp_gt_i32_e32 vcc, 50, v1
	s_mov_b64 s[50:51], -1
	s_and_saveexec_b64 s[44:45], vcc
; %bb.347:                              ;   in Loop: Header=BB24_13 Depth=1
	v_cmp_eq_u32_e32 vcc, 0, v1
	s_orn2_b64 s[50:51], vcc, exec
; %bb.348:                              ;   in Loop: Header=BB24_13 Depth=1
	s_or_b64 exec, exec, s[44:45]
	s_mov_b64 s[46:47], s[2:3]
                                        ; implicit-def: $vgpr2_vgpr3
	s_and_saveexec_b64 s[44:45], s[50:51]
	s_cbranch_execz .LBB24_418
; %bb.349:                              ;   in Loop: Header=BB24_13 Depth=1
	v_mov_b32_e32 v1, 50
	s_mov_b64 s[46:47], exec
	v_readlane_b32 s50, v255, 20
	v_readlane_b32 s51, v255, 21
	s_and_b64 s[50:51], s[46:47], s[50:51]
	s_mov_b64 exec, s[50:51]
	s_cbranch_execz .LBB24_351
; %bb.350:                              ;   in Loop: Header=BB24_13 Depth=1
	scratch_load_dword v1, off, off offset:116 ; 4-byte Folded Reload
	scratch_load_dword v2, off, off offset:120 ; 4-byte Folded Reload
	v_readlane_b32 s50, v255, 0
	s_waitcnt vmcnt(1)
	ds_read_b32 v1, v1 offset:260
	s_waitcnt vmcnt(0)
	ds_read_b32 v4, v2
	v_mad_u64_u32 v[2:3], s[50:51], s50, v75, v[46:47]
	v_ashrrev_i32_e32 v3, 31, v2
	v_lshl_add_u64 v[2:3], v[2:3], 3, v[90:91]
	s_waitcnt lgkmcnt(0)
	v_cvt_f32_f16_sdwa v5, v4 dst_sel:DWORD dst_unused:UNUSED_PAD src0_sel:WORD_1
	v_cvt_f32_f16_e32 v4, v4
	v_pk_add_f32 v[4:5], v[4:5], 0 op_sel_hi:[1,0]
	s_nop 0
	v_div_scale_f32 v6, s[50:51], v1, v1, v5
	v_rcp_f32_e32 v7, v6
	s_nop 0
	v_fma_f32 v8, -v6, v7, 1.0
	v_fmac_f32_e32 v7, v8, v7
	v_div_scale_f32 v8, vcc, v5, v1, v5
	v_mul_f32_e32 v9, v8, v7
	v_fma_f32 v10, -v6, v9, v8
	v_fmac_f32_e32 v9, v10, v7
	v_fma_f32 v6, -v6, v9, v8
	v_div_fmas_f32 v6, v6, v7, v9
	v_div_fixup_f32 v5, v6, v1, v5
	v_div_scale_f32 v6, s[50:51], v1, v1, v4
	v_rcp_f32_e32 v7, v6
	s_nop 0
	v_fma_f32 v8, -v6, v7, 1.0
	v_fmac_f32_e32 v7, v8, v7
	v_div_scale_f32 v8, vcc, v4, v1, v4
	v_mul_f32_e32 v9, v8, v7
	v_fma_f32 v10, -v6, v9, v8
	v_fmac_f32_e32 v9, v10, v7
	v_fma_f32 v6, -v6, v9, v8
	v_div_fmas_f32 v6, v6, v7, v9
	v_div_fixup_f32 v4, v6, v1, v4
	v_mov_b32_e32 v1, 0
	global_store_dwordx2 v[2:3], v[4:5], off
.LBB24_351:                             ;   in Loop: Header=BB24_13 Depth=1
	s_or_b64 exec, exec, s[46:47]
	v_cmp_gt_i32_e32 vcc, 50, v1
	s_mov_b64 s[72:73], -1
	s_and_saveexec_b64 s[46:47], vcc
; %bb.352:                              ;   in Loop: Header=BB24_13 Depth=1
	v_cmp_eq_u32_e32 vcc, 0, v1
	s_orn2_b64 s[72:73], vcc, exec
; %bb.353:                              ;   in Loop: Header=BB24_13 Depth=1
	s_or_b64 exec, exec, s[46:47]
	s_mov_b64 s[50:51], s[2:3]
                                        ; implicit-def: $vgpr2_vgpr3
	s_and_saveexec_b64 s[46:47], s[72:73]
	s_cbranch_execz .LBB24_417
; %bb.354:                              ;   in Loop: Header=BB24_13 Depth=1
	v_mov_b32_e32 v1, 50
	s_mov_b64 s[50:51], exec
	v_readlane_b32 s72, v255, 22
	v_readlane_b32 s73, v255, 23
	s_and_b64 s[72:73], s[50:51], s[72:73]
	s_mov_b64 exec, s[72:73]
	s_cbranch_execz .LBB24_356
; %bb.355:                              ;   in Loop: Header=BB24_13 Depth=1
	scratch_load_dword v2, off, off offset:124 ; 4-byte Folded Reload
	v_add_u32_e32 v1, 0x1540, v209
	ds_read_b32 v1, v1 offset:260
	v_readlane_b32 s58, v255, 0
	s_waitcnt vmcnt(0)
	ds_read_b32 v4, v2
	v_mad_u64_u32 v[2:3], s[72:73], s58, v74, v[46:47]
	v_ashrrev_i32_e32 v3, 31, v2
	v_lshl_add_u64 v[2:3], v[2:3], 3, v[90:91]
	s_waitcnt lgkmcnt(0)
	v_cvt_f32_f16_sdwa v5, v4 dst_sel:DWORD dst_unused:UNUSED_PAD src0_sel:WORD_1
	v_cvt_f32_f16_e32 v4, v4
	v_pk_add_f32 v[4:5], v[4:5], 0 op_sel_hi:[1,0]
	s_nop 0
	v_div_scale_f32 v6, s[72:73], v1, v1, v5
	v_rcp_f32_e32 v7, v6
	s_nop 0
	v_fma_f32 v8, -v6, v7, 1.0
	v_fmac_f32_e32 v7, v8, v7
	v_div_scale_f32 v8, vcc, v5, v1, v5
	v_mul_f32_e32 v9, v8, v7
	v_fma_f32 v10, -v6, v9, v8
	v_fmac_f32_e32 v9, v10, v7
	v_fma_f32 v6, -v6, v9, v8
	v_div_fmas_f32 v6, v6, v7, v9
	v_div_fixup_f32 v5, v6, v1, v5
	v_div_scale_f32 v6, s[72:73], v1, v1, v4
	v_rcp_f32_e32 v7, v6
	s_nop 0
	v_fma_f32 v8, -v6, v7, 1.0
	v_fmac_f32_e32 v7, v8, v7
	v_div_scale_f32 v8, vcc, v4, v1, v4
	v_mul_f32_e32 v9, v8, v7
	v_fma_f32 v10, -v6, v9, v8
	v_fmac_f32_e32 v9, v10, v7
	v_fma_f32 v6, -v6, v9, v8
	v_div_fmas_f32 v6, v6, v7, v9
	v_div_fixup_f32 v4, v6, v1, v4
	v_mov_b32_e32 v1, 0
	global_store_dwordx2 v[2:3], v[4:5], off
.LBB24_356:                             ;   in Loop: Header=BB24_13 Depth=1
	s_or_b64 exec, exec, s[50:51]
	v_cmp_gt_i32_e32 vcc, 50, v1
	s_mov_b64 s[74:75], -1
	s_and_saveexec_b64 s[50:51], vcc
; %bb.357:                              ;   in Loop: Header=BB24_13 Depth=1
	v_cmp_eq_u32_e32 vcc, 0, v1
	s_orn2_b64 s[74:75], vcc, exec
; %bb.358:                              ;   in Loop: Header=BB24_13 Depth=1
	s_or_b64 exec, exec, s[50:51]
	s_mov_b64 s[72:73], s[2:3]
                                        ; implicit-def: $vgpr2_vgpr3
	s_and_saveexec_b64 s[50:51], s[74:75]
	s_cbranch_execz .LBB24_416
; %bb.359:                              ;   in Loop: Header=BB24_13 Depth=1
	v_mov_b32_e32 v1, 50
	s_mov_b64 s[72:73], exec
	v_readlane_b32 s74, v255, 24
	v_readlane_b32 s75, v255, 25
	s_and_b64 s[74:75], s[72:73], s[74:75]
	s_mov_b64 exec, s[74:75]
	s_cbranch_execz .LBB24_361
; %bb.360:                              ;   in Loop: Header=BB24_13 Depth=1
	scratch_load_dword v2, off, off offset:128 ; 4-byte Folded Reload
	v_add_u32_e32 v1, 0x1980, v209
	ds_read_b32 v1, v1 offset:260
	v_readlane_b32 s58, v255, 0
	s_waitcnt vmcnt(0)
	ds_read_b32 v4, v2
	v_mad_u64_u32 v[2:3], s[74:75], s58, v241, v[46:47]
	v_ashrrev_i32_e32 v3, 31, v2
	v_lshl_add_u64 v[2:3], v[2:3], 3, v[90:91]
	s_waitcnt lgkmcnt(0)
	v_cvt_f32_f16_sdwa v5, v4 dst_sel:DWORD dst_unused:UNUSED_PAD src0_sel:WORD_1
	v_cvt_f32_f16_e32 v4, v4
	v_pk_add_f32 v[4:5], v[4:5], 0 op_sel_hi:[1,0]
	s_nop 0
	v_div_scale_f32 v6, s[74:75], v1, v1, v5
	v_rcp_f32_e32 v7, v6
	s_nop 0
	v_fma_f32 v8, -v6, v7, 1.0
	v_fmac_f32_e32 v7, v8, v7
	v_div_scale_f32 v8, vcc, v5, v1, v5
	v_mul_f32_e32 v9, v8, v7
	v_fma_f32 v10, -v6, v9, v8
	v_fmac_f32_e32 v9, v10, v7
	v_fma_f32 v6, -v6, v9, v8
	v_div_fmas_f32 v6, v6, v7, v9
	v_div_fixup_f32 v5, v6, v1, v5
	v_div_scale_f32 v6, s[74:75], v1, v1, v4
	v_rcp_f32_e32 v7, v6
	s_nop 0
	v_fma_f32 v8, -v6, v7, 1.0
	v_fmac_f32_e32 v7, v8, v7
	v_div_scale_f32 v8, vcc, v4, v1, v4
	v_mul_f32_e32 v9, v8, v7
	v_fma_f32 v10, -v6, v9, v8
	v_fmac_f32_e32 v9, v10, v7
	v_fma_f32 v6, -v6, v9, v8
	v_div_fmas_f32 v6, v6, v7, v9
	v_div_fixup_f32 v4, v6, v1, v4
	v_mov_b32_e32 v1, 0
	global_store_dwordx2 v[2:3], v[4:5], off
.LBB24_361:                             ;   in Loop: Header=BB24_13 Depth=1
	;; [unrolled: 63-line block ×3, first 2 shown]
	s_or_b64 exec, exec, s[74:75]
	v_cmp_gt_i32_e32 vcc, 50, v1
	s_mov_b64 s[78:79], -1
	s_and_saveexec_b64 s[74:75], vcc
; %bb.367:                              ;   in Loop: Header=BB24_13 Depth=1
	v_cmp_eq_u32_e32 vcc, 0, v1
	s_orn2_b64 s[78:79], vcc, exec
; %bb.368:                              ;   in Loop: Header=BB24_13 Depth=1
	s_or_b64 exec, exec, s[74:75]
	s_mov_b64 s[76:77], s[2:3]
                                        ; implicit-def: $vgpr2_vgpr3
	s_and_saveexec_b64 s[74:75], s[78:79]
	s_cbranch_execz .LBB24_414
; %bb.369:                              ;   in Loop: Header=BB24_13 Depth=1
	v_mov_b32_e32 v1, 50
	s_mov_b64 s[76:77], exec
	v_readlane_b32 s78, v255, 28
	v_readlane_b32 s79, v255, 29
	s_and_b64 s[78:79], s[76:77], s[78:79]
	s_mov_b64 exec, s[78:79]
	s_cbranch_execz .LBB24_371
; %bb.370:                              ;   in Loop: Header=BB24_13 Depth=1
	scratch_load_dword v1, off, off offset:140 ; 4-byte Folded Reload
	scratch_load_dword v2, off, off offset:144 ; 4-byte Folded Reload
	v_readlane_b32 s58, v255, 0
	s_waitcnt vmcnt(1)
	ds_read_b32 v1, v1 offset:260
	s_waitcnt vmcnt(0)
	ds_read_b32 v4, v2
	v_mad_u64_u32 v[2:3], s[78:79], s58, v212, v[46:47]
	v_ashrrev_i32_e32 v3, 31, v2
	v_lshl_add_u64 v[2:3], v[2:3], 3, v[90:91]
	s_waitcnt lgkmcnt(0)
	v_cvt_f32_f16_sdwa v5, v4 dst_sel:DWORD dst_unused:UNUSED_PAD src0_sel:WORD_1
	v_cvt_f32_f16_e32 v4, v4
	v_pk_add_f32 v[4:5], v[4:5], 0 op_sel_hi:[1,0]
	s_nop 0
	v_div_scale_f32 v6, s[78:79], v1, v1, v5
	v_rcp_f32_e32 v7, v6
	s_nop 0
	v_fma_f32 v8, -v6, v7, 1.0
	v_fmac_f32_e32 v7, v8, v7
	v_div_scale_f32 v8, vcc, v5, v1, v5
	v_mul_f32_e32 v9, v8, v7
	v_fma_f32 v10, -v6, v9, v8
	v_fmac_f32_e32 v9, v10, v7
	v_fma_f32 v6, -v6, v9, v8
	v_div_fmas_f32 v6, v6, v7, v9
	v_div_fixup_f32 v5, v6, v1, v5
	v_div_scale_f32 v6, s[78:79], v1, v1, v4
	v_rcp_f32_e32 v7, v6
	s_nop 0
	v_fma_f32 v8, -v6, v7, 1.0
	v_fmac_f32_e32 v7, v8, v7
	v_div_scale_f32 v8, vcc, v4, v1, v4
	v_mul_f32_e32 v9, v8, v7
	v_fma_f32 v10, -v6, v9, v8
	v_fmac_f32_e32 v9, v10, v7
	v_fma_f32 v6, -v6, v9, v8
	v_div_fmas_f32 v6, v6, v7, v9
	v_div_fixup_f32 v4, v6, v1, v4
	v_mov_b32_e32 v1, 0
	global_store_dwordx2 v[2:3], v[4:5], off
.LBB24_371:                             ;   in Loop: Header=BB24_13 Depth=1
	s_or_b64 exec, exec, s[76:77]
	v_cmp_gt_i32_e32 vcc, 50, v1
	s_mov_b64 s[80:81], -1
	s_and_saveexec_b64 s[76:77], vcc
; %bb.372:                              ;   in Loop: Header=BB24_13 Depth=1
	v_cmp_eq_u32_e32 vcc, 0, v1
	s_orn2_b64 s[80:81], vcc, exec
; %bb.373:                              ;   in Loop: Header=BB24_13 Depth=1
	s_or_b64 exec, exec, s[76:77]
	s_mov_b64 s[78:79], s[2:3]
                                        ; implicit-def: $vgpr2_vgpr3
	s_and_saveexec_b64 s[76:77], s[80:81]
	s_cbranch_execz .LBB24_413
; %bb.374:                              ;   in Loop: Header=BB24_13 Depth=1
	v_mov_b32_e32 v1, 50
	s_mov_b64 s[78:79], exec
	v_readlane_b32 s80, v255, 30
	v_readlane_b32 s81, v255, 31
	s_and_b64 s[80:81], s[78:79], s[80:81]
	s_mov_b64 exec, s[80:81]
	s_cbranch_execz .LBB24_376
; %bb.375:                              ;   in Loop: Header=BB24_13 Depth=1
	scratch_load_dword v2, off, off offset:148 ; 4-byte Folded Reload
	v_add_u32_e32 v1, 0x2640, v209
	ds_read_b32 v1, v1 offset:260
	v_readlane_b32 s58, v255, 0
	s_waitcnt vmcnt(0)
	ds_read_b32 v4, v2
	v_mad_u64_u32 v[2:3], s[80:81], s58, v47, v[46:47]
	v_ashrrev_i32_e32 v3, 31, v2
	v_lshl_add_u64 v[2:3], v[2:3], 3, v[90:91]
	s_waitcnt lgkmcnt(0)
	v_cvt_f32_f16_sdwa v5, v4 dst_sel:DWORD dst_unused:UNUSED_PAD src0_sel:WORD_1
	v_cvt_f32_f16_e32 v4, v4
	v_pk_add_f32 v[4:5], v[4:5], 0 op_sel_hi:[1,0]
	s_nop 0
	v_div_scale_f32 v6, s[80:81], v1, v1, v5
	v_rcp_f32_e32 v7, v6
	s_nop 0
	v_fma_f32 v8, -v6, v7, 1.0
	v_fmac_f32_e32 v7, v8, v7
	v_div_scale_f32 v8, vcc, v5, v1, v5
	v_mul_f32_e32 v9, v8, v7
	v_fma_f32 v10, -v6, v9, v8
	v_fmac_f32_e32 v9, v10, v7
	v_fma_f32 v6, -v6, v9, v8
	v_div_fmas_f32 v6, v6, v7, v9
	v_div_fixup_f32 v5, v6, v1, v5
	v_div_scale_f32 v6, s[80:81], v1, v1, v4
	v_rcp_f32_e32 v7, v6
	s_nop 0
	v_fma_f32 v8, -v6, v7, 1.0
	v_fmac_f32_e32 v7, v8, v7
	v_div_scale_f32 v8, vcc, v4, v1, v4
	v_mul_f32_e32 v9, v8, v7
	v_fma_f32 v10, -v6, v9, v8
	v_fmac_f32_e32 v9, v10, v7
	v_fma_f32 v6, -v6, v9, v8
	v_div_fmas_f32 v6, v6, v7, v9
	v_div_fixup_f32 v4, v6, v1, v4
	v_mov_b32_e32 v1, 0
	global_store_dwordx2 v[2:3], v[4:5], off
.LBB24_376:                             ;   in Loop: Header=BB24_13 Depth=1
	s_or_b64 exec, exec, s[78:79]
	v_cmp_gt_i32_e32 vcc, 50, v1
	s_mov_b64 s[82:83], -1
	s_and_saveexec_b64 s[78:79], vcc
; %bb.377:                              ;   in Loop: Header=BB24_13 Depth=1
	v_cmp_eq_u32_e32 vcc, 0, v1
	s_orn2_b64 s[82:83], vcc, exec
; %bb.378:                              ;   in Loop: Header=BB24_13 Depth=1
	s_or_b64 exec, exec, s[78:79]
	s_mov_b64 s[80:81], s[2:3]
                                        ; implicit-def: $vgpr2_vgpr3
	s_and_saveexec_b64 s[78:79], s[82:83]
	s_cbranch_execz .LBB24_412
; %bb.379:                              ;   in Loop: Header=BB24_13 Depth=1
	v_mov_b32_e32 v1, 50
	s_mov_b64 s[80:81], exec
	v_readlane_b32 s82, v255, 32
	v_readlane_b32 s83, v255, 33
	s_and_b64 s[82:83], s[80:81], s[82:83]
	s_mov_b64 exec, s[82:83]
	s_cbranch_execz .LBB24_381
; %bb.380:                              ;   in Loop: Header=BB24_13 Depth=1
	scratch_load_dword v2, off, off offset:152 ; 4-byte Folded Reload
	v_add_u32_e32 v1, 0x2a80, v209
	ds_read_b32 v1, v1 offset:260
	v_readlane_b32 s58, v255, 0
	s_waitcnt vmcnt(0)
	ds_read_b32 v4, v2
	v_mad_u64_u32 v[2:3], s[82:83], s58, v214, v[46:47]
	v_ashrrev_i32_e32 v3, 31, v2
	v_lshl_add_u64 v[2:3], v[2:3], 3, v[90:91]
	s_waitcnt lgkmcnt(0)
	v_cvt_f32_f16_sdwa v5, v4 dst_sel:DWORD dst_unused:UNUSED_PAD src0_sel:WORD_1
	v_cvt_f32_f16_e32 v4, v4
	v_pk_add_f32 v[4:5], v[4:5], 0 op_sel_hi:[1,0]
	s_nop 0
	v_div_scale_f32 v6, s[82:83], v1, v1, v5
	v_rcp_f32_e32 v7, v6
	s_nop 0
	v_fma_f32 v8, -v6, v7, 1.0
	v_fmac_f32_e32 v7, v8, v7
	v_div_scale_f32 v8, vcc, v5, v1, v5
	v_mul_f32_e32 v9, v8, v7
	v_fma_f32 v10, -v6, v9, v8
	v_fmac_f32_e32 v9, v10, v7
	v_fma_f32 v6, -v6, v9, v8
	v_div_fmas_f32 v6, v6, v7, v9
	v_div_fixup_f32 v5, v6, v1, v5
	v_div_scale_f32 v6, s[82:83], v1, v1, v4
	v_rcp_f32_e32 v7, v6
	s_nop 0
	v_fma_f32 v8, -v6, v7, 1.0
	v_fmac_f32_e32 v7, v8, v7
	v_div_scale_f32 v8, vcc, v4, v1, v4
	v_mul_f32_e32 v9, v8, v7
	v_fma_f32 v10, -v6, v9, v8
	v_fmac_f32_e32 v9, v10, v7
	v_fma_f32 v6, -v6, v9, v8
	v_div_fmas_f32 v6, v6, v7, v9
	v_div_fixup_f32 v4, v6, v1, v4
	v_mov_b32_e32 v1, 0
	global_store_dwordx2 v[2:3], v[4:5], off
.LBB24_381:                             ;   in Loop: Header=BB24_13 Depth=1
	;; [unrolled: 63-line block ×3, first 2 shown]
	s_or_b64 exec, exec, s[82:83]
	v_cmp_gt_i32_e32 vcc, 50, v1
	s_mov_b64 s[86:87], -1
	s_and_saveexec_b64 s[82:83], vcc
; %bb.387:                              ;   in Loop: Header=BB24_13 Depth=1
	v_cmp_eq_u32_e32 vcc, 0, v1
	s_orn2_b64 s[86:87], vcc, exec
; %bb.388:                              ;   in Loop: Header=BB24_13 Depth=1
	s_or_b64 exec, exec, s[82:83]
	s_mov_b64 s[84:85], s[2:3]
                                        ; implicit-def: $vgpr2_vgpr3
	s_and_saveexec_b64 s[82:83], s[86:87]
	s_cbranch_execz .LBB24_410
; %bb.389:                              ;   in Loop: Header=BB24_13 Depth=1
	v_mov_b32_e32 v1, 50
	s_mov_b64 s[84:85], exec
	v_readlane_b32 s86, v255, 36
	v_readlane_b32 s87, v255, 37
	s_and_b64 s[86:87], s[84:85], s[86:87]
	s_mov_b64 exec, s[86:87]
	s_cbranch_execz .LBB24_391
; %bb.390:                              ;   in Loop: Header=BB24_13 Depth=1
	scratch_load_dword v1, off, off offset:164 ; 4-byte Folded Reload
	scratch_load_dword v2, off, off offset:168 ; 4-byte Folded Reload
	v_readlane_b32 s58, v255, 0
	s_waitcnt vmcnt(1)
	ds_read_b32 v1, v1 offset:260
	s_waitcnt vmcnt(0)
	ds_read_b32 v4, v2
	v_mad_u64_u32 v[2:3], s[86:87], s58, v205, v[46:47]
	v_ashrrev_i32_e32 v3, 31, v2
	v_lshl_add_u64 v[2:3], v[2:3], 3, v[90:91]
	s_waitcnt lgkmcnt(0)
	v_cvt_f32_f16_sdwa v5, v4 dst_sel:DWORD dst_unused:UNUSED_PAD src0_sel:WORD_1
	v_cvt_f32_f16_e32 v4, v4
	v_pk_add_f32 v[4:5], v[4:5], 0 op_sel_hi:[1,0]
	s_nop 0
	v_div_scale_f32 v6, s[86:87], v1, v1, v5
	v_rcp_f32_e32 v7, v6
	s_nop 0
	v_fma_f32 v8, -v6, v7, 1.0
	v_fmac_f32_e32 v7, v8, v7
	v_div_scale_f32 v8, vcc, v5, v1, v5
	v_mul_f32_e32 v9, v8, v7
	v_fma_f32 v10, -v6, v9, v8
	v_fmac_f32_e32 v9, v10, v7
	v_fma_f32 v6, -v6, v9, v8
	v_div_fmas_f32 v6, v6, v7, v9
	v_div_fixup_f32 v5, v6, v1, v5
	v_div_scale_f32 v6, s[86:87], v1, v1, v4
	v_rcp_f32_e32 v7, v6
	s_nop 0
	v_fma_f32 v8, -v6, v7, 1.0
	v_fmac_f32_e32 v7, v8, v7
	v_div_scale_f32 v8, vcc, v4, v1, v4
	v_mul_f32_e32 v9, v8, v7
	v_fma_f32 v10, -v6, v9, v8
	v_fmac_f32_e32 v9, v10, v7
	v_fma_f32 v6, -v6, v9, v8
	v_div_fmas_f32 v6, v6, v7, v9
	v_div_fixup_f32 v4, v6, v1, v4
	v_mov_b32_e32 v1, 0
	global_store_dwordx2 v[2:3], v[4:5], off
.LBB24_391:                             ;   in Loop: Header=BB24_13 Depth=1
	s_or_b64 exec, exec, s[84:85]
	v_cmp_gt_i32_e32 vcc, 50, v1
	s_mov_b64 s[88:89], -1
	s_and_saveexec_b64 s[84:85], vcc
; %bb.392:                              ;   in Loop: Header=BB24_13 Depth=1
	v_cmp_eq_u32_e32 vcc, 0, v1
	s_orn2_b64 s[88:89], vcc, exec
; %bb.393:                              ;   in Loop: Header=BB24_13 Depth=1
	s_or_b64 exec, exec, s[84:85]
	s_mov_b64 s[86:87], s[2:3]
                                        ; implicit-def: $vgpr2_vgpr3
	s_and_saveexec_b64 s[84:85], s[88:89]
	s_cbranch_execz .LBB24_409
; %bb.394:                              ;   in Loop: Header=BB24_13 Depth=1
	v_mov_b32_e32 v1, 50
	s_mov_b64 s[86:87], exec
	v_readlane_b32 s88, v255, 38
	v_readlane_b32 s89, v255, 39
	s_and_b64 s[88:89], s[86:87], s[88:89]
	s_mov_b64 exec, s[88:89]
	s_cbranch_execz .LBB24_396
; %bb.395:                              ;   in Loop: Header=BB24_13 Depth=1
	scratch_load_dword v2, off, off offset:172 ; 4-byte Folded Reload
	v_add_u32_e32 v1, 0x3740, v209
	ds_read_b32 v1, v1 offset:260
	v_readlane_b32 s58, v255, 0
	s_waitcnt vmcnt(0)
	ds_read_b32 v4, v2
	v_mad_u64_u32 v[2:3], s[88:89], s58, v206, v[46:47]
	v_ashrrev_i32_e32 v3, 31, v2
	v_lshl_add_u64 v[2:3], v[2:3], 3, v[90:91]
	s_waitcnt lgkmcnt(0)
	v_cvt_f32_f16_sdwa v5, v4 dst_sel:DWORD dst_unused:UNUSED_PAD src0_sel:WORD_1
	v_cvt_f32_f16_e32 v4, v4
	v_pk_add_f32 v[4:5], v[4:5], 0 op_sel_hi:[1,0]
	s_nop 0
	v_div_scale_f32 v6, s[88:89], v1, v1, v5
	v_rcp_f32_e32 v7, v6
	s_nop 0
	v_fma_f32 v8, -v6, v7, 1.0
	v_fmac_f32_e32 v7, v8, v7
	v_div_scale_f32 v8, vcc, v5, v1, v5
	v_mul_f32_e32 v9, v8, v7
	v_fma_f32 v10, -v6, v9, v8
	v_fmac_f32_e32 v9, v10, v7
	v_fma_f32 v6, -v6, v9, v8
	v_div_fmas_f32 v6, v6, v7, v9
	v_div_fixup_f32 v5, v6, v1, v5
	v_div_scale_f32 v6, s[88:89], v1, v1, v4
	v_rcp_f32_e32 v7, v6
	s_nop 0
	v_fma_f32 v8, -v6, v7, 1.0
	v_fmac_f32_e32 v7, v8, v7
	v_div_scale_f32 v8, vcc, v4, v1, v4
	v_mul_f32_e32 v9, v8, v7
	v_fma_f32 v10, -v6, v9, v8
	v_fmac_f32_e32 v9, v10, v7
	v_fma_f32 v6, -v6, v9, v8
	v_div_fmas_f32 v6, v6, v7, v9
	v_div_fixup_f32 v4, v6, v1, v4
	v_mov_b32_e32 v1, 0
	global_store_dwordx2 v[2:3], v[4:5], off
.LBB24_396:                             ;   in Loop: Header=BB24_13 Depth=1
	s_or_b64 exec, exec, s[86:87]
	v_cmp_gt_i32_e32 vcc, 50, v1
	s_mov_b64 s[90:91], -1
	s_and_saveexec_b64 s[86:87], vcc
; %bb.397:                              ;   in Loop: Header=BB24_13 Depth=1
	v_cmp_eq_u32_e32 vcc, 0, v1
	s_orn2_b64 s[90:91], vcc, exec
; %bb.398:                              ;   in Loop: Header=BB24_13 Depth=1
	s_or_b64 exec, exec, s[86:87]
	s_mov_b64 s[88:89], s[2:3]
                                        ; implicit-def: $vgpr2_vgpr3
	s_and_saveexec_b64 s[86:87], s[90:91]
	s_cbranch_execz .LBB24_408
; %bb.399:                              ;   in Loop: Header=BB24_13 Depth=1
	v_mov_b32_e32 v1, 50
	s_mov_b64 s[88:89], exec
	v_readlane_b32 s90, v255, 40
	v_readlane_b32 s91, v255, 41
	s_and_b64 s[90:91], s[88:89], s[90:91]
	s_mov_b64 exec, s[90:91]
	s_cbranch_execz .LBB24_401
; %bb.400:                              ;   in Loop: Header=BB24_13 Depth=1
	scratch_load_dword v2, off, off offset:176 ; 4-byte Folded Reload
	v_add_u32_e32 v1, 0x3b80, v209
	ds_read_b32 v1, v1 offset:260
	v_readlane_b32 s58, v255, 0
	s_waitcnt vmcnt(0)
	ds_read_b32 v4, v2
	v_mad_u64_u32 v[2:3], s[90:91], s58, v207, v[46:47]
	v_ashrrev_i32_e32 v3, 31, v2
	v_lshl_add_u64 v[2:3], v[2:3], 3, v[90:91]
	s_waitcnt lgkmcnt(0)
	v_cvt_f32_f16_sdwa v5, v4 dst_sel:DWORD dst_unused:UNUSED_PAD src0_sel:WORD_1
	v_cvt_f32_f16_e32 v4, v4
	v_pk_add_f32 v[4:5], v[4:5], 0 op_sel_hi:[1,0]
	s_nop 0
	v_div_scale_f32 v6, s[90:91], v1, v1, v5
	v_rcp_f32_e32 v7, v6
	s_nop 0
	v_fma_f32 v8, -v6, v7, 1.0
	v_fmac_f32_e32 v7, v8, v7
	v_div_scale_f32 v8, vcc, v5, v1, v5
	v_mul_f32_e32 v9, v8, v7
	v_fma_f32 v10, -v6, v9, v8
	v_fmac_f32_e32 v9, v10, v7
	v_fma_f32 v6, -v6, v9, v8
	v_div_fmas_f32 v6, v6, v7, v9
	v_div_fixup_f32 v5, v6, v1, v5
	v_div_scale_f32 v6, s[90:91], v1, v1, v4
	v_rcp_f32_e32 v7, v6
	s_nop 0
	v_fma_f32 v8, -v6, v7, 1.0
	v_fmac_f32_e32 v7, v8, v7
	v_div_scale_f32 v8, vcc, v4, v1, v4
	v_mul_f32_e32 v9, v8, v7
	v_fma_f32 v10, -v6, v9, v8
	v_fmac_f32_e32 v9, v10, v7
	v_fma_f32 v6, -v6, v9, v8
	v_div_fmas_f32 v6, v6, v7, v9
	v_div_fixup_f32 v4, v6, v1, v4
	v_mov_b32_e32 v1, 0
	global_store_dwordx2 v[2:3], v[4:5], off
.LBB24_401:                             ;   in Loop: Header=BB24_13 Depth=1
	s_or_b64 exec, exec, s[88:89]
	v_cmp_gt_i32_e32 vcc, 50, v1
	s_mov_b64 s[92:93], -1
	s_and_saveexec_b64 s[88:89], vcc
; %bb.402:                              ;   in Loop: Header=BB24_13 Depth=1
	v_cmp_eq_u32_e32 vcc, 0, v1
	s_orn2_b64 s[92:93], vcc, exec
; %bb.403:                              ;   in Loop: Header=BB24_13 Depth=1
	s_or_b64 exec, exec, s[88:89]
	s_mov_b64 s[90:91], s[2:3]
                                        ; implicit-def: $vgpr2_vgpr3
	s_and_saveexec_b64 s[88:89], s[92:93]
	s_cbranch_execz .LBB24_407
; %bb.404:                              ;   in Loop: Header=BB24_13 Depth=1
	s_mov_b64 s[92:93], s[2:3]
                                        ; implicit-def: $vgpr2_vgpr3
	s_mov_b64 s[90:91], exec
	v_readlane_b32 s94, v255, 42
	v_readlane_b32 s95, v255, 43
	s_and_b64 s[94:95], s[90:91], s[94:95]
	s_mov_b64 exec, s[94:95]
	s_cbranch_execz .LBB24_406
; %bb.405:                              ;   in Loop: Header=BB24_13 Depth=1
	scratch_load_dword v2, off, off offset:180 ; 4-byte Folded Reload
	v_add_u32_e32 v1, 0x3fc0, v209
	ds_read_b32 v1, v1 offset:260
	s_waitcnt vmcnt(0)
	ds_read_b32 v2, v2
	s_waitcnt lgkmcnt(0)
	v_cvt_f32_f16_sdwa v3, v2 dst_sel:DWORD dst_unused:UNUSED_PAD src0_sel:WORD_1
	v_cvt_f32_f16_e32 v2, v2
	v_pk_add_f32 v[2:3], v[2:3], 0 op_sel_hi:[1,0]
	s_nop 0
	v_div_scale_f32 v4, s[92:93], v1, v1, v3
	v_rcp_f32_e32 v5, v4
	s_nop 0
	v_fma_f32 v6, -v4, v5, 1.0
	v_fmac_f32_e32 v5, v6, v5
	v_div_scale_f32 v6, vcc, v3, v1, v3
	v_mul_f32_e32 v7, v6, v5
	v_fma_f32 v8, -v4, v7, v6
	v_fmac_f32_e32 v7, v8, v5
	v_fma_f32 v4, -v4, v7, v6
	v_div_fmas_f32 v4, v4, v5, v7
	v_div_fixup_f32 v3, v4, v1, v3
	v_div_scale_f32 v4, s[92:93], v1, v1, v2
	v_rcp_f32_e32 v5, v4
	s_or_b64 s[92:93], s[2:3], exec
	v_fma_f32 v6, -v4, v5, 1.0
	v_fmac_f32_e32 v5, v6, v5
	v_div_scale_f32 v6, vcc, v2, v1, v2
	v_mul_f32_e32 v7, v6, v5
	v_fma_f32 v8, -v4, v7, v6
	v_fmac_f32_e32 v7, v8, v5
	v_fma_f32 v4, -v4, v7, v6
	v_div_fmas_f32 v4, v4, v5, v7
	v_div_fixup_f32 v2, v4, v1, v2
.LBB24_406:                             ;   in Loop: Header=BB24_13 Depth=1
	s_or_b64 exec, exec, s[90:91]
	s_andn2_b64 s[90:91], s[2:3], exec
	s_and_b64 s[92:93], s[92:93], exec
	s_or_b64 s[90:91], s[90:91], s[92:93]
	v_readlane_b32 s94, v255, 10
	v_readlane_b32 s95, v255, 11
.LBB24_407:                             ;   in Loop: Header=BB24_13 Depth=1
	s_or_b64 exec, exec, s[88:89]
	s_andn2_b64 s[88:89], s[2:3], exec
	s_and_b64 s[90:91], s[90:91], exec
	s_or_b64 s[88:89], s[88:89], s[90:91]
.LBB24_408:                             ;   in Loop: Header=BB24_13 Depth=1
	s_or_b64 exec, exec, s[86:87]
	s_andn2_b64 s[86:87], s[2:3], exec
	s_and_b64 s[88:89], s[88:89], exec
	s_or_b64 s[86:87], s[86:87], s[88:89]
.LBB24_409:                             ;   in Loop: Header=BB24_13 Depth=1
	s_or_b64 exec, exec, s[84:85]
	s_andn2_b64 s[84:85], s[2:3], exec
	s_and_b64 s[86:87], s[86:87], exec
	s_or_b64 s[84:85], s[84:85], s[86:87]
.LBB24_410:                             ;   in Loop: Header=BB24_13 Depth=1
	s_or_b64 exec, exec, s[82:83]
	s_andn2_b64 s[82:83], s[2:3], exec
	s_and_b64 s[84:85], s[84:85], exec
	s_or_b64 s[82:83], s[82:83], s[84:85]
.LBB24_411:                             ;   in Loop: Header=BB24_13 Depth=1
	s_or_b64 exec, exec, s[80:81]
	s_andn2_b64 s[80:81], s[2:3], exec
	s_and_b64 s[82:83], s[82:83], exec
	s_or_b64 s[80:81], s[80:81], s[82:83]
.LBB24_412:                             ;   in Loop: Header=BB24_13 Depth=1
	s_or_b64 exec, exec, s[78:79]
	s_andn2_b64 s[78:79], s[2:3], exec
	s_and_b64 s[80:81], s[80:81], exec
	s_or_b64 s[78:79], s[78:79], s[80:81]
.LBB24_413:                             ;   in Loop: Header=BB24_13 Depth=1
	s_or_b64 exec, exec, s[76:77]
	s_andn2_b64 s[76:77], s[2:3], exec
	s_and_b64 s[78:79], s[78:79], exec
	s_or_b64 s[76:77], s[76:77], s[78:79]
.LBB24_414:                             ;   in Loop: Header=BB24_13 Depth=1
	s_or_b64 exec, exec, s[74:75]
	s_andn2_b64 s[74:75], s[2:3], exec
	s_and_b64 s[76:77], s[76:77], exec
	s_or_b64 s[74:75], s[74:75], s[76:77]
.LBB24_415:                             ;   in Loop: Header=BB24_13 Depth=1
	s_or_b64 exec, exec, s[72:73]
	s_andn2_b64 s[72:73], s[2:3], exec
	s_and_b64 s[74:75], s[74:75], exec
	s_or_b64 s[72:73], s[72:73], s[74:75]
.LBB24_416:                             ;   in Loop: Header=BB24_13 Depth=1
	s_or_b64 exec, exec, s[50:51]
	s_andn2_b64 s[50:51], s[2:3], exec
	s_and_b64 s[72:73], s[72:73], exec
	s_or_b64 s[50:51], s[50:51], s[72:73]
.LBB24_417:                             ;   in Loop: Header=BB24_13 Depth=1
	s_or_b64 exec, exec, s[46:47]
	s_andn2_b64 s[46:47], s[2:3], exec
	s_and_b64 s[50:51], s[50:51], exec
	s_or_b64 s[46:47], s[46:47], s[50:51]
.LBB24_418:                             ;   in Loop: Header=BB24_13 Depth=1
	s_or_b64 exec, exec, s[44:45]
	s_andn2_b64 s[44:45], s[2:3], exec
	s_and_b64 s[46:47], s[46:47], exec
	s_or_b64 s[44:45], s[44:45], s[46:47]
.LBB24_419:                             ;   in Loop: Header=BB24_13 Depth=1
	s_or_b64 exec, exec, s[42:43]
	s_andn2_b64 s[42:43], s[2:3], exec
	s_and_b64 s[44:45], s[44:45], exec
	s_or_b64 s[42:43], s[42:43], s[44:45]
.LBB24_420:                             ;   in Loop: Header=BB24_13 Depth=1
	s_or_b64 exec, exec, s[40:41]
	s_andn2_b64 s[2:3], s[2:3], exec
	s_and_b64 s[40:41], s[42:43], exec
	s_or_b64 s[2:3], s[2:3], s[40:41]
.LBB24_421:                             ;   in Loop: Header=BB24_13 Depth=1
	s_or_b64 exec, exec, s[38:39]
.LBB24_422:                             ;   in Loop: Header=BB24_13 Depth=1
	s_and_saveexec_b64 s[38:39], s[2:3]
	s_cbranch_execz .LBB24_12
; %bb.423:                              ;   in Loop: Header=BB24_13 Depth=1
	v_readlane_b32 s2, v255, 0
	s_nop 1
	v_mad_u64_u32 v[4:5], s[2:3], s2, v213, v[46:47]
	v_ashrrev_i32_e32 v5, 31, v4
	v_lshl_add_u64 v[4:5], v[4:5], 3, v[90:91]
	global_store_dwordx2 v[4:5], v[2:3], off
	s_branch .LBB24_12
.LBB24_424:
	s_andn2_b64 vcc, exec, s[2:3]
	s_cbranch_vccnz .LBB24_557
; %bb.425:
	v_readlane_b32 s6, v254, 7
	s_abs_i32 s0, s6
	v_cvt_f32_u32_e32 v0, s0
	s_sub_i32 s3, 0, s0
	s_abs_i32 s2, s98
	s_xor_b32 s1, s98, s6
	v_rcp_iflag_f32_e32 v0, v0
	s_ashr_i32 s1, s1, 31
	v_readlane_b32 s8, v254, 6
	v_readlane_b32 s9, v254, 3
	v_mul_f32_e32 v0, 0x4f7ffffe, v0
	v_cvt_u32_f32_e32 v0, v0
	v_readlane_b32 s12, v254, 30
	v_readlane_b32 s18, v254, 36
	;; [unrolled: 1-line block ×3, first 2 shown]
	v_readfirstlane_b32 s4, v0
	s_mul_i32 s3, s3, s4
	s_mul_hi_u32 s3, s4, s3
	s_add_i32 s4, s4, s3
	s_mul_hi_u32 s3, s2, s4
	s_mul_i32 s4, s3, s0
	s_sub_i32 s2, s2, s4
	s_add_i32 s5, s3, 1
	s_sub_i32 s4, s2, s0
	s_cmp_ge_u32 s2, s0
	s_cselect_b32 s3, s5, s3
	s_cselect_b32 s2, s4, s2
	s_add_i32 s4, s3, 1
	s_cmp_ge_u32 s2, s0
	s_cselect_b32 s0, s4, s3
	s_abs_i32 s2, s8
	v_cvt_f32_u32_e32 v0, s2
	s_xor_b32 s0, s0, s1
	s_sub_i32 s4, s0, s1
	s_sub_i32 s3, 0, s2
	v_rcp_iflag_f32_e32 v0, v0
	s_mul_i32 s0, s4, s6
	s_sub_i32 s0, s98, s0
	s_abs_i32 s5, s0
	v_mul_f32_e32 v0, 0x4f7ffffe, v0
	v_cvt_u32_f32_e32 v0, v0
	s_xor_b32 s1, s0, s8
	s_ashr_i32 s1, s1, 31
	s_mov_b64 s[42:43], 0
	v_readfirstlane_b32 s6, v0
	s_mul_i32 s3, s3, s6
	s_mul_hi_u32 s3, s6, s3
	s_add_i32 s6, s6, s3
	s_mul_hi_u32 s3, s5, s6
	s_mul_i32 s6, s3, s2
	s_sub_i32 s5, s5, s6
	s_add_i32 s7, s3, 1
	s_sub_i32 s6, s5, s2
	s_cmp_ge_u32 s5, s2
	s_cselect_b32 s3, s7, s3
	s_cselect_b32 s5, s6, s5
	s_add_i32 s6, s3, 1
	s_cmp_ge_u32 s5, s2
	s_cselect_b32 s2, s6, s3
	s_abs_i32 s3, s9
	v_cvt_f32_u32_e32 v0, s3
	s_xor_b32 s2, s2, s1
	s_sub_i32 s6, 0, s3
	s_sub_i32 s5, s2, s1
	v_rcp_iflag_f32_e32 v0, v0
	s_mul_i32 s1, s5, s8
	s_sub_i32 s1, s0, s1
	s_abs_i32 s2, s1
	v_mul_f32_e32 v0, 0x4f7ffffe, v0
	v_cvt_u32_f32_e32 v0, v0
	s_xor_b32 s0, s1, s9
	s_ashr_i32 s0, s0, 31
	v_readlane_b32 s13, v254, 31
	v_readfirstlane_b32 s7, v0
	s_mul_i32 s6, s6, s7
	s_mul_hi_u32 s6, s7, s6
	s_add_i32 s7, s7, s6
	s_mul_hi_u32 s6, s2, s7
	s_mul_i32 s7, s6, s3
	s_sub_i32 s2, s2, s7
	s_add_i32 s8, s6, 1
	s_sub_i32 s7, s2, s3
	s_cmp_ge_u32 s2, s3
	s_cselect_b32 s6, s8, s6
	s_cselect_b32 s2, s7, s2
	s_add_i32 s7, s6, 1
	s_cmp_ge_u32 s2, s3
	s_cselect_b32 s2, s7, s6
	s_xor_b32 s2, s2, s0
	s_sub_i32 s0, s2, s0
	s_mul_i32 s2, s0, s9
	s_sub_i32 s1, s1, s2
	s_abs_i32 s8, s1
	v_readlane_b32 s2, v254, 28
	s_ashr_i32 s6, s4, 31
	s_mul_hi_u32 s7, s8, s2
	s_cmp_eq_u64 s[18:19], 0
	v_readlane_b32 s14, v254, 32
	v_readlane_b32 s15, v254, 33
	;; [unrolled: 1-line block ×12, first 2 shown]
	s_cbranch_scc1 .LBB24_427
; %bb.426:
	s_abs_i32 s2, s94
	v_cvt_f32_u32_e32 v0, s2
	s_sub_i32 s9, 0, s2
	s_abs_i32 s3, s4
	v_readlane_b32 s12, v254, 19
	v_rcp_iflag_f32_e32 v0, v0
	v_readlane_b32 s13, v254, 20
	v_mul_f32_e32 v0, 0x4f7ffffe, v0
	v_cvt_u32_f32_e32 v0, v0
	s_nop 0
	v_readfirstlane_b32 s10, v0
	s_mul_i32 s9, s9, s10
	s_mul_hi_u32 s9, s10, s9
	s_add_i32 s10, s10, s9
	s_mul_hi_u32 s9, s3, s10
	s_mul_i32 s9, s9, s2
	s_sub_i32 s3, s3, s9
	s_sub_i32 s9, s3, s2
	s_cmp_ge_u32 s3, s2
	s_cselect_b32 s3, s9, s3
	s_sub_i32 s9, s3, s2
	s_cmp_ge_u32 s3, s2
	s_cselect_b32 s2, s9, s3
	s_xor_b32 s2, s2, s6
	s_sub_i32 s2, s2, s6
	s_ashr_i32 s3, s2, 31
	s_mul_hi_u32 s9, s12, s2
	s_mul_i32 s3, s12, s3
	s_mul_i32 s10, s13, s2
	s_add_i32 s3, s9, s3
	s_add_i32 s3, s3, s10
	s_mul_i32 s2, s12, s2
	s_add_u32 s42, s18, s2
	s_addc_u32 s43, s19, s3
.LBB24_427:
	s_ashr_i32 s10, s1, 31
	v_readlane_b32 s1, v254, 2
	s_mul_i32 s9, s5, s1
	s_add_i32 s9, s9, s0
	v_readlane_b32 s0, v254, 46
	v_readlane_b32 s1, v254, 47
	;; [unrolled: 1-line block ×4, first 2 shown]
	v_cmp_le_f32_e64 s[0:1], s1, 0
	s_and_b64 vcc, exec, s[0:1]
	v_mov_b32_e32 v46, 1.0
	s_cbranch_vccnz .LBB24_429
; %bb.428:
	v_readlane_b32 s0, v254, 16
	v_mov_b32_e32 v1, s3
	v_mov_b32_e32 v2, s2
	;; [unrolled: 1-line block ×3, first 2 shown]
	v_sub_co_u32_e32 v0, vcc, s9, v0
	s_add_i32 s0, s9, 1
	v_lshlrev_b32_e32 v0, 1, v0
	v_cndmask_b32_e32 v1, v1, v2, vcc
	v_or_b32_e32 v0, 1, v0
	v_mov_b32_e32 v2, s0
	v_cndmask_b32_e32 v0, v0, v2, vcc
	v_cvt_f32_i32_e32 v0, v0
	v_cmp_neq_f32_e32 vcc, 1.0, v1
	s_mov_b32 s0, 0x3f2aaaab
	s_movk_i32 s2, 0x204
	v_cndmask_b32_e32 v16, 1.0, v0, vcc
	v_cmp_neq_f32_e32 vcc, 0, v16
	s_mov_b32 s1, 0x42b17218
	s_mov_b32 s3, 0x3fb8aa3b
	v_cndmask_b32_e32 v17, 1.0, v1, vcc
	v_frexp_mant_f32_e64 v0, |v17|
	v_cmp_gt_f32_e32 vcc, s0, v0
	s_mov_b32 s0, 0x3f317218
	s_brev_b32 s11, -2
	v_cndmask_b32_e64 v1, 1.0, 2.0, vcc
	v_mul_f32_e32 v0, v0, v1
	v_add_f32_e32 v3, 1.0, v0
	v_rcp_f32_e32 v8, v3
	v_add_f32_e32 v1, -1.0, v3
	v_sub_f32_e32 v5, v0, v1
	v_add_f32_e32 v1, -1.0, v0
	v_mul_f32_e32 v9, v1, v8
	v_mul_f32_e32 v2, v3, v9
	v_fma_f32 v4, v9, v3, -v2
	v_fmac_f32_e32 v4, v9, v5
	v_add_f32_e32 v0, v2, v4
	v_sub_f32_e32 v3, v1, v0
	v_pk_add_f32 v[6:7], v[0:1], v[2:3] neg_lo:[0,1] neg_hi:[0,1]
	v_mov_b32_e32 v5, v0
	v_pk_add_f32 v[0:1], v[6:7], v[4:5] neg_lo:[0,1] neg_hi:[0,1]
	v_mov_b32_e32 v4, 0x3e91f4c4
	v_add_f32_e32 v0, v0, v1
	v_add_f32_e32 v0, v3, v0
	v_mul_f32_e32 v1, v8, v0
	v_add_f32_e32 v0, v9, v1
	v_sub_f32_e32 v2, v0, v9
	v_sub_f32_e32 v10, v1, v2
	v_mul_f32_e32 v1, v0, v0
	v_fma_f32 v3, v0, v0, -v1
	v_add_f32_e32 v2, v10, v10
	v_fmac_f32_e32 v3, v0, v2
	v_add_f32_e32 v2, v1, v3
	v_fmac_f32_e32 v4, 0x3e76c4e1, v2
	v_fmaak_f32 v4, v2, v4, 0x3ecccdef
	v_sub_f32_e32 v1, v2, v1
	v_sub_f32_e32 v11, v3, v1
	v_mul_f32_e32 v1, v2, v4
	v_fma_f32 v3, v2, v4, -v1
	v_fmac_f32_e32 v3, v11, v4
	v_add_f32_e32 v4, v1, v3
	v_add_f32_e32 v5, 0x3f2aaaaa, v4
	v_sub_f32_e32 v1, v4, v1
	v_sub_f32_e32 v1, v3, v1
	v_add_f32_e32 v3, 0xbf2aaaaa, v5
	v_add_f32_e32 v1, 0x31739010, v1
	v_sub_f32_e32 v3, v4, v3
	v_pk_mul_f32 v[6:7], v[0:1], v[2:3]
	v_pk_add_f32 v[8:9], v[0:1], v[2:3]
	v_fma_f32 v4, v2, v0, -v6
	v_fmac_f32_e32 v4, v2, v10
	v_mov_b32_e32 v7, v9
	v_fmac_f32_e32 v4, v11, v0
	v_pk_add_f32 v[2:3], v[6:7], v[4:5]
	v_ldexp_f32 v12, v10, 1
	v_sub_f32_e32 v1, v2, v6
	v_sub_f32_e32 v1, v4, v1
	;; [unrolled: 1-line block ×3, first 2 shown]
	v_add_f32_e32 v7, v9, v4
	v_pk_mul_f32 v[4:5], v[2:3], v[2:3] op_sel:[0,1] op_sel_hi:[1,0]
	v_cvt_f64_f32_e64 v[8:9], |v17|
	v_frexp_exp_i32_f64_e32 v5, v[8:9]
	v_subbrev_co_u32_e32 v5, vcc, 0, v5, vcc
	v_cvt_f32_i32_e32 v5, v5
	v_fma_f32 v6, v2, v3, -v4
	v_fmac_f32_e32 v6, v2, v7
	v_fmac_f32_e32 v6, v1, v3
	v_mul_f32_e32 v2, 0x3f317218, v5
	v_fma_f32 v1, v5, s0, -v2
	v_fmamk_f32 v8, v5, 0xb102e308, v1
	v_ldexp_f32 v9, v0, 1
	v_add_f32_e32 v3, v4, v6
	v_pk_add_f32 v[0:1], v[2:3], v[8:9]
	v_mov_b32_e32 v10, v3
	v_mov_b32_e32 v11, v1
	;; [unrolled: 1-line block ×3, first 2 shown]
	v_pk_add_f32 v[4:5], v[10:11], v[4:5] neg_lo:[0,1] neg_hi:[0,1]
	v_mov_b32_e32 v7, v3
	v_pk_add_f32 v[4:5], v[6:7], v[4:5] neg_lo:[0,1] neg_hi:[0,1]
	v_mov_b32_e32 v9, v0
	v_add_f32_e32 v3, v12, v4
	v_add_f32_e32 v3, v3, v5
	v_pk_add_f32 v[4:5], v[0:1], v[2:3] neg_lo:[0,1] neg_hi:[0,1]
	v_pk_add_f32 v[6:7], v[0:1], v[2:3]
	v_mov_b32_e32 v14, v1
	v_mov_b32_e32 v5, v7
	v_pk_add_f32 v[10:11], v[8:9], v[4:5] neg_lo:[0,1] neg_hi:[0,1]
	v_pk_add_f32 v[4:5], v[8:9], v[4:5]
	v_mov_b32_e32 v2, v3
	v_pk_add_f32 v[8:9], v[4:5], v[0:1] op_sel:[1,0] op_sel_hi:[0,1] neg_lo:[0,1] neg_hi:[0,1]
	v_pk_add_f32 v[12:13], v[6:7], v[8:9] op_sel_hi:[1,0] neg_lo:[0,1] neg_hi:[0,1]
	v_mov_b32_e32 v6, v7
	v_mov_b32_e32 v7, v5
	;; [unrolled: 1-line block ×3, first 2 shown]
	v_pk_add_f32 v[6:7], v[6:7], v[14:15] neg_lo:[0,1] neg_hi:[0,1]
	v_mov_b32_e32 v3, v0
	v_pk_add_f32 v[0:1], v[2:3], v[6:7] neg_lo:[0,1] neg_hi:[0,1]
	v_mov_b32_e32 v12, v10
	v_pk_add_f32 v[2:3], v[12:13], v[0:1]
	v_mov_b32_e32 v11, v5
	v_pk_add_f32 v[6:7], v[2:3], v[2:3] op_sel:[0,1] op_sel_hi:[1,0]
	s_mov_b32 s0, 0x7f800000
	v_pk_add_f32 v[4:5], v[4:5], v[6:7] op_sel:[1,0] op_sel_hi:[0,1]
	v_mov_b32_e32 v3, v4
	v_pk_add_f32 v[8:9], v[2:3], v[10:11] neg_lo:[0,1] neg_hi:[0,1]
	v_mov_b32_e32 v1, v6
	v_sub_f32_e32 v2, v2, v8
	v_pk_add_f32 v[0:1], v[0:1], v[8:9] neg_lo:[0,1] neg_hi:[0,1]
	v_sub_f32_e32 v2, v10, v2
	v_add_f32_e32 v0, v0, v2
	v_add_f32_e32 v0, v0, v1
	;; [unrolled: 1-line block ×3, first 2 shown]
	v_sub_f32_e32 v2, v1, v4
	v_sub_f32_e32 v0, v0, v2
	v_mul_f32_e32 v2, v16, v1
	v_fma_f32 v1, v16, v1, -v2
	v_fmac_f32_e32 v1, v16, v0
	v_add_f32_e32 v0, v2, v1
	v_cmp_class_f32_e64 vcc, v2, s2
	v_sub_f32_e32 v3, v0, v2
	v_sub_f32_e32 v1, v1, v3
	v_cndmask_b32_e32 v0, v0, v2, vcc
	v_mov_b32_e32 v2, 0x37000000
	v_cmp_eq_f32_e32 vcc, s1, v0
	v_cmp_class_f32_e64 s[12:13], v17, s2
	s_nop 0
	v_cndmask_b32_e32 v2, 0, v2, vcc
	v_sub_f32_e32 v3, v0, v2
	v_mul_f32_e32 v4, 0x3fb8aa3b, v3
	v_fma_f32 v5, v3, s3, -v4
	v_rndne_f32_e32 v6, v4
	v_fmamk_f32 v5, v3, 0x32a5705f, v5
	v_sub_f32_e32 v4, v4, v6
	v_add_f32_e32 v4, v4, v5
	v_exp_f32_e32 v4, v4
	v_cvt_i32_f32_e32 v5, v6
	v_cmp_neq_f32_e64 vcc, |v0|, s0
	s_mov_b32 s0, 0xc2ce8ed0
	s_nop 0
	v_cndmask_b32_e32 v0, 0, v1, vcc
	v_ldexp_f32 v1, v4, v5
	v_cmp_ngt_f32_e32 vcc, s0, v3
	v_add_f32_e32 v0, v2, v0
	v_mov_b32_e32 v2, 0x7f800000
	v_cndmask_b32_e32 v1, 0, v1, vcc
	v_cmp_nlt_f32_e32 vcc, s1, v3
	v_mov_b32_e32 v3, 0x7fc00000
	s_nop 0
	v_cndmask_b32_e32 v1, v2, v1, vcc
	v_fma_f32 v0, v1, v0, v1
	v_cmp_class_f32_e64 vcc, v1, s2
	v_cmp_gt_f32_e64 s[2:3], 0, v16
	s_nop 0
	v_cndmask_b32_e32 v0, v0, v1, vcc
	v_trunc_f32_e32 v1, v16
	v_cmp_eq_f32_e32 vcc, v1, v16
	v_mul_f32_e32 v1, 0.5, v16
	v_trunc_f32_e32 v4, v1
	v_cmp_neq_f32_e64 s[0:1], v4, v1
	s_and_b64 s[0:1], vcc, s[0:1]
	s_nop 0
	v_cndmask_b32_e64 v1, 1.0, v17, s[0:1]
	v_bfi_b32 v0, s11, v0, v1
	v_cndmask_b32_e32 v1, v3, v0, vcc
	v_cmp_gt_f32_e32 vcc, 0, v17
	s_nop 1
	v_cndmask_b32_e32 v0, v0, v1, vcc
	v_cmp_eq_f32_e32 vcc, 0, v17
	s_xor_b64 s[2:3], s[2:3], vcc
	v_cndmask_b32_e64 v1, v2, 0, s[2:3]
	v_cndmask_b32_e64 v2, 0, v17, s[0:1]
	v_bfi_b32 v1, s11, v1, v2
	s_or_b64 vcc, vcc, s[12:13]
	v_cndmask_b32_e32 v0, v0, v1, vcc
	v_cmp_o_f32_e32 vcc, v17, v17
	s_nop 1
	v_cndmask_b32_e32 v46, v3, v0, vcc
.LBB24_429:
	v_readlane_b32 s0, v254, 27
	s_xor_b32 s0, s10, s0
	v_readlane_b32 s10, v254, 29
	s_mul_i32 s1, s7, s10
	s_sub_i32 s1, s8, s1
	s_add_i32 s2, s7, 1
	s_sub_i32 s3, s1, s10
	s_cmp_ge_u32 s1, s10
	s_cselect_b32 s2, s2, s7
	s_cselect_b32 s1, s3, s1
	s_add_i32 s3, s2, 1
	s_cmp_ge_u32 s1, s10
	s_cselect_b32 s1, s3, s2
	s_xor_b32 s1, s1, s0
	v_readlane_b32 s12, v254, 30
	s_sub_i32 s2, s1, s0
	v_readlane_b32 s22, v254, 40
	v_readlane_b32 s23, v254, 41
	;; [unrolled: 1-line block ×3, first 2 shown]
	s_cmp_eq_u64 s[22:23], 0
	v_mov_b32_e32 v16, s58
	v_readlane_b32 s14, v254, 32
	v_readlane_b32 s15, v254, 33
	v_readlane_b32 s16, v254, 34
	v_readlane_b32 s17, v254, 35
	v_readlane_b32 s18, v254, 36
	v_readlane_b32 s19, v254, 37
	v_readlane_b32 s20, v254, 38
	v_readlane_b32 s21, v254, 39
	v_readlane_b32 s24, v254, 42
	v_readlane_b32 s25, v254, 43
	v_readlane_b32 s26, v254, 44
	v_readlane_b32 s27, v254, 45
	s_cbranch_scc1 .LBB24_431
; %bb.430:
	v_readlane_b32 s0, v254, 0
	s_mul_i32 s0, s4, s0
	s_add_i32 s0, s2, s0
	s_ashr_i32 s1, s0, 31
	s_lshl_b64 s[0:1], s[0:1], 2
	s_add_u32 s0, s22, s0
	s_addc_u32 s1, s23, s1
	v_mov_b32_e32 v0, 0
	global_load_dword v0, v0, s[0:1]
	s_waitcnt vmcnt(0)
	v_ashrrev_i32_e32 v1, 31, v0
	v_lshrrev_b32_e32 v1, 26, v1
	v_add_u32_e32 v0, v0, v1
	v_ashrrev_i32_e32 v0, 6, v0
	v_min_i32_e32 v16, s58, v0
.LBB24_431:
	scratch_load_dword v0, off, off offset:100 ; 4-byte Folded Reload
	v_readlane_b32 s10, v254, 10
	v_readlane_b32 s11, v254, 11
	s_mul_i32 s0, s4, s11
	s_ashr_i32 s1, s0, 31
	s_add_u32 s0, s12, s0
	s_mul_i32 s9, s9, s10
	s_addc_u32 s1, s13, s1
	s_ashr_i32 s3, s9, 31
	s_add_u32 s0, s0, s9
	s_addc_u32 s1, s1, s3
	s_lshl_b32 s7, s2, 6
	v_add_u32_e32 v118, s7, v172
	s_mov_b32 s8, 0x10001
	v_cmp_le_i32_e32 vcc, s68, v118
	s_waitcnt vmcnt(0)
	v_and_b32_e32 v44, 0x3ff, v0
	v_lshl_add_u32 v45, v44, 2, 0
	s_and_saveexec_b64 s[2:3], vcc
	s_xor_b64 s[2:3], exec, s[2:3]
; %bb.432:
	s_movk_i32 s9, 0x110
	v_mad_u32_u24 v0, v172, s9, v45
	v_mov_b32_e32 v1, 0
	ds_write_b32 v0, v1
; %bb.433:
	s_or_saveexec_b64 s[2:3], s[2:3]
	v_mul_lo_u32 v0, v117, s8
	s_xor_b64 exec, exec, s[2:3]
	s_cbranch_execz .LBB24_435
; %bb.434:
	v_mad_u64_u32 v[2:3], s[8:9], v118, s64, v[44:45]
	v_ashrrev_i32_e32 v3, 31, v2
	v_lshl_add_u64 v[2:3], v[2:3], 3, s[0:1]
	global_load_dwordx2 v[2:3], v[2:3], off
	s_movk_i32 s8, 0x110
	s_waitcnt vmcnt(0)
	v_cvt_pk_f16_f32 v1, v2, v3
	v_pk_mul_f16 v1, v1, v0
	v_mad_u32_u24 v2, v172, s8, v45
	ds_write_b32 v2, v1
.LBB24_435:
	s_or_b64 exec, exec, s[2:3]
	v_add_u32_e32 v119, s7, v116
	v_cmp_le_i32_e32 vcc, s68, v119
	s_and_saveexec_b64 s[2:3], vcc
	s_xor_b64 s[2:3], exec, s[2:3]
; %bb.436:
	s_movk_i32 s8, 0x110
	v_mad_u32_u24 v1, v116, s8, v45
	v_mov_b32_e32 v2, 0
	ds_write_b32 v1, v2
; %bb.437:
	s_andn2_saveexec_b64 s[2:3], s[2:3]
	s_cbranch_execz .LBB24_439
; %bb.438:
	v_mad_u64_u32 v[2:3], s[8:9], v119, s64, v[44:45]
	v_ashrrev_i32_e32 v3, 31, v2
	v_lshl_add_u64 v[2:3], v[2:3], 3, s[0:1]
	global_load_dwordx2 v[2:3], v[2:3], off
	s_movk_i32 s8, 0x110
	s_waitcnt vmcnt(0)
	v_cvt_pk_f16_f32 v1, v2, v3
	v_pk_mul_f16 v1, v1, v0
	v_mad_u32_u24 v2, v116, s8, v45
	ds_write_b32 v2, v1
.LBB24_439:
	s_or_b64 exec, exec, s[2:3]
	v_add_u32_e32 v120, s7, v89
	v_cmp_le_i32_e32 vcc, s68, v120
	s_and_saveexec_b64 s[2:3], vcc
	s_xor_b64 s[2:3], exec, s[2:3]
; %bb.440:
	s_movk_i32 s8, 0x110
	v_mad_u32_u24 v1, v89, s8, v45
	v_mov_b32_e32 v2, 0
	ds_write_b32 v1, v2
; %bb.441:
	s_andn2_saveexec_b64 s[2:3], s[2:3]
	;; [unrolled: 25-line block ×14, first 2 shown]
	s_cbranch_execz .LBB24_491
; %bb.490:
	v_mad_u64_u32 v[2:3], s[8:9], v135, s64, v[44:45]
	v_ashrrev_i32_e32 v3, 31, v2
	v_lshl_add_u64 v[2:3], v[2:3], 3, s[0:1]
	global_load_dwordx2 v[2:3], v[2:3], off
	s_movk_i32 s8, 0x110
	s_waitcnt vmcnt(0)
	v_cvt_pk_f16_f32 v1, v2, v3
	v_pk_mul_f16 v1, v1, v0
	v_mad_u32_u24 v2, v161, s8, v45
	ds_write_b32 v2, v1
.LBB24_491:
	s_or_b64 exec, exec, s[2:3]
	v_add_u32_e32 v136, s7, v160
	v_cmp_le_i32_e32 vcc, s68, v136
	s_and_saveexec_b64 s[2:3], vcc
	s_xor_b64 s[2:3], exec, s[2:3]
; %bb.492:
	s_movk_i32 s7, 0x110
	v_mad_u32_u24 v0, v160, s7, v45
	v_mov_b32_e32 v1, 0
	ds_write_b32 v0, v1
                                        ; implicit-def: $vgpr0
; %bb.493:
	s_andn2_saveexec_b64 s[2:3], s[2:3]
	s_cbranch_execz .LBB24_495
; %bb.494:
	v_mad_u64_u32 v[2:3], s[8:9], v136, s64, v[44:45]
	v_ashrrev_i32_e32 v3, 31, v2
	v_lshl_add_u64 v[2:3], v[2:3], 3, s[0:1]
	global_load_dwordx2 v[2:3], v[2:3], off
	s_movk_i32 s0, 0x110
	s_waitcnt vmcnt(0)
	v_cvt_pk_f16_f32 v1, v2, v3
	v_pk_mul_f16 v0, v1, v0
	v_mad_u32_u24 v1, v160, s0, v45
	ds_write_b32 v1, v0
.LBB24_495:
	s_or_b64 exec, exec, s[2:3]
	v_readlane_b32 s2, v254, 17
	v_readlane_b32 s3, v254, 18
	s_mul_i32 s0, s2, s6
	s_mul_hi_u32 s1, s2, s4
	s_add_i32 s0, s1, s0
	s_mul_i32 s1, s3, s4
	v_readlane_b32 s8, v254, 30
	s_add_i32 s0, s0, s1
	s_mul_i32 s1, s2, s4
	v_readlane_b32 s12, v254, 34
	v_readlane_b32 s13, v254, 35
	v_readlane_b32 s14, v254, 36
	v_readlane_b32 s15, v254, 37
	s_add_u32 s1, s12, s1
	s_addc_u32 s0, s13, s0
	v_readlane_b32 s12, v254, 23
	v_readlane_b32 s15, v254, 26
	s_mul_i32 s2, s5, s15
	s_ashr_i32 s3, s2, 31
	s_add_u32 s33, s1, s2
	v_readlane_b32 s13, v254, 24
	s_addc_u32 s51, s0, s3
	s_mul_i32 s0, s12, s6
	s_mul_hi_u32 s1, s12, s4
	s_add_i32 s0, s1, s0
	s_mul_i32 s1, s13, s4
	v_readlane_b32 s2, v254, 21
	v_readlane_b32 s10, v254, 32
	s_add_i32 s0, s0, s1
	s_mul_i32 s1, s12, s4
	v_readlane_b32 s3, v254, 22
	v_readlane_b32 s11, v254, 33
	s_add_u32 s1, s10, s1
	s_mul_i32 s5, s5, s3
	s_addc_u32 s0, s11, s0
	s_ashr_i32 s2, s5, 31
	s_add_u32 s53, s1, s5
	v_lshrrev_b32_e32 v18, 3, v44
	s_addc_u32 s54, s0, s2
	s_movk_i32 s0, 0x1100
	v_and_b32_e32 v113, 15, v44
	v_and_b32_e32 v0, 0x7e, v18
	v_mad_u32_u24 v17, v172, s0, 0
	v_mul_u32_u24_e32 v133, 0x110, v113
	v_lshlrev_b32_e32 v112, 2, v0
	v_add3_u32 v0, v17, v133, v112
	s_waitcnt lgkmcnt(0)
	s_barrier
	ds_read2_b64 v[12:15], v0 offset1:4
	ds_read2_b64 v[8:11], v0 offset0:8 offset1:12
	ds_read2_b64 v[4:7], v0 offset0:16 offset1:20
	;; [unrolled: 1-line block ×3, first 2 shown]
	v_add_u32_e32 v145, -1, v16
	v_cmp_ge_i32_e32 vcc, s50, v145
	s_mov_b32 s55, 0
	s_and_b64 vcc, exec, vcc
	v_lshlrev_b32_e32 v48, 1, v44
	v_lshrrev_b32_e32 v140, 4, v44
	v_lshlrev_b32_e32 v139, 2, v44
	v_lshrrev_b32_e32 v117, 2, v44
	v_lshl_or_b32 v124, v172, 4, v113
	v_lshl_or_b32 v123, v18, 2, 4
	v_lshlrev_b32_e32 v114, 1, v113
	v_readlane_b32 s9, v254, 31
	v_readlane_b32 s16, v254, 38
	;; [unrolled: 1-line block ×10, first 2 shown]
	s_waitcnt lgkmcnt(0)
	s_barrier
	s_cbranch_vccnz .LBB24_511
; %bb.496:
	v_mov_b32_e32 v51, 0
	v_mov_b32_e32 v49, v51
	v_mul_i32_i24_e32 v16, 0xffffef90, v172
	v_lshl_add_u64 v[52:53], s[42:43], 0, v[48:49]
	v_add3_u32 v49, v17, v16, v48
	v_mul_hi_u32 v16, s56, v118
	v_add_u32_e32 v16, v118, v16
	v_lshrrev_b32_e32 v16, s57, v16
	v_mul_lo_u32 v16, v16, s68
	v_sub_u32_e32 v16, v118, v16
	v_mad_i64_i32 v[54:55], s[2:3], v16, s96, 0
	v_mul_hi_u32 v16, s56, v119
	v_add_u32_e32 v16, v119, v16
	v_lshrrev_b32_e32 v16, s57, v16
	v_mul_lo_u32 v16, v16, s68
	v_sub_u32_e32 v16, v119, v16
	v_mad_i64_i32 v[56:57], s[2:3], v16, s96, 0
	;; [unrolled: 6-line block ×15, first 2 shown]
	v_mul_hi_u32 v16, s56, v136
	v_add_u32_e32 v16, v136, v16
	v_lshrrev_b32_e32 v16, s57, v16
	v_mul_lo_u32 v16, v16, s68
	v_mov_b32_e32 v17, v146
	v_sub_u32_e32 v16, v136, v16
	v_mad_i64_i32 v[84:85], s[2:3], v16, s96, 0
	v_mbcnt_hi_u32_b32 v16, -1, v17
	v_and_b32_e32 v17, 64, v16
	v_add_u32_e32 v17, 64, v17
	v_xor_b32_e32 v18, 32, v16
	v_cmp_lt_i32_e32 vcc, v18, v17
	s_cmp_lg_u64 s[42:43], 0
	s_cselect_b64 s[46:47], -1, 0
	v_cndmask_b32_e32 v18, v16, v18, vcc
	v_lshlrev_b32_e32 v177, 2, v18
	v_xor_b32_e32 v18, 16, v16
	v_cmp_lt_i32_e32 vcc, v18, v17
	v_lshl_add_u32 v17, v172, 2, v140
	v_mul_lo_u32 v86, s52, v17
	s_lshl_b32 s2, s52, 4
	v_cndmask_b32_e32 v16, v16, v18, vcc
	v_add_u32_e32 v88, s2, v86
	v_lshlrev_b32_e32 v178, 2, v16
	v_and_b32_e32 v16, 60, v139
	v_add_u32_e32 v90, s2, v88
	v_mul_u32_u24_e32 v18, 0x110, v17
	v_lshlrev_b32_e32 v19, 2, v16
	v_add_u32_e32 v92, s2, v90
	s_movk_i32 s2, 0x90
	v_add3_u32 v179, 0, v18, v19
	v_mad_u32_u24 v19, v124, s2, 0
	s_movk_i32 s2, 0x100
	v_cmp_gt_u32_e64 s[12:13], s2, v44
	s_movk_i32 s2, 0xc0
	v_cmp_gt_u32_e64 s[14:15], s2, v44
	;; [unrolled: 2-line block ×3, first 2 shown]
	v_mul_lo_u32 v94, s70, v17
	s_lshl_b32 s2, s70, 4
	v_and_b32_e32 v18, 0xfc, v117
	v_add_u32_e32 v96, s2, v94
	v_cmp_gt_u32_e64 s[4:5], 64, v17
	v_cmp_gt_u32_e64 s[6:7], 48, v17
	;; [unrolled: 1-line block ×4, first 2 shown]
	v_lshl_add_u32 v184, v18, 1, v19
	v_cmp_gt_u32_e64 s[16:17], 47, v18
	v_cmp_gt_u32_e64 s[18:19], 46, v18
	;; [unrolled: 1-line block ×9, first 2 shown]
	v_add_u32_e32 v98, s2, v96
	v_mul_u32_u24_e32 v17, 0x110, v18
	v_or_b32_e32 v18, 3, v117
	s_mov_b64 s[44:45], src_private_base
	v_add_u32_e32 v185, v19, v123
	v_add_u32_e32 v19, 32, v184
	;; [unrolled: 1-line block ×5, first 2 shown]
	v_mul_u32_u24_e32 v18, 0x110, v18
	v_cmp_gt_u32_e64 s[0:1], 64, v44
	v_cmp_lt_u32_e64 s[40:41], 63, v44
	v_add_u32_e32 v146, 0x240, v49
	v_add_u32_e32 v147, 0x480, v49
	;; [unrolled: 1-line block ×15, first 2 shown]
	v_ashrrev_i32_e32 v87, 31, v86
	v_add_u32_e32 v180, 0x1100, v179
	v_ashrrev_i32_e32 v89, 31, v88
	v_add_u32_e32 v181, 0x2200, v179
	;; [unrolled: 2-line block ×3, first 2 shown]
	v_ashrrev_i32_e32 v93, 31, v92
	v_add3_u32 v183, 0, v133, v112
	v_ashrrev_i32_e32 v95, 31, v94
	v_ashrrev_i32_e32 v97, 31, v96
	;; [unrolled: 1-line block ×4, first 2 shown]
	v_add3_u32 v186, 0, v17, v114
	v_add3_u32 v187, 0, v18, v114
	v_mov_b32_e32 v102, v46
	v_mov_b32_e32 v103, v46
	s_lshl_b32 s48, s50, 6
	v_mov_b32_e32 v32, 0xfeffffff
	v_lshlrev_b32_e32 v50, 2, v16
	v_add_u32_e32 v188, 0x4400, v19
	v_add_u32_e32 v189, 0x4400, v20
	;; [unrolled: 1-line block ×3, first 2 shown]
	s_mov_b32 s44, 0x3fb8aa3b
	s_mov_b32 s58, 0xc2ce8ed0
	;; [unrolled: 1-line block ×5, first 2 shown]
	v_mov_b32_e32 v191, 0
	v_mov_b32_e32 v208, v51
	;; [unrolled: 1-line block ×23, first 2 shown]
.LBB24_497:                             ; =>This Inner Loop Header: Depth=1
	v_cndmask_b32_e64 v16, 0, 1, s[46:47]
	v_cmp_ne_u32_e64 s[38:39], 1, v16
	s_andn2_b64 vcc, exec, s[46:47]
	s_ashr_i32 s49, s48, 31
	s_cbranch_vccnz .LBB24_507
; %bb.498:                              ;   in Loop: Header=BB24_497 Depth=1
	s_and_saveexec_b64 s[2:3], s[40:41]
	s_xor_b64 s[2:3], exec, s[2:3]
	s_cbranch_execz .LBB24_500
; %bb.499:                              ;   in Loop: Header=BB24_497 Depth=1
	ds_write_b16 v49, v51 offset:17408
	ds_write_b16 v146, v51 offset:17408
	;; [unrolled: 1-line block ×4, first 2 shown]
.LBB24_500:                             ;   in Loop: Header=BB24_497 Depth=1
	s_or_saveexec_b64 s[2:3], s[2:3]
	v_lshl_add_u64 v[16:17], s[48:49], 1, v[52:53]
	v_mov_b32_e32 v18, 0
	v_mov_b32_e32 v19, 0
	;; [unrolled: 1-line block ×4, first 2 shown]
	s_xor_b64 exec, exec, s[2:3]
	s_cbranch_execz .LBB24_502
; %bb.501:                              ;   in Loop: Header=BB24_497 Depth=1
	v_lshl_add_u64 v[18:19], v[54:55], 1, v[16:17]
	v_lshl_add_u64 v[20:21], v[56:57], 1, v[16:17]
	;; [unrolled: 1-line block ×8, first 2 shown]
	global_load_ushort v33, v[18:19], off
	global_load_ushort v36, v[20:21], off
	s_nop 0
	global_load_ushort v22, v[22:23], off
	s_nop 0
	global_load_ushort v23, v[24:25], off
	global_load_ushort v18, v[26:27], off
	;; [unrolled: 1-line block ×5, first 2 shown]
	s_waitcnt vmcnt(7)
	ds_write_b16 v49, v33 offset:17408
	s_waitcnt vmcnt(6)
	ds_write_b16 v146, v36 offset:17408
	;; [unrolled: 2-line block ×4, first 2 shown]
.LBB24_502:                             ;   in Loop: Header=BB24_497 Depth=1
	s_or_b64 exec, exec, s[2:3]
	s_waitcnt vmcnt(3)
	ds_write_b16 v149, v18 offset:17408
	s_waitcnt vmcnt(2)
	ds_write_b16 v150, v19 offset:17408
	;; [unrolled: 2-line block ×4, first 2 shown]
	s_and_saveexec_b64 s[2:3], s[40:41]
	s_xor_b64 s[2:3], exec, s[2:3]
	s_cbranch_execz .LBB24_504
; %bb.503:                              ;   in Loop: Header=BB24_497 Depth=1
	ds_write_b16 v153, v51 offset:17408
	ds_write_b16 v154, v51 offset:17408
	;; [unrolled: 1-line block ×4, first 2 shown]
                                        ; implicit-def: $vgpr16_vgpr17
.LBB24_504:                             ;   in Loop: Header=BB24_497 Depth=1
	s_or_saveexec_b64 s[2:3], s[2:3]
	v_mov_b32_e32 v18, 0
	v_mov_b32_e32 v19, 0
	;; [unrolled: 1-line block ×4, first 2 shown]
	s_xor_b64 exec, exec, s[2:3]
	s_cbranch_execz .LBB24_506
; %bb.505:                              ;   in Loop: Header=BB24_497 Depth=1
	v_lshl_add_u64 v[18:19], v[70:71], 1, v[16:17]
	v_lshl_add_u64 v[20:21], v[72:73], 1, v[16:17]
	;; [unrolled: 1-line block ×8, first 2 shown]
	global_load_ushort v33, v[18:19], off
	global_load_ushort v34, v[20:21], off
	s_nop 0
	global_load_ushort v22, v[22:23], off
	s_nop 0
	global_load_ushort v23, v[24:25], off
	global_load_ushort v18, v[26:27], off
	;; [unrolled: 1-line block ×5, first 2 shown]
	s_waitcnt vmcnt(7)
	ds_write_b16 v153, v33 offset:17408
	s_waitcnt vmcnt(6)
	ds_write_b16 v154, v34 offset:17408
	;; [unrolled: 2-line block ×4, first 2 shown]
.LBB24_506:                             ;   in Loop: Header=BB24_497 Depth=1
	s_or_b64 exec, exec, s[2:3]
	s_waitcnt vmcnt(3)
	ds_write_b16 v157, v18 offset:17408
	s_waitcnt vmcnt(2)
	ds_write_b16 v158, v19 offset:17408
	;; [unrolled: 2-line block ×4, first 2 shown]
.LBB24_507:                             ;   in Loop: Header=BB24_497 Depth=1
	s_mul_hi_i32 s3, s48, s52
	s_mul_i32 s2, s48, s52
	s_lshl_b64 s[2:3], s[2:3], 2
	s_add_u32 s2, s53, s2
	s_addc_u32 s3, s54, s3
	v_lshl_add_u64 v[16:17], v[86:87], 2, s[2:3]
	v_lshl_add_u64 v[16:17], v[16:17], 0, v[50:51]
	v_mov_b32_e32 v22, s45
	v_cndmask_b32_e64 v17, v22, v17, s[4:5]
	v_cndmask_b32_e64 v16, v191, v16, s[4:5]
	scratch_store_dwordx4 off, v[208:211], off
	flat_load_dwordx4 v[16:19], v[16:17]
	v_lshl_add_u64 v[20:21], v[88:89], 2, s[2:3]
	v_lshl_add_u64 v[20:21], v[20:21], 0, v[50:51]
	v_cndmask_b32_e64 v21, v22, v21, s[6:7]
	v_cndmask_b32_e64 v20, v191, v20, s[6:7]
	v_add_u32_e32 v33, 0x1000, v183
	v_add_u32_e32 v38, 0x2000, v183
	;; [unrolled: 1-line block ×3, first 2 shown]
	s_and_b64 vcc, exec, s[38:39]
	s_waitcnt vmcnt(0) lgkmcnt(0)
	ds_write_b128 v179, v[16:19]
	flat_load_dwordx4 v[16:19], v[20:21]
	v_lshl_add_u64 v[20:21], v[90:91], 2, s[2:3]
	v_lshl_add_u64 v[20:21], v[20:21], 0, v[50:51]
	v_cndmask_b32_e64 v21, v22, v21, s[8:9]
	v_cndmask_b32_e64 v20, v191, v20, s[8:9]
	s_waitcnt vmcnt(0) lgkmcnt(0)
	ds_write_b128 v180, v[16:19]
	flat_load_dwordx4 v[16:19], v[20:21]
	v_lshl_add_u64 v[20:21], v[92:93], 2, s[2:3]
	v_lshl_add_u64 v[20:21], v[20:21], 0, v[50:51]
	v_cndmask_b32_e64 v21, v22, v21, s[10:11]
	v_cndmask_b32_e64 v20, v191, v20, s[10:11]
	s_waitcnt vmcnt(0) lgkmcnt(0)
	ds_write_b128 v181, v[16:19]
	flat_load_dwordx4 v[16:19], v[20:21]
	s_waitcnt vmcnt(0) lgkmcnt(0)
	ds_write_b128 v182, v[16:19]
	s_waitcnt lgkmcnt(0)
	s_barrier
	ds_read2_b64 v[16:19], v183 offset1:4
	ds_read2_b64 v[24:27], v33 offset0:32 offset1:36
	ds_read2_b64 v[34:37], v38 offset0:64 offset1:68
	;; [unrolled: 1-line block ×3, first 2 shown]
	s_waitcnt lgkmcnt(3)
	v_mfma_f32_16x16x16_f16 v[20:23], v[16:17], v[12:13], 0
	ds_read2_b64 v[202:205], v39 offset0:120 offset1:124
	s_waitcnt lgkmcnt(3)
	v_mfma_f32_16x16x16_f16 v[28:31], v[24:25], v[12:13], 0
	s_waitcnt lgkmcnt(2)
	v_mfma_f32_16x16x16_f16 v[108:111], v[34:35], v[12:13], 0
	s_waitcnt lgkmcnt(1)
	v_mfma_f32_16x16x16_f16 v[198:201], v[194:195], v[12:13], 0
	v_mfma_f32_16x16x16_f16 v[16:19], v[18:19], v[14:15], v[20:23]
	v_mfma_f32_16x16x16_f16 v[20:23], v[26:27], v[14:15], v[28:31]
	;; [unrolled: 1-line block ×3, first 2 shown]
	ds_read2_b64 v[34:37], v183 offset0:8 offset1:12
	v_mfma_f32_16x16x16_f16 v[28:31], v[196:197], v[14:15], v[198:201]
	s_nop 0
	ds_read2_b64 v[108:111], v33 offset0:40 offset1:44
	ds_read2_b64 v[194:197], v38 offset0:72 offset1:76
	;; [unrolled: 1-line block ×3, first 2 shown]
	s_waitcnt lgkmcnt(3)
	v_mfma_f32_16x16x16_f16 v[16:19], v[34:35], v[8:9], v[16:19]
	s_waitcnt lgkmcnt(2)
	v_mfma_f32_16x16x16_f16 v[20:23], v[108:109], v[8:9], v[20:23]
	;; [unrolled: 2-line block ×3, first 2 shown]
	v_mfma_f32_16x16x16_f16 v[16:19], v[36:37], v[10:11], v[16:19]
	ds_read2_b64 v[34:37], v183 offset0:16 offset1:20
	v_mfma_f32_16x16x16_f16 v[20:23], v[110:111], v[10:11], v[20:23]
	ds_read2_b64 v[108:111], v33 offset0:48 offset1:52
	;; [unrolled: 2-line block ×3, first 2 shown]
	s_waitcnt lgkmcnt(3)
	v_mfma_f32_16x16x16_f16 v[28:31], v[198:199], v[8:9], v[28:31]
	v_mfma_f32_16x16x16_f16 v[28:31], v[200:201], v[10:11], v[28:31]
	ds_read2_b64 v[198:201], v39 offset0:112 offset1:116
	s_waitcnt lgkmcnt(3)
	v_mfma_f32_16x16x16_f16 v[16:19], v[34:35], v[4:5], v[16:19]
	s_waitcnt lgkmcnt(2)
	v_mfma_f32_16x16x16_f16 v[20:23], v[108:109], v[4:5], v[20:23]
	;; [unrolled: 2-line block ×3, first 2 shown]
	v_mfma_f32_16x16x16_f16 v[16:19], v[36:37], v[6:7], v[16:19]
	ds_read2_b64 v[34:37], v183 offset0:24 offset1:28
	v_mfma_f32_16x16x16_f16 v[20:23], v[110:111], v[6:7], v[20:23]
	ds_read2_b64 v[108:111], v33 offset0:56 offset1:60
	;; [unrolled: 2-line block ×3, first 2 shown]
	s_waitcnt lgkmcnt(0)
	s_barrier
	v_mfma_f32_16x16x16_f16 v[28:31], v[198:199], v[4:5], v[28:31]
	v_mfma_f32_16x16x16_f16 v[28:31], v[200:201], v[6:7], v[28:31]
	;; [unrolled: 1-line block ×10, first 2 shown]
	s_cbranch_vccnz .LBB24_509
; %bb.508:                              ;   in Loop: Header=BB24_497 Depth=1
	ds_read_b32 v33, v184 offset:17408
	ds_read_b32 v47, v185 offset:17408
	ds_read2_b32 v[34:35], v188 offset1:1
	ds_read2_b32 v[36:37], v189 offset1:1
	s_waitcnt lgkmcnt(3)
	v_cvt_f32_f16_sdwa v39, v33 dst_sel:DWORD dst_unused:UNUSED_PAD src0_sel:WORD_1
	v_cvt_f32_f16_e32 v38, v33
	s_waitcnt lgkmcnt(1)
	v_cvt_f32_f16_e32 v110, v34
	v_cvt_f32_f16_e32 v174, v35
	v_cvt_f32_f16_sdwa v175, v35 dst_sel:DWORD dst_unused:UNUSED_PAD src0_sel:WORD_1
	v_cvt_f32_f16_sdwa v111, v34 dst_sel:DWORD dst_unused:UNUSED_PAD src0_sel:WORD_1
	ds_read2_b32 v[34:35], v190 offset1:1
	v_cvt_f32_f16_sdwa v109, v47 dst_sel:DWORD dst_unused:UNUSED_PAD src0_sel:WORD_1
	v_cvt_f32_f16_e32 v108, v47
	v_mov_b32_e32 v47, v46
	v_pk_fma_f32 v[28:29], v[102:103], v[38:39], v[28:29]
	v_pk_fma_f32 v[24:25], v[102:103], v[110:111], v[24:25]
	;; [unrolled: 1-line block ×3, first 2 shown]
	s_waitcnt lgkmcnt(1)
	v_cvt_f32_f16_e32 v38, v36
	v_cvt_f32_f16_sdwa v39, v36 dst_sel:DWORD dst_unused:UNUSED_PAD src0_sel:WORD_1
	v_cvt_f32_f16_e32 v36, v37
	v_cvt_f32_f16_sdwa v37, v37 dst_sel:DWORD dst_unused:UNUSED_PAD src0_sel:WORD_1
	s_waitcnt lgkmcnt(0)
	v_cvt_f32_f16_e32 v108, v34
	v_cvt_f32_f16_e32 v110, v35
	v_cvt_f32_f16_sdwa v111, v35 dst_sel:DWORD dst_unused:UNUSED_PAD src0_sel:WORD_1
	v_cvt_f32_f16_sdwa v109, v34 dst_sel:DWORD dst_unused:UNUSED_PAD src0_sel:WORD_1
	v_pk_fma_f32 v[26:27], v[46:47], v[174:175], v[26:27]
	v_pk_fma_f32 v[22:23], v[46:47], v[36:37], v[22:23]
	;; [unrolled: 1-line block ×5, first 2 shown]
.LBB24_509:                             ;   in Loop: Header=BB24_497 Depth=1
	s_nop 3
	v_add_f32_e32 v33, 0x40051340, v28
	v_max_f32_e32 v34, v32, v32
	v_max_f32_e32 v33, v34, v33
	v_cndmask_b32_e64 v33, v32, v33, s[12:13]
	v_add_f32_e32 v34, 0x40051340, v29
	v_max_f32_e32 v33, v33, v33
	v_max_f32_e32 v33, v33, v34
	v_cndmask_b32_e64 v33, v32, v33, s[12:13]
	;; [unrolled: 4-line block ×11, first 2 shown]
	v_add_f32_e32 v34, 0x40051340, v23
	v_max_f32_e32 v35, v33, v33
	v_max_f32_e32 v34, v35, v34
	s_mul_hi_i32 s3, s48, s70
	s_mul_i32 s2, s48, s70
	v_cndmask_b32_e64 v33, v33, v34, s[28:29]
	s_lshl_b64 s[2:3], s[2:3], 2
	v_add_f32_e32 v34, 0x40051340, v16
	v_max_f32_e32 v35, v33, v33
	s_add_u32 s2, s33, s2
	v_max_f32_e32 v34, v35, v34
	s_addc_u32 s3, s51, s3
	v_cndmask_b32_e64 v33, v33, v34, s[0:1]
	v_lshl_add_u64 v[34:35], v[94:95], 2, s[2:3]
	v_lshl_add_u64 v[34:35], v[34:35], 0, v[50:51]
	v_mov_b32_e32 v173, s45
	v_cndmask_b32_e64 v35, v173, v35, s[4:5]
	v_cndmask_b32_e64 v34, v191, v34, s[4:5]
	scratch_store_dwordx4 off, v[208:211], off
	flat_load_dwordx4 v[108:111], v[34:35]
	v_add_f32_e32 v34, 0x40051340, v17
	v_max_f32_e32 v35, v33, v33
	v_max_f32_e32 v34, v35, v34
	v_cndmask_b32_e64 v33, v33, v34, s[30:31]
	v_add_f32_e32 v34, 0x40051340, v18
	v_max_f32_e32 v35, v33, v33
	v_max_f32_e32 v34, v35, v34
	v_cndmask_b32_e64 v33, v33, v34, s[34:35]
	;; [unrolled: 4-line block ×3, first 2 shown]
	ds_bpermute_b32 v34, v177, v33
	v_max_f32_e32 v33, v33, v33
	s_add_i32 s50, s50, 1
	s_add_i32 s48, s48, 64
	s_waitcnt lgkmcnt(0)
	v_max_f32_e32 v34, v34, v34
	v_max_f32_e32 v33, v33, v34
	ds_bpermute_b32 v34, v178, v33
	s_waitcnt lgkmcnt(0)
	v_max_f32_e32 v34, v34, v34
	v_max_f32_e32 v47, v33, v34
	v_sub_f32_e32 v28, v28, v47
	v_mul_f32_e32 v33, 0x3fb8aa3b, v28
	v_fma_f32 v34, v28, s44, -v33
	v_rndne_f32_e32 v35, v33
	v_fmac_f32_e32 v34, 0x32a5705f, v28
	v_sub_f32_e32 v33, v33, v35
	v_add_f32_e32 v33, v33, v34
	v_exp_f32_e32 v33, v33
	v_cvt_i32_f32_e32 v34, v35
	v_sub_f32_e32 v29, v29, v47
	v_cmp_ngt_f32_e32 vcc, s58, v28
	v_sub_f32_e32 v30, v30, v47
	v_ldexp_f32 v33, v33, v34
	v_mul_f32_e32 v34, 0x3fb8aa3b, v29
	v_fma_f32 v35, v29, s44, -v34
	v_rndne_f32_e32 v36, v34
	v_fmac_f32_e32 v35, 0x32a5705f, v29
	v_sub_f32_e32 v34, v34, v36
	v_add_f32_e32 v34, v34, v35
	v_exp_f32_e32 v34, v34
	v_cvt_i32_f32_e32 v35, v36
	v_cndmask_b32_e32 v33, 0, v33, vcc
	v_cmp_nlt_f32_e32 vcc, s59, v28
	v_sub_f32_e32 v24, v24, v47
	v_sub_f32_e32 v25, v25, v47
	v_cndmask_b32_e32 v36, v192, v33, vcc
	v_ldexp_f32 v33, v34, v35
	v_cmp_ngt_f32_e32 vcc, s58, v29
	v_sub_f32_e32 v26, v26, v47
	v_sub_f32_e32 v27, v27, v47
	v_cndmask_b32_e32 v33, 0, v33, vcc
	v_cmp_nlt_f32_e32 vcc, s59, v29
	v_mul_f32_e32 v29, 0x3fb8aa3b, v30
	v_fma_f32 v34, v30, s44, -v29
	v_rndne_f32_e32 v35, v29
	v_fmac_f32_e32 v34, 0x32a5705f, v30
	v_sub_f32_e32 v29, v29, v35
	v_add_f32_e32 v29, v29, v34
	v_exp_f32_e32 v34, v29
	v_cvt_i32_f32_e32 v35, v35
	v_cndmask_b32_e32 v37, v192, v33, vcc
	v_cmp_ngt_f32_e32 vcc, s58, v30
	v_sub_f32_e32 v20, v20, v47
	v_ldexp_f32 v33, v34, v35
	v_cndmask_b32_e32 v33, 0, v33, vcc
	v_cmp_nlt_f32_e32 vcc, s59, v30
	v_sub_f32_e32 v34, v31, v47
	v_lshl_add_u64 v[30:31], v[96:97], 2, s[2:3]
	v_lshl_add_u64 v[30:31], v[30:31], 0, v[50:51]
	v_cndmask_b32_e64 v31, v173, v31, s[6:7]
	v_cndmask_b32_e64 v30, v191, v30, s[6:7]
	v_mul_f32_e32 v35, 0x3fb8aa3b, v34
	v_cndmask_b32_e32 v38, v192, v33, vcc
	s_waitcnt vmcnt(0)
	ds_write_b128 v179, v[108:111]
	flat_load_dwordx4 v[108:111], v[30:31]
	v_fma_f32 v30, v34, s44, -v35
	v_rndne_f32_e32 v31, v35
	v_fmac_f32_e32 v30, 0x32a5705f, v34
	v_sub_f32_e32 v35, v35, v31
	v_add_f32_e32 v30, v35, v30
	v_exp_f32_e32 v35, v30
	v_cvt_i32_f32_e32 v31, v31
	v_cmp_ngt_f32_e32 vcc, s58, v34
	v_mul_f32_e32 v33, 0x3fb8aa3b, v24
	v_sub_f32_e32 v21, v21, v47
	v_ldexp_f32 v31, v35, v31
	v_cndmask_b32_e32 v31, 0, v31, vcc
	v_cmp_nlt_f32_e32 vcc, s59, v34
	v_fma_f32 v34, v24, s44, -v33
	v_rndne_f32_e32 v35, v33
	v_fmac_f32_e32 v34, 0x32a5705f, v24
	v_sub_f32_e32 v33, v33, v35
	v_add_f32_e32 v33, v33, v34
	v_exp_f32_e32 v33, v33
	v_cvt_i32_f32_e32 v34, v35
	v_cndmask_b32_e32 v39, v192, v31, vcc
	v_cmp_ngt_f32_e32 vcc, s58, v24
	v_sub_f32_e32 v22, v22, v47
	v_ldexp_f32 v33, v33, v34
	v_cndmask_b32_e32 v33, 0, v33, vcc
	v_cmp_nlt_f32_e32 vcc, s59, v24
	v_mul_f32_e32 v24, 0x3fb8aa3b, v25
	v_fma_f32 v34, v25, s44, -v24
	v_rndne_f32_e32 v35, v24
	v_fmac_f32_e32 v34, 0x32a5705f, v25
	v_sub_f32_e32 v24, v24, v35
	v_add_f32_e32 v24, v24, v34
	v_exp_f32_e32 v34, v24
	v_cvt_i32_f32_e32 v35, v35
	v_cndmask_b32_e32 v205, v192, v33, vcc
	v_cmp_ngt_f32_e32 vcc, s58, v25
	v_sub_f32_e32 v23, v23, v47
	v_ldexp_f32 v33, v34, v35
	v_cndmask_b32_e32 v33, 0, v33, vcc
	v_cmp_nlt_f32_e32 vcc, s59, v25
	v_mul_f32_e32 v25, 0x3fb8aa3b, v26
	;; [unrolled: 14-line block ×3, first 2 shown]
	v_fma_f32 v34, v27, s44, -v26
	v_rndne_f32_e32 v35, v26
	v_fmac_f32_e32 v34, 0x32a5705f, v27
	v_sub_f32_e32 v26, v26, v35
	v_add_f32_e32 v26, v26, v34
	v_exp_f32_e32 v34, v26
	v_cvt_i32_f32_e32 v35, v35
	v_cndmask_b32_e32 v199, v192, v33, vcc
	v_cmp_ngt_f32_e32 vcc, s58, v27
	v_sub_f32_e32 v17, v17, v47
	v_ldexp_f32 v33, v34, v35
	v_lshl_add_u64 v[34:35], v[98:99], 2, s[2:3]
	v_lshl_add_u64 v[34:35], v[34:35], 0, v[50:51]
	v_cndmask_b32_e64 v35, v173, v35, s[8:9]
	v_cndmask_b32_e64 v34, v191, v34, s[8:9]
	v_cndmask_b32_e32 v33, 0, v33, vcc
	v_cmp_nlt_f32_e32 vcc, s59, v27
	v_mul_f32_e32 v27, 0x3fb8aa3b, v20
	v_sub_f32_e32 v18, v18, v47
	v_cndmask_b32_e32 v201, v192, v33, vcc
	v_cmp_ngt_f32_e32 vcc, s58, v20
	v_sub_f32_e32 v19, v19, v47
	v_sub_f32_e32 v32, v32, v47
	v_mov_b32_e32 v29, s55
	s_waitcnt vmcnt(0) lgkmcnt(0)
	ds_write_b128 v180, v[108:111]
	flat_load_dwordx4 v[108:111], v[34:35]
	v_fma_f32 v34, v20, s44, -v27
	v_rndne_f32_e32 v35, v27
	v_fmac_f32_e32 v34, 0x32a5705f, v20
	v_sub_f32_e32 v27, v27, v35
	v_add_f32_e32 v27, v27, v34
	v_exp_f32_e32 v34, v27
	v_cvt_i32_f32_e32 v35, v35
	v_mov_b32_e32 v30, s55
	v_mov_b32_e32 v31, s55
	v_cndmask_b32_e64 v28, 0, v36, s[12:13]
	v_ldexp_f32 v33, v34, v35
	v_cndmask_b32_e32 v33, 0, v33, vcc
	v_cmp_nlt_f32_e32 vcc, s59, v20
	v_mul_f32_e32 v20, 0x3fb8aa3b, v21
	v_fma_f32 v34, v21, s44, -v20
	v_rndne_f32_e32 v35, v20
	v_fmac_f32_e32 v34, 0x32a5705f, v21
	v_sub_f32_e32 v20, v20, v35
	v_add_f32_e32 v20, v20, v34
	v_exp_f32_e32 v34, v20
	v_cvt_i32_f32_e32 v35, v35
	v_cndmask_b32_e32 v202, v192, v33, vcc
	v_cmp_ngt_f32_e32 vcc, s58, v21
	v_cndmask_b32_e64 v29, v29, v37, s[12:13]
	v_ldexp_f32 v33, v34, v35
	v_cndmask_b32_e32 v33, 0, v33, vcc
	v_cmp_nlt_f32_e32 vcc, s59, v21
	v_mul_f32_e32 v21, 0x3fb8aa3b, v22
	v_fma_f32 v34, v22, s44, -v21
	v_rndne_f32_e32 v35, v21
	v_fmac_f32_e32 v34, 0x32a5705f, v22
	v_sub_f32_e32 v21, v21, v35
	v_add_f32_e32 v21, v21, v34
	v_exp_f32_e32 v34, v21
	v_cvt_i32_f32_e32 v35, v35
	v_cndmask_b32_e32 v203, v192, v33, vcc
	v_cmp_ngt_f32_e32 vcc, s58, v22
	;; [unrolled: 14-line block ×3, first 2 shown]
	v_cndmask_b32_e64 v31, v31, v39, s[12:13]
	v_ldexp_f32 v33, v34, v35
	v_cndmask_b32_e32 v33, 0, v33, vcc
	v_cmp_nlt_f32_e32 vcc, s59, v23
	v_mul_f32_e32 v23, 0x3fb8aa3b, v16
	v_fma_f32 v34, v16, s44, -v23
	v_rndne_f32_e32 v174, v23
	v_fmac_f32_e32 v34, 0x32a5705f, v16
	v_sub_f32_e32 v23, v23, v174
	v_add_f32_e32 v23, v23, v34
	v_lshl_add_u64 v[34:35], v[100:101], 2, s[2:3]
	v_lshl_add_u64 v[34:35], v[34:35], 0, v[50:51]
	v_cndmask_b32_e64 v35, v173, v35, s[10:11]
	v_cndmask_b32_e64 v34, v191, v34, s[10:11]
	v_exp_f32_e32 v175, v23
	v_cndmask_b32_e32 v200, v192, v33, vcc
	v_cmp_ngt_f32_e32 vcc, s58, v16
	v_cmp_ngt_f32_e64 s[2:3], s58, v32
	v_mov_b32_e32 v24, s55
	v_mov_b32_e32 v25, s55
	;; [unrolled: 1-line block ×4, first 2 shown]
	v_cndmask_b32_e64 v24, v24, v205, s[14:15]
	v_cndmask_b32_e64 v25, v25, v206, s[16:17]
	;; [unrolled: 1-line block ×4, first 2 shown]
	v_mov_b32_e32 v20, s55
	v_mov_b32_e32 v21, s55
	s_waitcnt vmcnt(0) lgkmcnt(0)
	ds_write_b128 v181, v[108:111]
	flat_load_dwordx4 v[108:111], v[34:35]
	v_cvt_i32_f32_e32 v34, v174
	v_mov_b32_e32 v22, s55
	v_mov_b32_e32 v23, s55
	v_cndmask_b32_e64 v20, v20, v202, s[22:23]
	v_ldexp_f32 v33, v175, v34
	v_cndmask_b32_e32 v33, 0, v33, vcc
	v_cmp_nlt_f32_e32 vcc, s59, v16
	v_mul_f32_e32 v16, 0x3fb8aa3b, v17
	v_fma_f32 v34, v17, s44, -v16
	v_rndne_f32_e32 v35, v16
	v_fmac_f32_e32 v34, 0x32a5705f, v17
	v_sub_f32_e32 v16, v16, v35
	v_add_f32_e32 v16, v16, v34
	v_exp_f32_e32 v34, v16
	v_cvt_i32_f32_e32 v35, v35
	v_cndmask_b32_e32 v197, v192, v33, vcc
	v_cmp_ngt_f32_e32 vcc, s58, v17
	v_cndmask_b32_e64 v21, v21, v203, s[24:25]
	v_ldexp_f32 v33, v34, v35
	v_cndmask_b32_e32 v33, 0, v33, vcc
	v_cmp_nlt_f32_e32 vcc, s59, v17
	v_mul_f32_e32 v17, 0x3fb8aa3b, v18
	v_fma_f32 v34, v18, s44, -v17
	v_rndne_f32_e32 v35, v17
	v_fmac_f32_e32 v34, 0x32a5705f, v18
	v_sub_f32_e32 v17, v17, v35
	v_add_f32_e32 v17, v17, v34
	v_exp_f32_e32 v34, v17
	v_cvt_i32_f32_e32 v35, v35
	v_cndmask_b32_e32 v198, v192, v33, vcc
	v_cmp_ngt_f32_e32 vcc, s58, v18
	;; [unrolled: 14-line block ×3, first 2 shown]
	v_cndmask_b32_e64 v23, v23, v200, s[28:29]
	v_ldexp_f32 v33, v34, v35
	v_mul_f32_e32 v34, 0x3fb8aa3b, v32
	v_fma_f32 v35, v32, s44, -v34
	v_rndne_f32_e32 v173, v34
	v_fmac_f32_e32 v35, 0x32a5705f, v32
	v_sub_f32_e32 v34, v34, v173
	v_add_f32_e32 v34, v34, v35
	v_exp_f32_e32 v34, v34
	v_cvt_i32_f32_e32 v35, v173
	v_cndmask_b32_e32 v33, 0, v33, vcc
	v_cmp_nlt_f32_e32 vcc, s59, v19
	v_mov_b32_e32 v16, s55
	v_ldexp_f32 v19, v34, v35
	v_cndmask_b32_e64 v19, 0, v19, s[2:3]
	v_cmp_nlt_f32_e64 s[2:3], s59, v32
	v_cndmask_b32_e32 v195, v192, v33, vcc
	v_mov_b32_e32 v17, s55
	v_cndmask_b32_e64 v19, v192, v19, s[2:3]
	v_cmp_le_f32_e64 s[2:3], s60, v32
	v_mov_b32_e32 v18, s55
	v_cndmask_b32_e64 v16, v16, v197, s[0:1]
	v_cndmask_b32_e64 v194, 0, v19, s[2:3]
	v_cvt_f16_f32_e32 v32, v194
	v_mov_b32_e32 v19, s55
	v_cndmask_b32_e64 v17, v17, v198, s[30:31]
	v_cndmask_b32_e64 v18, v18, v196, s[34:35]
	v_mul_u32_u24_e32 v207, 0x10001, v32
	v_pk_mul_f16 v33, v107, v207
	v_pk_mul_f16 v35, v106, v207
	v_cvt_f32_f16_e32 v32, v33
	v_cvt_f32_f16_sdwa v33, v33 dst_sel:DWORD dst_unused:UNUSED_PAD src0_sel:WORD_1
	v_cvt_f32_f16_e32 v34, v35
	v_cvt_f32_f16_sdwa v35, v35 dst_sel:DWORD dst_unused:UNUSED_PAD src0_sel:WORD_1
	s_waitcnt vmcnt(0) lgkmcnt(0)
	ds_write_b128 v182, v[108:111]
	s_waitcnt lgkmcnt(0)
	s_barrier
	ds_read_u16 v106, v186 offset:272
	ds_read_u16 v107, v186 offset:544
	ds_read_u16 v108, v187
	ds_read_u16 v109, v186
	v_cvt_pk_f16_f32 v111, v30, v31
	v_cvt_pk_f16_f32 v110, v28, v29
	v_cndmask_b32_e64 v19, v19, v195, s[36:37]
	s_waitcnt lgkmcnt(1)
	v_perm_b32 v107, v108, v107, s61
	s_waitcnt lgkmcnt(0)
	v_perm_b32 v106, v106, v109, s61
	v_cvt_pk_f16_f32 v109, v26, v27
	v_cvt_pk_f16_f32 v108, v24, v25
	v_mfma_f32_16x16x16_f16 v[28:31], v[106:107], v[110:111], v[32:35]
	s_nop 2
	ds_read_u16 v32, v186 offset:4352
	ds_read_u16 v33, v186 offset:4896
	ds_read_u16 v34, v187 offset:4352
	ds_read_u16 v35, v186 offset:4624
	v_cvt_pk_f16_f32 v107, v22, v23
	v_cvt_pk_f16_f32 v106, v20, v21
	v_cvt_f16_f32_e32 v28, v28
	v_cvt_f16_f32_e32 v29, v29
	v_cvt_f16_f32_e32 v30, v30
	v_cvt_f16_f32_e32 v31, v31
	s_waitcnt lgkmcnt(1)
	v_perm_b32 v33, v34, v33, s61
	s_waitcnt lgkmcnt(0)
	v_perm_b32 v32, v35, v32, s61
	v_cvt_f32_f16_e32 v28, v28
	v_cvt_f32_f16_e32 v29, v29
	;; [unrolled: 1-line block ×4, first 2 shown]
	v_pk_mul_f16 v173, v105, v207
	v_pk_mul_f16 v34, v104, v207
	v_mfma_f32_16x16x16_f16 v[24:27], v[32:33], v[108:109], v[28:31]
	s_nop 2
	ds_read_u16 v28, v186 offset:8704
	ds_read_u16 v29, v186 offset:9248
	;; [unrolled: 1-line block ×4, first 2 shown]
	v_cvt_pk_f16_f32 v105, v18, v19
	v_cvt_pk_f16_f32 v104, v16, v17
	v_cvt_f16_f32_e32 v24, v24
	v_cvt_f16_f32_e32 v25, v25
	;; [unrolled: 1-line block ×4, first 2 shown]
	s_waitcnt lgkmcnt(1)
	v_perm_b32 v29, v30, v29, s61
	s_waitcnt lgkmcnt(0)
	v_perm_b32 v28, v31, v28, s61
	v_cvt_f32_f16_e32 v24, v24
	v_cvt_f32_f16_e32 v25, v25
	;; [unrolled: 1-line block ×4, first 2 shown]
	ds_read_u16 v30, v187 offset:32
	v_pk_mul_f16 v43, v43, v207
	v_mfma_f32_16x16x16_f16 v[20:23], v[28:29], v[106:107], v[24:27]
	s_nop 2
	ds_read_u16 v24, v186 offset:13056
	ds_read_u16 v25, v186 offset:13600
	;; [unrolled: 1-line block ×4, first 2 shown]
	v_cvt_f32_f16_e32 v212, v43
	v_cvt_f32_f16_sdwa v213, v43 dst_sel:DWORD dst_unused:UNUSED_PAD src0_sel:WORD_1
	v_cvt_f16_f32_e32 v20, v20
	v_cvt_f16_f32_e32 v21, v21
	;; [unrolled: 1-line block ×4, first 2 shown]
	s_waitcnt lgkmcnt(1)
	v_perm_b32 v25, v26, v25, s61
	s_waitcnt lgkmcnt(0)
	v_perm_b32 v24, v27, v24, s61
	v_cvt_f32_f16_e32 v20, v20
	v_cvt_f32_f16_e32 v21, v21
	;; [unrolled: 1-line block ×4, first 2 shown]
	ds_read_u16 v26, v186 offset:32
	v_add_f32_e32 v36, v36, v37
	v_mfma_f32_16x16x16_f16 v[16:19], v[24:25], v[104:105], v[20:23]
	s_nop 2
	ds_read_u16 v23, v186 offset:576
	ds_read_u16 v24, v186 offset:304
	v_cvt_f32_f16_e32 v20, v173
	v_cvt_f32_f16_sdwa v21, v173 dst_sel:DWORD dst_unused:UNUSED_PAD src0_sel:WORD_1
	v_cvt_f32_f16_e32 v22, v34
	s_waitcnt lgkmcnt(1)
	v_perm_b32 v25, v30, v23, s61
	s_waitcnt lgkmcnt(0)
	v_perm_b32 v24, v24, v26, s61
	v_cvt_f32_f16_sdwa v23, v34 dst_sel:DWORD dst_unused:UNUSED_PAD src0_sel:WORD_1
	v_add_f32_e32 v36, v36, v38
	v_pk_mul_f16 v41, v41, v207
	v_mfma_f32_16x16x16_f16 v[20:23], v[24:25], v[110:111], v[20:23]
	ds_read_u16 v24, v186 offset:4384
	ds_read_u16 v25, v186 offset:4928
	;; [unrolled: 1-line block ×4, first 2 shown]
	v_pk_mul_f16 v116, v116, v207
	v_pk_mul_f16 v115, v115, v207
	s_nop 1
	v_cvt_f16_f32_e32 v20, v20
	v_cvt_f16_f32_e32 v21, v21
	;; [unrolled: 1-line block ×4, first 2 shown]
	s_waitcnt lgkmcnt(1)
	v_perm_b32 v25, v26, v25, s61
	s_waitcnt lgkmcnt(0)
	v_perm_b32 v24, v27, v24, s61
	v_cvt_f32_f16_e32 v20, v20
	v_cvt_f32_f16_e32 v21, v21
	;; [unrolled: 1-line block ×4, first 2 shown]
	v_cmp_lt_i32_e32 vcc, s50, v145
	s_and_b64 vcc, exec, vcc
	v_mfma_f32_16x16x16_f16 v[20:23], v[24:25], v[108:109], v[20:23]
	ds_read_u16 v24, v186 offset:8736
	ds_read_u16 v25, v186 offset:9280
	;; [unrolled: 1-line block ×4, first 2 shown]
	s_nop 3
	v_cvt_f16_f32_e32 v20, v20
	v_cvt_f16_f32_e32 v21, v21
	;; [unrolled: 1-line block ×4, first 2 shown]
	s_waitcnt lgkmcnt(1)
	v_perm_b32 v25, v26, v25, s61
	s_waitcnt lgkmcnt(0)
	v_perm_b32 v24, v27, v24, s61
	v_cvt_f32_f16_e32 v20, v20
	v_cvt_f32_f16_e32 v21, v21
	;; [unrolled: 1-line block ×4, first 2 shown]
	s_nop 1
	v_mfma_f32_16x16x16_f16 v[20:23], v[24:25], v[106:107], v[20:23]
	ds_read_u16 v24, v186 offset:13088
	ds_read_u16 v25, v186 offset:13632
	;; [unrolled: 1-line block ×8, first 2 shown]
	v_cvt_f16_f32_e32 v20, v20
	v_cvt_f16_f32_e32 v21, v21
	;; [unrolled: 1-line block ×4, first 2 shown]
	s_waitcnt lgkmcnt(5)
	v_perm_b32 v25, v26, v25, s61
	s_waitcnt lgkmcnt(4)
	v_perm_b32 v24, v27, v24, s61
	v_cvt_f32_f16_e32 v20, v20
	v_cvt_f32_f16_e32 v21, v21
	;; [unrolled: 1-line block ×4, first 2 shown]
	v_pk_mul_f16 v26, v144, v207
	v_pk_mul_f16 v27, v143, v207
	s_waitcnt lgkmcnt(1)
	v_perm_b32 v29, v30, v29, s61
	s_waitcnt lgkmcnt(0)
	v_perm_b32 v28, v31, v28, s61
	v_mfma_f32_16x16x16_f16 v[20:23], v[24:25], v[104:105], v[20:23]
	v_cvt_f32_f16_e32 v24, v26
	v_cvt_f32_f16_sdwa v25, v26 dst_sel:DWORD dst_unused:UNUSED_PAD src0_sel:WORD_1
	v_cvt_f32_f16_e32 v26, v27
	v_cvt_f32_f16_sdwa v27, v27 dst_sel:DWORD dst_unused:UNUSED_PAD src0_sel:WORD_1
	s_nop 1
	v_mfma_f32_16x16x16_f16 v[24:27], v[28:29], v[110:111], v[24:27]
	ds_read_u16 v28, v186 offset:4416
	ds_read_u16 v29, v186 offset:4960
	;; [unrolled: 1-line block ×4, first 2 shown]
	s_nop 3
	v_cvt_f16_f32_e32 v24, v24
	v_cvt_f16_f32_e32 v25, v25
	;; [unrolled: 1-line block ×4, first 2 shown]
	s_waitcnt lgkmcnt(1)
	v_perm_b32 v29, v30, v29, s61
	s_waitcnt lgkmcnt(0)
	v_perm_b32 v28, v31, v28, s61
	v_cvt_f32_f16_e32 v24, v24
	v_cvt_f32_f16_e32 v25, v25
	v_cvt_f32_f16_e32 v26, v26
	v_cvt_f32_f16_e32 v27, v27
	s_nop 1
	v_mfma_f32_16x16x16_f16 v[24:27], v[28:29], v[108:109], v[24:27]
	ds_read_u16 v28, v186 offset:8768
	ds_read_u16 v29, v186 offset:9312
	;; [unrolled: 1-line block ×4, first 2 shown]
	s_nop 3
	v_cvt_f16_f32_e32 v24, v24
	v_cvt_f16_f32_e32 v25, v25
	v_cvt_f16_f32_e32 v26, v26
	v_cvt_f16_f32_e32 v27, v27
	s_waitcnt lgkmcnt(1)
	v_perm_b32 v29, v30, v29, s61
	s_waitcnt lgkmcnt(0)
	v_perm_b32 v28, v31, v28, s61
	v_cvt_f32_f16_e32 v24, v24
	v_cvt_f32_f16_e32 v25, v25
	;; [unrolled: 1-line block ×4, first 2 shown]
	s_nop 1
	v_mfma_f32_16x16x16_f16 v[24:27], v[28:29], v[106:107], v[24:27]
	ds_read_u16 v28, v186 offset:13120
	ds_read_u16 v29, v186 offset:13664
	;; [unrolled: 1-line block ×8, first 2 shown]
	v_cvt_f16_f32_e32 v24, v24
	v_cvt_f16_f32_e32 v25, v25
	;; [unrolled: 1-line block ×4, first 2 shown]
	s_waitcnt lgkmcnt(5)
	v_perm_b32 v29, v30, v29, s61
	s_waitcnt lgkmcnt(4)
	v_perm_b32 v28, v31, v28, s61
	v_cvt_f32_f16_e32 v24, v24
	v_cvt_f32_f16_e32 v25, v25
	;; [unrolled: 1-line block ×4, first 2 shown]
	v_pk_mul_f16 v30, v142, v207
	v_pk_mul_f16 v31, v141, v207
	s_waitcnt lgkmcnt(1)
	v_perm_b32 v33, v34, v33, s61
	s_waitcnt lgkmcnt(0)
	v_perm_b32 v32, v35, v32, s61
	v_mfma_f32_16x16x16_f16 v[24:27], v[28:29], v[104:105], v[24:27]
	v_cvt_f32_f16_e32 v28, v30
	v_cvt_f32_f16_sdwa v29, v30 dst_sel:DWORD dst_unused:UNUSED_PAD src0_sel:WORD_1
	v_cvt_f32_f16_e32 v30, v31
	v_cvt_f32_f16_sdwa v31, v31 dst_sel:DWORD dst_unused:UNUSED_PAD src0_sel:WORD_1
	s_nop 1
	v_mfma_f32_16x16x16_f16 v[28:31], v[32:33], v[110:111], v[28:31]
	ds_read_u16 v32, v186 offset:4448
	ds_read_u16 v33, v186 offset:4992
	;; [unrolled: 1-line block ×4, first 2 shown]
	s_nop 3
	v_cvt_f16_f32_e32 v28, v28
	v_cvt_f16_f32_e32 v29, v29
	v_cvt_f16_f32_e32 v30, v30
	v_cvt_f16_f32_e32 v31, v31
	s_waitcnt lgkmcnt(1)
	v_perm_b32 v33, v34, v33, s61
	s_waitcnt lgkmcnt(0)
	v_perm_b32 v32, v35, v32, s61
	v_cvt_f32_f16_e32 v28, v28
	v_cvt_f32_f16_e32 v29, v29
	;; [unrolled: 1-line block ×4, first 2 shown]
	s_nop 1
	v_mfma_f32_16x16x16_f16 v[28:31], v[32:33], v[108:109], v[28:31]
	ds_read_u16 v32, v186 offset:8800
	ds_read_u16 v33, v186 offset:9344
	;; [unrolled: 1-line block ×4, first 2 shown]
	s_nop 3
	v_cvt_f16_f32_e32 v28, v28
	v_cvt_f16_f32_e32 v29, v29
	;; [unrolled: 1-line block ×4, first 2 shown]
	s_waitcnt lgkmcnt(1)
	v_perm_b32 v33, v34, v33, s61
	s_waitcnt lgkmcnt(0)
	v_perm_b32 v32, v35, v32, s61
	v_cvt_f32_f16_e32 v28, v28
	v_cvt_f32_f16_e32 v29, v29
	;; [unrolled: 1-line block ×4, first 2 shown]
	s_nop 1
	v_mfma_f32_16x16x16_f16 v[28:31], v[32:33], v[106:107], v[28:31]
	ds_read_u16 v32, v186 offset:13152
	ds_read_u16 v33, v186 offset:13696
	;; [unrolled: 1-line block ×4, first 2 shown]
	s_nop 3
	v_cvt_f16_f32_e32 v28, v28
	v_cvt_f16_f32_e32 v29, v29
	;; [unrolled: 1-line block ×4, first 2 shown]
	s_waitcnt lgkmcnt(1)
	v_perm_b32 v33, v34, v33, s61
	s_waitcnt lgkmcnt(0)
	v_perm_b32 v32, v35, v32, s61
	v_pk_mul_f16 v34, v138, v207
	v_pk_mul_f16 v35, v137, v207
	ds_read_u16 v137, v186 offset:128
	ds_read_u16 v138, v186 offset:672
	;; [unrolled: 1-line block ×4, first 2 shown]
	v_cvt_f32_f16_e32 v28, v28
	v_cvt_f32_f16_e32 v29, v29
	;; [unrolled: 1-line block ×4, first 2 shown]
	s_waitcnt lgkmcnt(1)
	v_perm_b32 v143, v141, v138, s61
	s_waitcnt lgkmcnt(0)
	v_perm_b32 v142, v142, v137, s61
	v_mfma_f32_16x16x16_f16 v[28:31], v[32:33], v[104:105], v[28:31]
	v_cvt_f32_f16_e32 v32, v34
	v_cvt_f32_f16_sdwa v33, v34 dst_sel:DWORD dst_unused:UNUSED_PAD src0_sel:WORD_1
	v_cvt_f32_f16_e32 v34, v35
	v_cvt_f32_f16_sdwa v35, v35 dst_sel:DWORD dst_unused:UNUSED_PAD src0_sel:WORD_1
	s_nop 1
	v_mfma_f32_16x16x16_f16 v[32:35], v[142:143], v[110:111], v[32:35]
	ds_read_u16 v137, v186 offset:4480
	ds_read_u16 v138, v186 offset:5024
	ds_read_u16 v141, v187 offset:4480
	ds_read_u16 v142, v186 offset:4752
	s_nop 3
	v_cvt_f16_f32_e32 v32, v32
	v_cvt_f16_f32_e32 v33, v33
	v_cvt_f16_f32_e32 v34, v34
	v_cvt_f16_f32_e32 v35, v35
	s_waitcnt lgkmcnt(1)
	v_perm_b32 v143, v141, v138, s61
	s_waitcnt lgkmcnt(0)
	v_perm_b32 v142, v142, v137, s61
	v_cvt_f32_f16_e32 v32, v32
	v_cvt_f32_f16_e32 v33, v33
	v_cvt_f32_f16_e32 v34, v34
	v_cvt_f32_f16_e32 v35, v35
	s_nop 1
	v_mfma_f32_16x16x16_f16 v[32:35], v[142:143], v[108:109], v[32:35]
	ds_read_u16 v137, v186 offset:8832
	ds_read_u16 v138, v186 offset:9376
	ds_read_u16 v141, v187 offset:8832
	ds_read_u16 v142, v186 offset:9104
	s_nop 3
	v_cvt_f16_f32_e32 v32, v32
	v_cvt_f16_f32_e32 v33, v33
	v_cvt_f16_f32_e32 v34, v34
	v_cvt_f16_f32_e32 v35, v35
	s_waitcnt lgkmcnt(1)
	v_perm_b32 v143, v141, v138, s61
	s_waitcnt lgkmcnt(0)
	v_perm_b32 v142, v142, v137, s61
	v_cvt_f32_f16_e32 v32, v32
	v_cvt_f32_f16_e32 v33, v33
	v_cvt_f32_f16_e32 v34, v34
	v_cvt_f32_f16_e32 v35, v35
	;; [unrolled: 19-line block ×3, first 2 shown]
	v_pk_mul_f16 v137, v42, v207
	s_nop 0
	v_mfma_f32_16x16x16_f16 v[32:35], v[142:143], v[104:105], v[32:35]
	ds_read_u16 v42, v186 offset:160
	ds_read_u16 v138, v186 offset:704
	;; [unrolled: 1-line block ×4, first 2 shown]
	v_cvt_f32_f16_e32 v214, v137
	v_cvt_f32_f16_sdwa v215, v137 dst_sel:DWORD dst_unused:UNUSED_PAD src0_sel:WORD_1
	s_waitcnt lgkmcnt(1)
	v_perm_b32 v43, v141, v138, s61
	s_waitcnt lgkmcnt(0)
	v_perm_b32 v42, v142, v42, s61
	ds_read_u16 v141, v186 offset:4512
	ds_read_u16 v142, v186 offset:5056
	;; [unrolled: 1-line block ×4, first 2 shown]
	v_mfma_f32_16x16x16_f16 v[212:215], v[42:43], v[110:111], v[212:215]
	s_nop 7
	v_cvt_f16_f32_e32 v42, v212
	v_cvt_f16_f32_e32 v43, v213
	;; [unrolled: 1-line block ×4, first 2 shown]
	v_cvt_f32_f16_e32 v212, v42
	v_cvt_f32_f16_e32 v213, v43
	s_waitcnt lgkmcnt(1)
	v_perm_b32 v43, v143, v142, s61
	s_waitcnt lgkmcnt(0)
	v_perm_b32 v42, v144, v141, s61
	v_cvt_f32_f16_e32 v214, v137
	v_cvt_f32_f16_e32 v215, v138
	v_add_f32_e32 v137, v36, v39
	v_cndmask_b32_e64 v137, 0, v137, s[12:13]
	v_mfma_f32_16x16x16_f16 v[36:39], v[42:43], v[108:109], v[212:215]
	ds_read_u16 v42, v186 offset:8864
	ds_read_u16 v43, v186 offset:9408
	;; [unrolled: 1-line block ×4, first 2 shown]
	s_nop 3
	v_cvt_f16_f32_e32 v36, v36
	v_cvt_f16_f32_e32 v37, v37
	;; [unrolled: 1-line block ×4, first 2 shown]
	s_waitcnt lgkmcnt(1)
	v_perm_b32 v43, v138, v43, s61
	s_waitcnt lgkmcnt(0)
	v_perm_b32 v42, v141, v42, s61
	v_cvt_f32_f16_e32 v36, v36
	v_cvt_f32_f16_e32 v37, v37
	;; [unrolled: 1-line block ×4, first 2 shown]
	v_add_f32_e32 v138, v205, v137
	v_cndmask_b32_e64 v137, v137, v138, s[14:15]
	v_mfma_f32_16x16x16_f16 v[36:39], v[42:43], v[106:107], v[36:39]
	ds_read_u16 v42, v186 offset:13216
	ds_read_u16 v43, v186 offset:13760
	;; [unrolled: 1-line block ×4, first 2 shown]
	v_cvt_f32_f16_sdwa v205, v115 dst_sel:DWORD dst_unused:UNUSED_PAD src0_sel:WORD_1
	s_nop 2
	v_cvt_f16_f32_e32 v36, v36
	v_cvt_f16_f32_e32 v37, v37
	;; [unrolled: 1-line block ×4, first 2 shown]
	s_waitcnt lgkmcnt(1)
	v_perm_b32 v43, v138, v43, s61
	s_waitcnt lgkmcnt(0)
	v_perm_b32 v42, v141, v42, s61
	v_cvt_f32_f16_e32 v36, v36
	v_cvt_f32_f16_e32 v37, v37
	;; [unrolled: 1-line block ×4, first 2 shown]
	v_pk_mul_f16 v141, v40, v207
	v_cvt_f32_f16_e32 v40, v41
	v_mfma_f32_16x16x16_f16 v[36:39], v[42:43], v[104:105], v[36:39]
	ds_read_u16 v43, v186 offset:192
	ds_read_u16 v142, v186 offset:736
	;; [unrolled: 1-line block ×4, first 2 shown]
	v_cvt_f32_f16_sdwa v41, v41 dst_sel:DWORD dst_unused:UNUSED_PAD src0_sel:WORD_1
	v_cvt_f32_f16_e32 v42, v141
	v_add_f32_e32 v138, v206, v137
	s_waitcnt lgkmcnt(1)
	v_perm_b32 v143, v143, v142, s61
	s_waitcnt lgkmcnt(0)
	v_perm_b32 v142, v144, v43, s61
	v_cvt_f32_f16_sdwa v43, v141 dst_sel:DWORD dst_unused:UNUSED_PAD src0_sel:WORD_1
	v_cndmask_b32_e64 v137, v137, v138, s[16:17]
	v_add_f32_e32 v138, v199, v137
	v_mfma_f32_16x16x16_f16 v[40:43], v[142:143], v[110:111], v[40:43]
	v_cndmask_b32_e64 v137, v137, v138, s[18:19]
	ds_read_u16 v138, v186 offset:4544
	ds_read_u16 v141, v186 offset:5088
	;; [unrolled: 1-line block ×4, first 2 shown]
	s_nop 2
	v_cvt_f16_f32_e32 v40, v40
	v_cvt_f16_f32_e32 v41, v41
	;; [unrolled: 1-line block ×4, first 2 shown]
	s_waitcnt lgkmcnt(1)
	v_perm_b32 v143, v142, v141, s61
	s_waitcnt lgkmcnt(0)
	v_perm_b32 v142, v144, v138, s61
	v_cvt_f32_f16_e32 v40, v40
	v_cvt_f32_f16_e32 v41, v41
	;; [unrolled: 1-line block ×4, first 2 shown]
	v_add_f32_e32 v138, v201, v137
	v_cndmask_b32_e64 v137, v137, v138, s[20:21]
	v_mfma_f32_16x16x16_f16 v[40:43], v[142:143], v[108:109], v[40:43]
	ds_read_u16 v141, v186 offset:8896
	ds_read_u16 v142, v186 offset:9440
	;; [unrolled: 1-line block ×4, first 2 shown]
	v_add_f32_e32 v138, v202, v137
	v_cndmask_b32_e64 v137, v137, v138, s[22:23]
	s_nop 1
	v_cvt_f16_f32_e32 v40, v40
	v_cvt_f16_f32_e32 v41, v41
	;; [unrolled: 1-line block ×4, first 2 shown]
	s_waitcnt lgkmcnt(1)
	v_perm_b32 v143, v143, v142, s61
	s_waitcnt lgkmcnt(0)
	v_perm_b32 v142, v144, v141, s61
	v_cvt_f32_f16_e32 v40, v40
	v_cvt_f32_f16_e32 v41, v41
	;; [unrolled: 1-line block ×4, first 2 shown]
	v_add_f32_e32 v138, v203, v137
	v_cndmask_b32_e64 v137, v137, v138, s[24:25]
	v_mfma_f32_16x16x16_f16 v[40:43], v[142:143], v[106:107], v[40:43]
	ds_read_u16 v138, v186 offset:13248
	ds_read_u16 v141, v186 offset:13792
	;; [unrolled: 1-line block ×4, first 2 shown]
	v_cvt_f32_f16_e32 v202, v116
	v_cvt_f32_f16_sdwa v203, v116 dst_sel:DWORD dst_unused:UNUSED_PAD src0_sel:WORD_1
	s_nop 1
	v_cvt_f16_f32_e32 v40, v40
	v_cvt_f16_f32_e32 v41, v41
	;; [unrolled: 1-line block ×4, first 2 shown]
	s_waitcnt lgkmcnt(1)
	v_perm_b32 v143, v142, v141, s61
	s_waitcnt lgkmcnt(0)
	v_perm_b32 v142, v144, v138, s61
	v_cvt_f32_f16_e32 v40, v40
	v_cvt_f32_f16_e32 v41, v41
	;; [unrolled: 1-line block ×4, first 2 shown]
	v_add_f32_e32 v138, v204, v137
	v_cvt_f32_f16_e32 v204, v115
	v_mfma_f32_16x16x16_f16 v[40:43], v[142:143], v[104:105], v[40:43]
	ds_read_u16 v141, v186 offset:224
	ds_read_u16 v142, v186 offset:768
	;; [unrolled: 1-line block ×4, first 2 shown]
	v_cndmask_b32_e64 v115, v137, v138, s[26:27]
	v_add_f32_e32 v116, v200, v115
	v_cndmask_b32_e64 v115, v115, v116, s[28:29]
	s_waitcnt lgkmcnt(1)
	v_perm_b32 v143, v143, v142, s61
	s_waitcnt lgkmcnt(0)
	v_perm_b32 v142, v144, v141, s61
	v_cvt_pk_f16_f32 v41, v40, v41
	v_cvt_pk_f16_f32 v40, v42, v43
	v_mfma_f32_16x16x16_f16 v[200:203], v[142:143], v[110:111], v[202:205]
	ds_read_u16 v138, v186 offset:4576
	ds_read_u16 v141, v186 offset:5120
	;; [unrolled: 1-line block ×4, first 2 shown]
	v_cvt_pk_f16_f32 v43, v36, v37
	v_cvt_pk_f16_f32 v42, v38, v39
	s_nop 1
	v_cvt_f16_f32_e32 v110, v200
	v_cvt_f16_f32_e32 v111, v201
	;; [unrolled: 1-line block ×4, first 2 shown]
	v_cvt_f32_f16_e32 v200, v110
	v_cvt_f32_f16_e32 v201, v111
	s_waitcnt lgkmcnt(1)
	v_perm_b32 v111, v142, v141, s61
	s_waitcnt lgkmcnt(0)
	v_perm_b32 v110, v143, v138, s61
	v_cvt_f32_f16_e32 v202, v116
	v_cvt_f32_f16_e32 v203, v137
	v_add_f32_e32 v116, v197, v115
	v_cndmask_b32_e64 v115, v115, v116, s[0:1]
	v_mfma_f32_16x16x16_f16 v[108:111], v[110:111], v[108:109], v[200:203]
	v_add_f32_e32 v116, v198, v115
	v_cvt_pk_f16_f32 v144, v24, v25
	v_cvt_pk_f16_f32 v143, v26, v27
	s_nop 4
	v_cvt_f16_f32_e32 v137, v111
	ds_read_u16 v138, v186 offset:8928
	ds_read_u16 v111, v186 offset:9472
	;; [unrolled: 1-line block ×4, first 2 shown]
	v_cvt_f16_f32_e32 v110, v110
	v_cvt_f16_f32_e32 v108, v108
	;; [unrolled: 1-line block ×3, first 2 shown]
	s_waitcnt lgkmcnt(1)
	v_perm_b32 v111, v141, v111, s61
	v_cvt_f32_f16_e32 v200, v110
	s_waitcnt lgkmcnt(0)
	v_perm_b32 v110, v142, v138, s61
	v_cvt_f32_f16_e32 v198, v108
	v_cvt_f32_f16_e32 v199, v109
	;; [unrolled: 1-line block ×3, first 2 shown]
	v_cndmask_b32_e64 v108, v115, v116, s[30:31]
	v_add_f32_e32 v109, v196, v108
	v_mfma_f32_16x16x16_f16 v[196:199], v[110:111], v[106:107], v[198:201]
	ds_read_u16 v107, v186 offset:13280
	ds_read_u16 v115, v186 offset:13824
	;; [unrolled: 1-line block ×4, first 2 shown]
	v_cndmask_b32_e64 v108, v108, v109, s[34:35]
	v_cvt_pk_f16_f32 v138, v32, v33
	s_nop 1
	v_cvt_f16_f32_e32 v110, v197
	v_cvt_f16_f32_e32 v111, v198
	;; [unrolled: 1-line block ×4, first 2 shown]
	v_cvt_f32_f16_e32 v197, v110
	v_cvt_f32_f16_e32 v198, v111
	s_waitcnt lgkmcnt(1)
	v_perm_b32 v111, v116, v115, s61
	s_waitcnt lgkmcnt(0)
	v_perm_b32 v110, v137, v107, s61
	v_cvt_f32_f16_e32 v196, v109
	v_cvt_f32_f16_e32 v199, v106
	v_add_f32_e32 v106, v195, v108
	v_cndmask_b32_e64 v108, v108, v106, s[36:37]
	v_mfma_f32_16x16x16_f16 v[104:107], v[110:111], v[104:105], v[196:199]
	v_fmac_f32_e32 v108, v193, v194
	v_cvt_pk_f16_f32 v137, v34, v35
	v_cvt_pk_f16_f32 v142, v28, v29
	v_cvt_pk_f16_f32 v141, v30, v31
	s_nop 3
	v_cvt_pk_f16_f32 v116, v104, v105
	v_cvt_pk_f16_f32 v115, v106, v107
	;; [unrolled: 1-line block ×6, first 2 shown]
	s_barrier
	s_cbranch_vccz .LBB24_512
; %bb.510:                              ;   in Loop: Header=BB24_497 Depth=1
	v_mov_b32_e32 v193, v108
	v_mov_b32_e32 v32, v47
	s_branch .LBB24_497
.LBB24_511:
	v_mov_b32_e32 v47, 0xfeffffff
	v_mov_b32_e32 v108, 0
	;; [unrolled: 1-line block ×18, first 2 shown]
	s_branch .LBB24_513
.LBB24_512:
	v_mbcnt_lo_u32_b32 v146, -1, 0
.LBB24_513:
	s_lshl_b32 s2, s50, 6
	v_readlane_b32 s0, v254, 4
	s_sub_i32 s44, s0, s2
	v_readlane_b32 s1, v254, 5
	s_cmp_lg_u64 s[42:43], 0
	s_cselect_b64 s[0:1], -1, 0
	s_ashr_i32 s3, s2, 31
	s_cmp_eq_u64 s[42:43], 0
	v_readlane_b32 s45, v254, 12
	v_readlane_b32 s46, v254, 15
	s_cbranch_scc1 .LBB24_547
; %bb.514:
	s_lshl_b64 s[4:5], s[2:3], 1
	s_add_u32 s4, s42, s4
	s_addc_u32 s5, s43, s5
	v_mov_b32_e32 v49, 0
	v_cmp_gt_i32_e32 vcc, s44, v44
	v_lshl_add_u64 v[16:17], s[4:5], 0, v[48:49]
	v_mov_b32_e32 v19, 0
	s_and_saveexec_b64 s[4:5], vcc
	s_cbranch_execz .LBB24_516
; %bb.515:
	v_mul_hi_u32 v18, s56, v118
	v_add_u32_e32 v18, v118, v18
	v_lshrrev_b32_e32 v18, s57, v18
	v_mul_lo_u32 v18, v18, s68
	v_sub_u32_e32 v18, v118, v18
	v_mad_i64_i32 v[18:19], s[6:7], v18, s96, 0
	v_lshl_add_u64 v[18:19], v[18:19], 1, v[16:17]
	global_load_ushort v19, v[18:19], off
.LBB24_516:
	s_or_b64 exec, exec, s[4:5]
	s_movk_i32 s3, 0x90
	v_mad_u32_u24 v18, v172, s3, 0
	v_lshl_add_u32 v20, v44, 1, v18
	s_waitcnt vmcnt(0)
	ds_write_b16 v20, v19 offset:17408
	s_and_saveexec_b64 s[4:5], vcc
	s_cbranch_execz .LBB24_518
; %bb.517:
	v_mul_hi_u32 v19, s56, v119
	v_add_u32_e32 v19, v119, v19
	v_lshrrev_b32_e32 v19, s57, v19
	v_mul_lo_u32 v19, v19, s68
	v_sub_u32_e32 v19, v119, v19
	v_mad_i64_i32 v[20:21], s[6:7], v19, s96, 0
	v_lshl_add_u64 v[20:21], v[20:21], 1, v[16:17]
	global_load_ushort v49, v[20:21], off
.LBB24_518:
	s_or_b64 exec, exec, s[4:5]
	v_add_u32_e32 v19, 0x240, v18
	v_lshl_add_u32 v18, v44, 1, v19
	s_waitcnt vmcnt(0)
	ds_write_b16 v18, v49 offset:17408
	v_mov_b32_e32 v18, 0
	v_mov_b32_e32 v20, 0
	s_and_saveexec_b64 s[4:5], vcc
	s_cbranch_execz .LBB24_520
; %bb.519:
	v_mul_hi_u32 v20, s56, v120
	v_add_u32_e32 v20, v120, v20
	v_lshrrev_b32_e32 v20, s57, v20
	v_mul_lo_u32 v20, v20, s68
	v_sub_u32_e32 v20, v120, v20
	v_mad_i64_i32 v[20:21], s[6:7], v20, s96, 0
	v_lshl_add_u64 v[20:21], v[20:21], 1, v[16:17]
	global_load_ushort v20, v[20:21], off
.LBB24_520:
	s_or_b64 exec, exec, s[4:5]
	v_add_u32_e32 v19, 0x240, v19
	v_lshl_add_u32 v21, v44, 1, v19
	s_waitcnt vmcnt(0)
	ds_write_b16 v21, v20 offset:17408
	s_and_saveexec_b64 s[4:5], vcc
	s_cbranch_execz .LBB24_522
; %bb.521:
	v_mul_hi_u32 v18, s56, v121
	v_add_u32_e32 v18, v121, v18
	v_lshrrev_b32_e32 v18, s57, v18
	v_mul_lo_u32 v18, v18, s68
	v_sub_u32_e32 v18, v121, v18
	v_mad_i64_i32 v[20:21], s[6:7], v18, s96, 0
	v_lshl_add_u64 v[20:21], v[20:21], 1, v[16:17]
	global_load_ushort v18, v[20:21], off
.LBB24_522:
	s_or_b64 exec, exec, s[4:5]
	v_add_u32_e32 v19, 0x240, v19
	v_lshl_add_u32 v20, v44, 1, v19
	s_waitcnt vmcnt(0)
	ds_write_b16 v20, v18 offset:17408
	v_mov_b32_e32 v18, 0
	v_mov_b32_e32 v20, 0
	s_and_saveexec_b64 s[4:5], vcc
	s_cbranch_execz .LBB24_524
; %bb.523:
	v_mul_hi_u32 v20, s56, v122
	v_add_u32_e32 v20, v122, v20
	v_lshrrev_b32_e32 v20, s57, v20
	v_mul_lo_u32 v20, v20, s68
	v_sub_u32_e32 v20, v122, v20
	v_mad_i64_i32 v[20:21], s[6:7], v20, s96, 0
	v_lshl_add_u64 v[20:21], v[20:21], 1, v[16:17]
	global_load_ushort v20, v[20:21], off
.LBB24_524:
	s_or_b64 exec, exec, s[4:5]
	v_add_u32_e32 v19, 0x240, v19
	;; [unrolled: 36-line block ×7, first 2 shown]
	v_lshl_add_u32 v19, v44, 1, v19
	s_waitcnt vmcnt(0)
	ds_write_b16 v19, v20 offset:17408
	s_and_saveexec_b64 s[4:5], vcc
	s_cbranch_execz .LBB24_546
; %bb.545:
	v_mul_hi_u32 v18, s56, v136
	v_add_u32_e32 v18, v136, v18
	v_lshrrev_b32_e32 v18, s57, v18
	v_mul_lo_u32 v18, v18, s68
	v_sub_u32_e32 v18, v136, v18
	v_mad_i64_i32 v[20:21], s[6:7], v18, s96, 0
	v_lshl_add_u64 v[16:17], v[20:21], 1, v[16:17]
	global_load_ushort v18, v[16:17], off
.LBB24_546:
	s_or_b64 exec, exec, s[4:5]
	s_waitcnt vmcnt(0)
	ds_write_b16 v19, v18 offset:17984
.LBB24_547:
	s_mul_hi_i32 s7, s2, s52
	s_mul_i32 s6, s2, s52
	s_lshl_b64 s[6:7], s[6:7], 2
	v_lshl_add_u32 v18, v172, 2, v140
	s_add_u32 s6, s53, s6
	v_mul_lo_u32 v24, s52, v18
	s_addc_u32 s7, s54, s7
	v_and_b32_e32 v16, 60, v139
	v_ashrrev_i32_e32 v25, 31, v24
	s_mov_b64 s[4:5], src_private_base
	v_mov_b32_e32 v17, 0
	v_lshlrev_b32_e32 v16, 2, v16
	v_lshl_add_u64 v[20:21], v[24:25], 2, s[6:7]
	v_lshl_add_u64 v[20:21], v[20:21], 0, v[16:17]
	v_mov_b32_e32 v19, s5
	v_cmp_gt_i32_e64 s[26:27], s44, v18
	v_mov_b32_e32 v28, 0
	v_mov_b32_e32 v30, v17
	;; [unrolled: 1-line block ×5, first 2 shown]
	v_cndmask_b32_e64 v21, v19, v21, s[26:27]
	v_cndmask_b32_e64 v20, v28, v20, s[26:27]
	scratch_store_dwordx4 off, v[30:33], off
	flat_load_dwordx4 v[20:23], v[20:21]
	s_lshl_b32 s3, s52, 4
	v_mul_u32_u24_e32 v25, 0x110, v18
	v_add_u32_e32 v24, s3, v24
	v_add3_u32 v48, 0, v25, v16
	v_ashrrev_i32_e32 v25, 31, v24
	v_add_u32_e32 v29, 16, v18
	v_lshl_add_u64 v[26:27], v[24:25], 2, s[6:7]
	v_lshl_add_u64 v[26:27], v[26:27], 0, v[16:17]
	v_cmp_gt_i32_e64 s[34:35], s44, v29
	v_add_u32_e32 v24, s3, v24
	v_ashrrev_i32_e32 v25, 31, v24
	v_cndmask_b32_e64 v27, v19, v27, s[34:35]
	v_cndmask_b32_e64 v26, v28, v26, s[34:35]
	v_add_u32_e32 v29, 32, v18
	v_cmp_gt_i32_e64 s[30:31], s44, v29
	s_and_b64 vcc, exec, s[0:1]
	s_waitcnt vmcnt(0) lgkmcnt(0)
	ds_write_b128 v48, v[20:23]
	flat_load_dwordx4 v[20:23], v[26:27]
	v_lshl_add_u64 v[26:27], v[24:25], 2, s[6:7]
	v_lshl_add_u64 v[26:27], v[26:27], 0, v[16:17]
	v_cndmask_b32_e64 v27, v19, v27, s[30:31]
	v_cndmask_b32_e64 v26, v28, v26, s[30:31]
	v_add_u32_e32 v24, s3, v24
	v_ashrrev_i32_e32 v25, 31, v24
	v_lshl_add_u64 v[24:25], v[24:25], 2, s[6:7]
	v_lshl_add_u64 v[24:25], v[24:25], 0, v[16:17]
	v_add3_u32 v17, 0, v133, v112
	v_add_u32_e32 v49, 0x2000, v17
	v_add_u32_e32 v62, 0x3000, v17
	s_waitcnt vmcnt(0) lgkmcnt(0)
	ds_write_b128 v48, v[20:23] offset:4352
	flat_load_dwordx4 v[20:23], v[26:27]
	v_add_u32_e32 v26, 48, v18
	v_cmp_gt_i32_e64 s[28:29], s44, v26
	s_waitcnt vmcnt(0) lgkmcnt(0)
	ds_write_b128 v48, v[20:23] offset:8704
	v_cndmask_b32_e64 v25, v19, v25, s[28:29]
	v_cndmask_b32_e64 v24, v28, v24, s[28:29]
	flat_load_dwordx4 v[20:23], v[24:25]
	v_add_u32_e32 v19, 0x1000, v17
	s_waitcnt vmcnt(0) lgkmcnt(0)
	ds_write_b128 v48, v[20:23] offset:13056
	s_waitcnt lgkmcnt(0)
	s_barrier
	ds_read2_b64 v[20:23], v17 offset1:4
	ds_read2_b64 v[28:31], v19 offset0:32 offset1:36
	ds_read2_b64 v[36:39], v49 offset0:64 offset1:68
	;; [unrolled: 1-line block ×3, first 2 shown]
	s_waitcnt lgkmcnt(3)
	v_mfma_f32_16x16x16_f16 v[24:27], v[20:21], v[12:13], 0
	s_waitcnt lgkmcnt(2)
	v_mfma_f32_16x16x16_f16 v[32:35], v[28:29], v[12:13], 0
	;; [unrolled: 2-line block ×4, first 2 shown]
	v_mfma_f32_16x16x16_f16 v[20:23], v[22:23], v[14:15], v[24:27]
	v_mfma_f32_16x16x16_f16 v[24:27], v[30:31], v[14:15], v[32:35]
	v_mfma_f32_16x16x16_f16 v[28:31], v[38:39], v[14:15], v[50:53]
	s_nop 1
	ds_read2_b64 v[32:35], v17 offset0:8 offset1:12
	ds_read2_b64 v[36:39], v19 offset0:40 offset1:44
	v_mfma_f32_16x16x16_f16 v[12:15], v[56:57], v[14:15], v[58:61]
	ds_read2_b64 v[50:53], v49 offset0:72 offset1:76
	ds_read2_b64 v[54:57], v62 offset0:104 offset1:108
	s_waitcnt lgkmcnt(3)
	v_mfma_f32_16x16x16_f16 v[20:23], v[32:33], v[8:9], v[20:23]
	s_waitcnt lgkmcnt(2)
	v_mfma_f32_16x16x16_f16 v[24:27], v[36:37], v[8:9], v[24:27]
	;; [unrolled: 2-line block ×4, first 2 shown]
	v_mfma_f32_16x16x16_f16 v[20:23], v[34:35], v[10:11], v[20:23]
	ds_read2_b64 v[32:35], v19 offset0:48 offset1:52
	v_mfma_f32_16x16x16_f16 v[24:27], v[38:39], v[10:11], v[24:27]
	ds_read2_b64 v[36:39], v49 offset0:80 offset1:84
	;; [unrolled: 2-line block ×3, first 2 shown]
	v_mfma_f32_16x16x16_f16 v[8:11], v[56:57], v[10:11], v[12:15]
	s_nop 2
	ds_read2_b64 v[12:15], v17 offset0:16 offset1:20
	s_waitcnt lgkmcnt(0)
	v_mfma_f32_16x16x16_f16 v[20:23], v[12:13], v[4:5], v[20:23]
	v_mfma_f32_16x16x16_f16 v[24:27], v[32:33], v[4:5], v[24:27]
	;; [unrolled: 1-line block ×6, first 2 shown]
	ds_read2_b64 v[32:35], v49 offset0:88 offset1:92
	v_mfma_f32_16x16x16_f16 v[24:27], v[38:39], v[6:7], v[28:31]
	v_mfma_f32_16x16x16_f16 v[4:7], v[52:53], v[6:7], v[8:11]
	s_nop 1
	ds_read2_b64 v[28:31], v19 offset0:56 offset1:60
	ds_read2_b64 v[50:53], v62 offset0:120 offset1:124
	;; [unrolled: 1-line block ×3, first 2 shown]
	s_waitcnt lgkmcnt(0)
	v_mfma_f32_16x16x16_f16 v[12:15], v[8:9], v[0:1], v[12:15]
	s_barrier
	v_mfma_f32_16x16x16_f16 v[20:23], v[28:29], v[0:1], v[20:23]
	v_mfma_f32_16x16x16_f16 v[36:39], v[32:33], v[0:1], v[24:27]
	v_mfma_f32_16x16x16_f16 v[4:7], v[50:51], v[0:1], v[4:7]
	v_mfma_f32_16x16x16_f16 v[24:27], v[10:11], v[2:3], v[12:15]
	v_mfma_f32_16x16x16_f16 v[28:31], v[30:31], v[2:3], v[20:23]
	s_nop 1
	v_and_b32_e32 v15, 0xfc, v117
	v_add_u32_e32 v0, 16, v15
	v_add_u32_e32 v14, 18, v15
	v_mfma_f32_16x16x16_f16 v[32:35], v[34:35], v[2:3], v[36:39]
	v_add_u32_e32 v19, 32, v15
	v_add_u32_e32 v51, 34, v15
	;; [unrolled: 1-line block ×3, first 2 shown]
	v_mfma_f32_16x16x16_f16 v[36:39], v[52:53], v[2:3], v[4:7]
	v_add_u32_e32 v53, 48, v15
	s_cbranch_vccz .LBB24_549
; %bb.548:
	s_movk_i32 s0, 0x90
	v_mad_u32_u24 v49, v124, s0, 0
	v_add_u32_e32 v1, v49, v123
	ds_read_b32 v7, v1 offset:17408
	v_add_u32_e32 v17, 16, v15
	v_lshlrev_b32_e32 v1, 1, v17
	s_movk_i32 s0, 0x4400
	v_add3_u32 v3, v49, v1, s0
	v_add_u32_e32 v1, 32, v15
	v_lshlrev_b32_e32 v4, 1, v1
	v_lshl_add_u32 v2, v15, 1, v49
	v_add3_u32 v4, v49, v4, s0
	ds_read_b32 v9, v2 offset:17408
	ds_read2_b32 v[2:3], v3 offset1:1
	ds_read2_b32 v[4:5], v4 offset1:1
	s_waitcnt lgkmcnt(3)
	v_cvt_f32_f16_e32 v6, v7
	v_cvt_f32_f16_sdwa v7, v7 dst_sel:DWORD dst_unused:UNUSED_PAD src0_sel:WORD_1
	v_add_u32_e32 v52, 48, v15
	s_waitcnt lgkmcnt(1)
	v_cvt_f32_f16_e32 v10, v3
	v_cvt_f32_f16_sdwa v11, v3 dst_sel:DWORD dst_unused:UNUSED_PAD src0_sel:WORD_1
	v_pk_fma_f32 v[22:23], v[46:47], v[6:7], v[26:27] op_sel_hi:[0,1,1]
	v_cvt_f32_f16_e32 v6, v2
	v_cvt_f32_f16_sdwa v7, v2 dst_sel:DWORD dst_unused:UNUSED_PAD src0_sel:WORD_1
	s_waitcnt lgkmcnt(0)
	v_cvt_f32_f16_e32 v2, v5
	v_cvt_f32_f16_sdwa v3, v5 dst_sel:DWORD dst_unused:UNUSED_PAD src0_sel:WORD_1
	v_lshlrev_b32_e32 v5, 1, v52
	v_add3_u32 v5, v49, v5, s0
	v_pk_fma_f32 v[12:13], v[46:47], v[10:11], v[30:31] op_sel_hi:[0,1,1]
	v_pk_fma_f32 v[10:11], v[46:47], v[6:7], v[28:29] op_sel_hi:[0,1,1]
	ds_read2_b32 v[6:7], v5 offset1:1
	v_cvt_f32_f16_e32 v8, v9
	v_cvt_f32_f16_sdwa v9, v9 dst_sel:DWORD dst_unused:UNUSED_PAD src0_sel:WORD_1
	v_cvt_f32_f16_e32 v60, v4
	v_cvt_f32_f16_sdwa v61, v4 dst_sel:DWORD dst_unused:UNUSED_PAD src0_sel:WORD_1
	s_waitcnt lgkmcnt(0)
	v_cvt_f32_f16_e32 v4, v7
	v_pk_fma_f32 v[20:21], v[46:47], v[8:9], v[24:25] op_sel_hi:[0,1,1]
	v_pk_fma_f32 v[8:9], v[46:47], v[2:3], v[34:35] op_sel_hi:[0,1,1]
	v_cvt_f32_f16_e32 v2, v6
	v_cvt_f32_f16_sdwa v5, v7 dst_sel:DWORD dst_unused:UNUSED_PAD src0_sel:WORD_1
	v_cvt_f32_f16_sdwa v3, v6 dst_sel:DWORD dst_unused:UNUSED_PAD src0_sel:WORD_1
	v_add_u32_e32 v57, 18, v15
	v_add_u32_e32 v58, 34, v15
	v_pk_fma_f32 v[6:7], v[46:47], v[60:61], v[32:33] op_sel_hi:[0,1,1]
	v_add_u32_e32 v54, 50, v15
	v_pk_fma_f32 v[4:5], v[46:47], v[4:5], v[38:39] op_sel_hi:[0,1,1]
	v_pk_fma_f32 v[2:3], v[46:47], v[2:3], v[36:37] op_sel_hi:[0,1,1]
	s_mov_b64 s[0:1], 0
	s_branch .LBB24_550
.LBB24_549:
	s_mov_b64 s[0:1], -1
                                        ; implicit-def: $vgpr20_vgpr21_vgpr22_vgpr23
                                        ; implicit-def: $vgpr10_vgpr11_vgpr12_vgpr13
                                        ; implicit-def: $vgpr6_vgpr7_vgpr8_vgpr9
                                        ; implicit-def: $vgpr2_vgpr3_vgpr4_vgpr5
                                        ; implicit-def: $vgpr17
                                        ; implicit-def: $vgpr57
                                        ; implicit-def: $vgpr1
                                        ; implicit-def: $vgpr58
                                        ; implicit-def: $vgpr52
                                        ; implicit-def: $vgpr54
.LBB24_550:
	v_add_u32_e32 v50, 0x1100, v48
	v_add_u32_e32 v49, 0x2200, v48
	s_andn2_b64 vcc, exec, s[0:1]
	v_add_u32_e32 v56, 0x3300, v48
	s_cbranch_vccnz .LBB24_552
; %bb.551:
	v_mov_b64_e32 v[2:3], v[36:37]
	v_mov_b64_e32 v[6:7], v[32:33]
	;; [unrolled: 1-line block ×4, first 2 shown]
	v_mov_b32_e32 v54, v55
	v_mov_b32_e32 v52, v53
	;; [unrolled: 1-line block ×6, first 2 shown]
	v_mov_b64_e32 v[4:5], v[38:39]
	v_mov_b64_e32 v[8:9], v[34:35]
	;; [unrolled: 1-line block ×4, first 2 shown]
.LBB24_552:
	v_add_f32_e32 v0, 0x40051340, v20
	v_max_f32_e32 v14, v47, v47
	v_max_f32_e32 v0, v14, v0
	v_cmp_gt_u32_e64 s[36:37], s44, v15
	v_or_b32_e32 v14, 1, v15
	v_add_f32_e32 v19, 0x40051340, v21
	v_cndmask_b32_e64 v0, v47, v0, s[36:37]
	v_max_f32_e32 v24, v0, v0
	v_max_f32_e32 v19, v24, v19
	v_cmp_gt_u32_e64 s[24:25], s44, v14
	v_or_b32_e32 v14, 2, v15
	v_cmp_gt_u32_e64 s[20:21], s44, v14
	v_cndmask_b32_e64 v0, v0, v19, s[24:25]
	v_add_f32_e32 v19, 0x40051340, v22
	v_max_f32_e32 v24, v0, v0
	v_max_f32_e32 v19, v24, v19
	v_cndmask_b32_e64 v0, v0, v19, s[20:21]
	v_or_b32_e32 v30, 3, v117
	v_add_f32_e32 v14, 0x40051340, v23
	v_max_f32_e32 v19, v0, v0
	v_max_f32_e32 v14, v19, v14
	v_cmp_gt_u32_e64 s[22:23], s44, v30
	v_cmp_gt_u32_e64 s[18:19], s44, v17
	v_add_f32_e32 v17, 0x40051340, v11
	v_cndmask_b32_e64 v0, v0, v14, s[22:23]
	v_add_f32_e32 v14, 0x40051340, v10
	v_max_f32_e32 v19, v0, v0
	v_max_f32_e32 v14, v19, v14
	v_cndmask_b32_e64 v0, v0, v14, s[18:19]
	v_add_u32_e32 v14, 17, v15
	v_max_f32_e32 v19, v0, v0
	v_max_f32_e32 v17, v19, v17
	v_cmp_gt_u32_e64 s[16:17], s44, v14
	v_add_f32_e32 v14, 0x40051340, v12
	v_cmp_gt_u32_e64 s[14:15], s44, v57
	v_cndmask_b32_e64 v0, v0, v17, s[16:17]
	v_max_f32_e32 v17, v0, v0
	v_max_f32_e32 v14, v17, v14
	v_cndmask_b32_e64 v0, v0, v14, s[14:15]
	v_add_u32_e32 v14, 19, v15
	v_add_f32_e32 v17, 0x40051340, v13
	v_max_f32_e32 v19, v0, v0
	v_max_f32_e32 v17, v19, v17
	v_cmp_gt_u32_e64 s[10:11], s44, v14
	v_add_f32_e32 v14, 0x40051340, v6
	v_cmp_gt_u32_e64 s[12:13], s44, v1
	v_cndmask_b32_e64 v0, v0, v17, s[10:11]
	v_max_f32_e32 v17, v0, v0
	v_max_f32_e32 v14, v17, v14
	v_cndmask_b32_e64 v0, v0, v14, s[12:13]
	v_add_u32_e32 v1, 33, v15
	v_add_f32_e32 v14, 0x40051340, v7
	;; [unrolled: 11-line block ×4, first 2 shown]
	v_max_f32_e32 v17, v0, v0
	v_max_f32_e32 v14, v17, v14
	v_cmp_gt_u32_e64 s[38:39], s44, v1
	v_add_f32_e32 v1, 0x40051340, v4
	s_mul_hi_i32 s3, s2, s70
	v_cndmask_b32_e64 v0, v0, v14, s[38:39]
	v_max_f32_e32 v14, v0, v0
	s_mul_i32 s2, s2, s70
	v_max_f32_e32 v1, v14, v1
	v_cmp_gt_u32_e32 vcc, s44, v54
	s_lshl_b64 s[2:3], s[2:3], 2
	s_add_u32 s2, s33, s2
	v_cndmask_b32_e32 v14, v0, v1, vcc
	v_mul_lo_u32 v0, s70, v18
	s_addc_u32 s3, s51, s3
	v_ashrrev_i32_e32 v1, 31, v0
	s_mov_b64 s[40:41], src_private_base
	v_lshl_add_u64 v[18:19], v[0:1], 2, s[2:3]
	v_mov_b32_e32 v17, 0
	v_lshl_add_u64 v[18:19], v[18:19], 0, v[16:17]
	v_mov_b32_e32 v36, s41
	v_mov_b32_e32 v37, 0
	v_cndmask_b32_e64 v25, v36, v19, s[26:27]
	v_cndmask_b32_e64 v24, v37, v18, s[26:27]
	s_lshl_b32 s26, s70, 4
	v_add_u32_e32 v0, s26, v0
	v_ashrrev_i32_e32 v1, 31, v0
	v_lshl_add_u64 v[18:19], v[0:1], 2, s[2:3]
	v_add_u32_e32 v0, s26, v0
	v_ashrrev_i32_e32 v1, 31, v0
	v_lshl_add_u64 v[26:27], v[18:19], 0, v[16:17]
	v_lshl_add_u64 v[18:19], v[0:1], 2, s[2:3]
	v_add_u32_e32 v0, s26, v0
	v_ashrrev_i32_e32 v1, 31, v0
	v_lshl_add_u64 v[0:1], v[0:1], 2, s[2:3]
	v_lshl_add_u64 v[28:29], v[18:19], 0, v[16:17]
	;; [unrolled: 1-line block ×3, first 2 shown]
	v_mov_b32_e32 v16, v17
	v_mov_b32_e32 v18, v17
	;; [unrolled: 1-line block ×3, first 2 shown]
	scratch_store_dwordx4 off, v[16:19], off
	flat_load_dwordx4 v[16:19], v[24:25]
	v_add_u32_e32 v31, 51, v15
	v_add_f32_e32 v34, 0x40051340, v5
	v_max_f32_e32 v0, v14, v14
	v_max_f32_e32 v0, v0, v34
	v_cmp_gt_u32_e64 s[26:27], s44, v31
	v_mbcnt_hi_u32_b32 v1, -1, v146
	v_xor_b32_e32 v24, 32, v1
	v_cndmask_b32_e64 v0, v14, v0, s[26:27]
	v_and_b32_e32 v14, 64, v1
	v_add_u32_e32 v14, 64, v14
	v_cmp_lt_i32_e64 s[2:3], v24, v14
	s_mov_b32 s42, 0x3fb8aa3b
	s_mov_b32 s40, 0xc2ce8ed0
	v_cndmask_b32_e64 v24, v1, v24, s[2:3]
	v_lshlrev_b32_e32 v35, 2, v24
	ds_bpermute_b32 v24, v35, v0
	v_max_f32_e32 v0, v0, v0
	s_mov_b32 s41, 0x42b17218
	v_mov_b32_e32 v31, 0x7f800000
	v_cndmask_b32_e64 v29, v36, v29, s[30:31]
	s_waitcnt lgkmcnt(0)
	v_max_f32_e32 v24, v24, v24
	v_max_f32_e32 v0, v0, v24
	v_xor_b32_e32 v24, 16, v1
	v_cmp_lt_i32_e64 s[2:3], v24, v14
	v_cndmask_b32_e64 v28, v37, v28, s[30:31]
	s_mov_b32 s33, 0
	v_cndmask_b32_e64 v1, v1, v24, s[2:3]
	v_lshlrev_b32_e32 v46, 2, v1
	ds_bpermute_b32 v1, v46, v0
	v_cndmask_b32_e64 v33, v36, v33, s[28:29]
	v_cndmask_b32_e64 v32, v37, v32, s[28:29]
	s_waitcnt lgkmcnt(0)
	v_max_f32_e32 v1, v1, v1
	v_max_f32_e32 v34, v0, v1
	v_sub_f32_e32 v0, v20, v34
	v_mul_f32_e32 v1, 0x3fb8aa3b, v0
	v_fma_f32 v14, v0, s42, -v1
	v_rndne_f32_e32 v20, v1
	v_fmac_f32_e32 v14, 0x32a5705f, v0
	v_sub_f32_e32 v1, v1, v20
	v_add_f32_e32 v1, v1, v14
	v_exp_f32_e32 v1, v1
	v_cvt_i32_f32_e32 v14, v20
	v_cmp_ngt_f32_e64 s[2:3], s40, v0
	v_sub_f32_e32 v10, v10, v34
	v_sub_f32_e32 v11, v11, v34
	v_ldexp_f32 v1, v1, v14
	v_sub_f32_e32 v14, v21, v34
	v_mul_f32_e32 v20, 0x3fb8aa3b, v14
	v_fma_f32 v21, v14, s42, -v20
	v_rndne_f32_e32 v24, v20
	v_fmac_f32_e32 v21, 0x32a5705f, v14
	v_sub_f32_e32 v20, v20, v24
	v_add_f32_e32 v20, v20, v21
	v_exp_f32_e32 v20, v20
	v_cvt_i32_f32_e32 v21, v24
	v_cndmask_b32_e64 v1, 0, v1, s[2:3]
	v_cmp_nlt_f32_e64 s[2:3], s41, v0
	v_sub_f32_e32 v24, v22, v34
	v_sub_f32_e32 v12, v12, v34
	v_cndmask_b32_e64 v0, v31, v1, s[2:3]
	v_ldexp_f32 v1, v20, v21
	v_mul_f32_e32 v20, 0x3fb8aa3b, v24
	v_fma_f32 v21, v24, s42, -v20
	v_rndne_f32_e32 v22, v20
	v_fmac_f32_e32 v21, 0x32a5705f, v24
	v_sub_f32_e32 v20, v20, v22
	v_add_f32_e32 v20, v20, v21
	v_exp_f32_e32 v20, v20
	v_cvt_i32_f32_e32 v21, v22
	v_cmp_ngt_f32_e64 s[2:3], s40, v14
	v_sub_f32_e32 v13, v13, v34
	v_sub_f32_e32 v6, v6, v34
	v_cndmask_b32_e64 v1, 0, v1, s[2:3]
	v_cmp_nlt_f32_e64 s[2:3], s41, v14
	v_ldexp_f32 v14, v20, v21
	v_cndmask_b32_e64 v21, v36, v27, s[34:35]
	v_cndmask_b32_e64 v20, v37, v26, s[34:35]
	s_waitcnt vmcnt(0)
	ds_write_b128 v48, v[16:19]
	flat_load_dwordx4 v[16:19], v[20:21]
	v_sub_f32_e32 v20, v23, v34
	v_mul_f32_e32 v21, 0x3fb8aa3b, v20
	v_fma_f32 v23, v20, s42, -v21
	v_rndne_f32_e32 v25, v21
	v_fmac_f32_e32 v23, 0x32a5705f, v20
	v_sub_f32_e32 v21, v21, v25
	v_add_f32_e32 v21, v21, v23
	v_exp_f32_e32 v21, v21
	v_cvt_i32_f32_e32 v25, v25
	v_cndmask_b32_e64 v22, v31, v1, s[2:3]
	v_cmp_ngt_f32_e64 s[2:3], s40, v24
	v_sub_f32_e32 v7, v7, v34
	v_ldexp_f32 v21, v21, v25
	v_cndmask_b32_e64 v14, 0, v14, s[2:3]
	v_cmp_nlt_f32_e64 s[2:3], s41, v24
	v_mul_f32_e32 v24, 0x3fb8aa3b, v10
	v_fma_f32 v25, v10, s42, -v24
	v_rndne_f32_e32 v26, v24
	v_fmac_f32_e32 v25, 0x32a5705f, v10
	v_sub_f32_e32 v24, v24, v26
	v_add_f32_e32 v24, v24, v25
	v_exp_f32_e32 v25, v24
	v_cvt_i32_f32_e32 v26, v26
	v_cndmask_b32_e64 v23, v31, v14, s[2:3]
	v_cmp_ngt_f32_e64 s[2:3], s40, v20
	v_sub_f32_e32 v8, v8, v34
	v_sub_f32_e32 v9, v9, v34
	v_cndmask_b32_e64 v21, 0, v21, s[2:3]
	v_cmp_nlt_f32_e64 s[2:3], s41, v20
	v_sub_f32_e32 v2, v2, v34
	v_sub_f32_e32 v3, v3, v34
	v_cndmask_b32_e64 v24, v31, v21, s[2:3]
	v_mov_b32_e32 v21, s33
	v_cndmask_b32_e64 v20, v21, v24, s[22:23]
	v_ldexp_f32 v21, v25, v26
	v_mul_f32_e32 v25, 0x3fb8aa3b, v11
	v_fma_f32 v26, v11, s42, -v25
	v_rndne_f32_e32 v27, v25
	v_fmac_f32_e32 v26, 0x32a5705f, v11
	v_sub_f32_e32 v25, v25, v27
	v_add_f32_e32 v25, v25, v26
	v_exp_f32_e32 v26, v25
	v_cvt_i32_f32_e32 v27, v27
	v_cmp_ngt_f32_e64 s[2:3], s40, v10
	v_sub_f32_e32 v4, v4, v34
	v_sub_f32_e32 v5, v5, v34
	v_cndmask_b32_e64 v21, 0, v21, s[2:3]
	v_cmp_nlt_f32_e64 s[2:3], s41, v10
	v_mov_b32_e32 v1, s33
	v_mov_b32_e32 v14, s33
	v_cndmask_b32_e64 v25, v31, v21, s[2:3]
	v_ldexp_f32 v21, v26, v27
	v_mul_f32_e32 v26, 0x3fb8aa3b, v12
	v_fma_f32 v27, v12, s42, -v26
	v_rndne_f32_e32 v38, v26
	v_fmac_f32_e32 v27, 0x32a5705f, v12
	v_sub_f32_e32 v26, v26, v38
	v_add_f32_e32 v26, v26, v27
	v_exp_f32_e32 v26, v26
	v_cvt_i32_f32_e32 v38, v38
	v_cmp_ngt_f32_e64 s[2:3], s40, v11
	v_cndmask_b32_e64 v0, 0, v0, s[36:37]
	v_cndmask_b32_e64 v1, v1, v22, s[24:25]
	;; [unrolled: 1-line block ×3, first 2 shown]
	v_cmp_nlt_f32_e64 s[2:3], s41, v11
	v_cndmask_b32_e64 v14, v14, v23, s[20:21]
	v_mov_b32_e32 v10, s33
	v_cndmask_b32_e64 v27, v31, v21, s[2:3]
	v_ldexp_f32 v21, v26, v38
	v_cmp_ngt_f32_e64 s[2:3], s40, v12
	v_mov_b32_e32 v11, s33
	v_cndmask_b32_e64 v10, v10, v25, s[18:19]
	v_cndmask_b32_e64 v21, 0, v21, s[2:3]
	v_cmp_nlt_f32_e64 s[2:3], s41, v12
	v_mov_b32_e32 v12, s33
	v_cndmask_b32_e64 v11, v11, v27, s[16:17]
	v_cndmask_b32_e64 v26, v31, v21, s[2:3]
	v_mul_f32_e32 v21, 0x3fb8aa3b, v13
	v_fma_f32 v38, v13, s42, -v21
	s_waitcnt vmcnt(0) lgkmcnt(0)
	ds_write_b128 v50, v[16:19]
	flat_load_dwordx4 v[16:19], v[28:29]
	v_rndne_f32_e32 v39, v21
	v_fmac_f32_e32 v38, 0x32a5705f, v13
	v_sub_f32_e32 v21, v21, v39
	v_add_f32_e32 v21, v21, v38
	v_exp_f32_e32 v21, v21
	v_cvt_i32_f32_e32 v38, v39
	v_mul_f32_e32 v28, 0x3fb8aa3b, v6
	v_fma_f32 v29, v6, s42, -v28
	v_fmac_f32_e32 v29, 0x32a5705f, v6
	v_ldexp_f32 v21, v21, v38
	v_rndne_f32_e32 v38, v28
	v_sub_f32_e32 v28, v28, v38
	v_add_f32_e32 v28, v28, v29
	v_exp_f32_e32 v29, v28
	v_cvt_i32_f32_e32 v38, v38
	v_cmp_ngt_f32_e64 s[2:3], s40, v13
	v_cndmask_b32_e64 v12, v12, v26, s[14:15]
	s_waitcnt vmcnt(0) lgkmcnt(0)
	ds_write_b128 v49, v[16:19]
	v_cndmask_b32_e64 v21, 0, v21, s[2:3]
	v_cmp_nlt_f32_e64 s[2:3], s41, v13
	v_mul_f32_e32 v17, 0x3fb8aa3b, v3
	v_fma_f32 v18, v3, s42, -v17
	v_cndmask_b32_e64 v28, v31, v21, s[2:3]
	v_ldexp_f32 v21, v29, v38
	v_mul_f32_e32 v29, 0x3fb8aa3b, v7
	v_fma_f32 v38, v7, s42, -v29
	v_rndne_f32_e32 v39, v29
	v_fmac_f32_e32 v38, 0x32a5705f, v7
	v_sub_f32_e32 v29, v29, v39
	v_add_f32_e32 v29, v29, v38
	v_exp_f32_e32 v38, v29
	v_cvt_i32_f32_e32 v39, v39
	v_cmp_ngt_f32_e64 s[2:3], s40, v6
	v_rndne_f32_e32 v19, v17
	v_fmac_f32_e32 v18, 0x32a5705f, v3
	v_cndmask_b32_e64 v21, 0, v21, s[2:3]
	v_cmp_nlt_f32_e64 s[2:3], s41, v6
	v_sub_f32_e32 v17, v17, v19
	v_add_f32_e32 v17, v17, v18
	v_cndmask_b32_e64 v29, v31, v21, s[2:3]
	v_ldexp_f32 v21, v38, v39
	v_mul_f32_e32 v38, 0x3fb8aa3b, v8
	v_fma_f32 v39, v8, s42, -v38
	v_rndne_f32_e32 v48, v38
	v_fmac_f32_e32 v39, 0x32a5705f, v8
	v_sub_f32_e32 v38, v38, v48
	v_add_f32_e32 v38, v38, v39
	v_exp_f32_e32 v38, v38
	v_cvt_i32_f32_e32 v39, v48
	v_cmp_ngt_f32_e64 s[2:3], s40, v7
	v_exp_f32_e32 v17, v17
	v_cvt_i32_f32_e32 v18, v19
	v_cndmask_b32_e64 v21, 0, v21, s[2:3]
	v_cmp_nlt_f32_e64 s[2:3], s41, v7
	v_mov_b32_e32 v13, s33
	v_cndmask_b32_e64 v13, v13, v28, s[10:11]
	v_cndmask_b32_e64 v48, v31, v21, s[2:3]
	v_ldexp_f32 v21, v38, v39
	v_mul_f32_e32 v38, 0x3fb8aa3b, v9
	v_fma_f32 v39, v9, s42, -v38
	v_rndne_f32_e32 v50, v38
	v_fmac_f32_e32 v39, 0x32a5705f, v9
	v_sub_f32_e32 v38, v38, v50
	v_add_f32_e32 v38, v38, v39
	v_exp_f32_e32 v38, v38
	v_cvt_i32_f32_e32 v39, v50
	v_cmp_ngt_f32_e64 s[2:3], s40, v8
	v_mov_b32_e32 v6, s33
	v_mov_b32_e32 v7, s33
	v_cndmask_b32_e64 v21, 0, v21, s[2:3]
	v_cmp_nlt_f32_e64 s[2:3], s41, v8
	v_mov_b32_e32 v8, s33
	v_cndmask_b32_e64 v6, v6, v29, s[12:13]
	v_cndmask_b32_e64 v50, v31, v21, s[2:3]
	v_ldexp_f32 v21, v38, v39
	v_mul_f32_e32 v38, 0x3fb8aa3b, v2
	v_fma_f32 v39, v2, s42, -v38
	v_rndne_f32_e32 v51, v38
	v_fmac_f32_e32 v39, 0x32a5705f, v2
	v_sub_f32_e32 v38, v38, v51
	v_add_f32_e32 v38, v38, v39
	v_exp_f32_e32 v52, v38
	flat_load_dwordx4 v[36:39], v[32:33]
	v_cvt_i32_f32_e32 v51, v51
	v_cmp_ngt_f32_e64 s[2:3], s40, v9
	v_mov_b32_e32 v33, s33
	v_cndmask_b32_e64 v7, v7, v48, s[8:9]
	v_cndmask_b32_e64 v21, 0, v21, s[2:3]
	v_cmp_nlt_f32_e64 s[2:3], s41, v9
	v_ldexp_f32 v16, v52, v51
	v_mov_b32_e32 v9, s33
	v_cndmask_b32_e64 v49, v31, v21, s[2:3]
	v_cmp_ngt_f32_e64 s[2:3], s40, v2
	v_cndmask_b32_e64 v8, v8, v50, s[6:7]
	v_cndmask_b32_e64 v9, v9, v49, s[4:5]
	;; [unrolled: 1-line block ×3, first 2 shown]
	v_cmp_nlt_f32_e64 s[2:3], s41, v2
	v_mov_b32_e32 v2, s33
	s_waitcnt vmcnt(0) lgkmcnt(0)
	ds_write_b128 v56, v[36:39]
	v_cndmask_b32_e64 v52, v31, v16, s[2:3]
	v_ldexp_f32 v16, v17, v18
	v_mul_f32_e32 v17, 0x3fb8aa3b, v4
	v_fma_f32 v18, v4, s42, -v17
	v_rndne_f32_e32 v19, v17
	v_fmac_f32_e32 v18, 0x32a5705f, v4
	v_sub_f32_e32 v17, v17, v19
	v_add_f32_e32 v17, v17, v18
	v_exp_f32_e32 v17, v17
	v_cvt_i32_f32_e32 v18, v19
	v_cmp_ngt_f32_e64 s[2:3], s40, v3
	s_waitcnt lgkmcnt(0)
	s_barrier
	v_cndmask_b32_e64 v16, 0, v16, s[2:3]
	v_cmp_nlt_f32_e64 s[2:3], s41, v3
	v_mov_b32_e32 v3, s33
	s_nop 0
	v_cndmask_b32_e64 v53, v31, v16, s[2:3]
	v_ldexp_f32 v16, v17, v18
	v_cmp_ngt_f32_e64 s[2:3], s40, v4
	v_sub_f32_e32 v18, v47, v34
	v_cndmask_b32_e64 v2, v2, v52, s[0:1]
	v_cndmask_b32_e64 v16, 0, v16, s[2:3]
	v_cmp_nlt_f32_e64 s[2:3], s41, v4
	v_mul_f32_e32 v4, 0x3fb8aa3b, v5
	v_rndne_f32_e32 v17, v4
	v_cndmask_b32_e64 v51, v31, v16, s[2:3]
	v_fma_f32 v16, v5, s42, -v4
	v_fmac_f32_e32 v16, 0x32a5705f, v5
	v_sub_f32_e32 v4, v4, v17
	v_add_f32_e32 v4, v4, v16
	v_exp_f32_e32 v16, v4
	v_mul_f32_e32 v4, 0x3fb8aa3b, v18
	v_fma_f32 v19, v18, s42, -v4
	v_rndne_f32_e32 v21, v4
	v_fmac_f32_e32 v19, 0x32a5705f, v18
	v_sub_f32_e32 v4, v4, v21
	v_add_f32_e32 v4, v4, v19
	v_cvt_i32_f32_e32 v17, v17
	v_exp_f32_e32 v19, v4
	v_cvt_i32_f32_e32 v21, v21
	v_cmp_ngt_f32_e64 s[2:3], s40, v18
	v_ldexp_f32 v16, v16, v17
	v_mov_b32_e32 v4, s33
	v_ldexp_f32 v17, v19, v21
	v_cndmask_b32_e64 v17, 0, v17, s[2:3]
	v_cmp_nlt_f32_e64 s[2:3], s41, v18
	v_cndmask_b32_e64 v3, v3, v53, s[38:39]
	v_cndmask_b32_e32 v4, v4, v51, vcc
	v_cndmask_b32_e64 v17, v31, v17, s[2:3]
	s_mov_b32 s2, 0xc1a00000
	v_cmp_le_f32_e64 s[2:3], s2, v18
	s_nop 1
	v_cndmask_b32_e64 v47, 0, v17, s[2:3]
	v_cvt_f16_f32_e32 v17, v47
	v_cmp_ngt_f32_e64 s[2:3], s40, v5
	v_mul_u32_u24_e32 v55, 0x10001, v17
	s_nop 0
	v_cndmask_b32_e64 v16, 0, v16, s[2:3]
	v_cmp_nlt_f32_e64 s[2:3], s41, v5
	v_mul_u32_u24_e32 v5, 0x110, v15
	v_mul_u32_u24_e32 v15, 0x110, v30
	v_add3_u32 v5, 0, v5, v114
	v_cndmask_b32_e64 v54, v31, v16, s[2:3]
	v_add3_u32 v15, 0, v15, v114
	s_mov_b32 s2, 0x5040100
	ds_read_u16 v30, v5 offset:544
	ds_read_u16 v21, v5 offset:576
	;; [unrolled: 1-line block ×8, first 2 shown]
	ds_read_u16 v31, v15
	ds_read_u16 v62, v15 offset:32
	ds_read_u16 v63, v15 offset:64
	;; [unrolled: 1-line block ×7, first 2 shown]
	v_pk_mul_f16 v17, v107, v55
	v_pk_mul_f16 v19, v106, v55
	s_waitcnt lgkmcnt(7)
	v_perm_b32 v37, v31, v30, s2
	ds_read_u16 v30, v5
	ds_read_u16 v69, v5 offset:32
	ds_read_u16 v70, v5 offset:64
	;; [unrolled: 1-line block ×15, first 2 shown]
	s_waitcnt lgkmcnt(7)
	v_perm_b32 v36, v31, v30, s2
	v_cvt_f32_f16_e32 v16, v17
	v_cvt_f32_f16_sdwa v17, v17 dst_sel:DWORD dst_unused:UNUSED_PAD src0_sel:WORD_1
	v_cvt_f32_f16_e32 v18, v19
	v_cvt_f32_f16_sdwa v19, v19 dst_sel:DWORD dst_unused:UNUSED_PAD src0_sel:WORD_1
	v_cvt_pk_f16_f32 v31, v14, v20
	v_cvt_pk_f16_f32 v30, v0, v1
	v_pk_mul_f16 v105, v105, v55
	v_pk_mul_f16 v104, v104, v55
	v_mfma_f32_16x16x16_f16 v[16:19], v[36:37], v[30:31], v[16:19]
	v_pk_mul_f16 v41, v41, v55
	s_nop 6
	v_cvt_f16_f32_e32 v1, v16
	v_cvt_f16_f32_e32 v14, v17
	;; [unrolled: 1-line block ×4, first 2 shown]
	v_cvt_f32_f16_e32 v16, v1
	v_cvt_f32_f16_e32 v17, v14
	ds_read_u16 v1, v5 offset:4896
	ds_read_u16 v14, v5 offset:4928
	;; [unrolled: 1-line block ×16, first 2 shown]
	s_waitcnt lgkmcnt(7)
	v_perm_b32 v37, v32, v1, s2
	ds_read_u16 v1, v5 offset:4352
	ds_read_u16 v95, v5 offset:4384
	;; [unrolled: 1-line block ×16, first 2 shown]
	s_waitcnt lgkmcnt(7)
	v_perm_b32 v36, v32, v1, s2
	v_cvt_f32_f16_e32 v18, v18
	v_cvt_f32_f16_e32 v19, v19
	v_cndmask_b32_e64 v1, v33, v54, s[26:27]
	v_cvt_pk_f16_f32 v33, v12, v13
	v_cvt_pk_f16_f32 v32, v10, v11
	;; [unrolled: 1-line block ×3, first 2 shown]
	s_nop 0
	v_mfma_f32_16x16x16_f16 v[10:13], v[36:37], v[32:33], v[16:19]
	s_nop 2
	ds_read_u16 v16, v5 offset:9248
	ds_read_u16 v18, v5 offset:9280
	ds_read_u16 v19, v5 offset:9312
	ds_read_u16 v114, v5 offset:9344
	ds_read_u16 v117, v5 offset:9376
	ds_read_u16 v118, v5 offset:9408
	ds_read_u16 v119, v5 offset:9440
	ds_read_u16 v120, v5 offset:9472
	ds_read_u16 v17, v15 offset:8704
	ds_read_u16 v121, v15 offset:8736
	ds_read_u16 v122, v15 offset:8768
	ds_read_u16 v123, v15 offset:8800
	ds_read_u16 v124, v15 offset:8832
	ds_read_u16 v125, v15 offset:8864
	ds_read_u16 v126, v15 offset:8896
	ds_read_u16 v127, v15 offset:8928
	s_waitcnt lgkmcnt(7)
	v_perm_b32 v17, v17, v16, s2
	ds_read_u16 v16, v5 offset:8704
	ds_read_u16 v128, v5 offset:8736
	ds_read_u16 v129, v5 offset:8768
	ds_read_u16 v130, v5 offset:8800
	ds_read_u16 v131, v5 offset:8832
	ds_read_u16 v132, v5 offset:8864
	ds_read_u16 v133, v5 offset:8896
	ds_read_u16 v134, v5 offset:8928
	ds_read_u16 v36, v5 offset:8976
	ds_read_u16 v135, v5 offset:9008
	ds_read_u16 v136, v5 offset:9040
	ds_read_u16 v139, v5 offset:9072
	ds_read_u16 v140, v5 offset:9104
	ds_read_u16 v145, v5 offset:9136
	ds_read_u16 v146, v5 offset:9168
	ds_read_u16 v147, v5 offset:9200
	v_cvt_f16_f32_e32 v10, v10
	v_cvt_f16_f32_e32 v11, v11
	;; [unrolled: 1-line block ×4, first 2 shown]
	s_waitcnt lgkmcnt(7)
	v_perm_b32 v16, v36, v16, s2
	v_cvt_f32_f16_e32 v10, v10
	v_cvt_f32_f16_e32 v11, v11
	;; [unrolled: 1-line block ×4, first 2 shown]
	v_cvt_pk_f16_f32 v37, v8, v9
	v_cvt_pk_f16_f32 v36, v6, v7
	s_nop 1
	v_mfma_f32_16x16x16_f16 v[6:9], v[16:17], v[36:37], v[10:13]
	s_nop 2
	ds_read_u16 v10, v5 offset:13600
	ds_read_u16 v12, v5 offset:13632
	ds_read_u16 v16, v5 offset:13664
	ds_read_u16 v148, v5 offset:13696
	ds_read_u16 v149, v5 offset:13728
	ds_read_u16 v150, v5 offset:13760
	ds_read_u16 v151, v5 offset:13792
	ds_read_u16 v152, v5 offset:13824
	ds_read_u16 v11, v15 offset:13056
	ds_read_u16 v13, v15 offset:13088
	ds_read_u16 v17, v15 offset:13120
	ds_read_u16 v153, v15 offset:13152
	ds_read_u16 v154, v15 offset:13184
	ds_read_u16 v155, v15 offset:13216
	ds_read_u16 v156, v15 offset:13248
	ds_read_u16 v157, v15 offset:13280
	s_waitcnt lgkmcnt(7)
	v_perm_b32 v11, v11, v10, s2
	ds_read_u16 v10, v5 offset:13056
	ds_read_u16 v15, v5 offset:13088
	;; [unrolled: 1-line block ×16, first 2 shown]
	v_cvt_f16_f32_e32 v6, v6
	v_cvt_f16_f32_e32 v7, v7
	;; [unrolled: 1-line block ×4, first 2 shown]
	s_waitcnt lgkmcnt(7)
	v_perm_b32 v10, v38, v10, s2
	v_cvt_f32_f16_e32 v6, v6
	v_cvt_f32_f16_e32 v7, v7
	;; [unrolled: 1-line block ×4, first 2 shown]
	v_cvt_pk_f16_f32 v38, v2, v3
	s_waitcnt lgkmcnt(0)
	s_barrier
	v_mfma_f32_16x16x16_f16 v[2:5], v[10:11], v[38:39], v[6:9]
	v_perm_b32 v11, v62, v21, s2
	v_perm_b32 v10, v76, v69, s2
	v_pk_mul_f16 v21, v137, v55
	v_cvt_f32_f16_e32 v6, v105
	v_cvt_f32_f16_sdwa v7, v105 dst_sel:DWORD dst_unused:UNUSED_PAD src0_sel:WORD_1
	v_cvt_f32_f16_e32 v8, v104
	v_cvt_f32_f16_sdwa v9, v104 dst_sel:DWORD dst_unused:UNUSED_PAD src0_sel:WORD_1
	v_pk_mul_f16 v62, v42, v55
	v_perm_b32 v42, v80, v73, s2
	v_mfma_f32_16x16x16_f16 v[6:9], v[10:11], v[30:31], v[6:9]
	v_perm_b32 v11, v88, v14, s2
	v_perm_b32 v10, v102, v95, s2
	;; [unrolled: 1-line block ×3, first 2 shown]
	s_nop 4
	v_cvt_f16_f32_e32 v1, v6
	v_cvt_f16_f32_e32 v7, v7
	;; [unrolled: 1-line block ×4, first 2 shown]
	v_cvt_f32_f16_e32 v6, v1
	v_cvt_f32_f16_e32 v7, v7
	;; [unrolled: 1-line block ×4, first 2 shown]
	s_barrier
	s_nop 0
	v_mfma_f32_16x16x16_f16 v[6:9], v[10:11], v[32:33], v[6:9]
	v_perm_b32 v11, v121, v18, s2
	v_perm_b32 v10, v135, v128, s2
	;; [unrolled: 1-line block ×3, first 2 shown]
	s_nop 4
	v_cvt_f16_f32_e32 v1, v6
	v_cvt_f16_f32_e32 v7, v7
	;; [unrolled: 1-line block ×4, first 2 shown]
	v_cvt_f32_f16_e32 v6, v1
	v_cvt_f32_f16_e32 v7, v7
	;; [unrolled: 1-line block ×4, first 2 shown]
	s_nop 1
	v_mfma_f32_16x16x16_f16 v[6:9], v[10:11], v[36:37], v[6:9]
	v_perm_b32 v11, v13, v12, s2
	v_perm_b32 v10, v177, v15, s2
	v_pk_mul_f16 v13, v143, v55
	v_perm_b32 v15, v63, v56, s2
	s_nop 3
	v_cvt_f16_f32_e32 v1, v6
	v_cvt_f16_f32_e32 v7, v7
	v_cvt_f16_f32_e32 v8, v8
	v_cvt_f16_f32_e32 v9, v9
	v_cvt_f32_f16_e32 v6, v1
	v_cvt_f32_f16_e32 v7, v7
	;; [unrolled: 1-line block ×4, first 2 shown]
	v_pk_mul_f16 v1, v144, v55
	v_cvt_f32_f16_e32 v12, v13
	v_mfma_f32_16x16x16_f16 v[6:9], v[10:11], v[38:39], v[6:9]
	v_cvt_f32_f16_e32 v10, v1
	v_cvt_f32_f16_sdwa v11, v1 dst_sel:DWORD dst_unused:UNUSED_PAD src0_sel:WORD_1
	v_cvt_f32_f16_sdwa v13, v13 dst_sel:DWORD dst_unused:UNUSED_PAD src0_sel:WORD_1
	v_perm_b32 v56, v79, v72, s2
	s_nop 0
	v_mfma_f32_16x16x16_f16 v[10:13], v[14:15], v[30:31], v[10:13]
	v_perm_b32 v15, v89, v20, s2
	v_perm_b32 v14, v103, v96, s2
	v_cvt_f32_f16_e32 v20, v21
	v_cvt_f32_f16_sdwa v21, v21 dst_sel:DWORD dst_unused:UNUSED_PAD src0_sel:WORD_1
	s_nop 3
	v_cvt_f16_f32_e32 v1, v10
	v_cvt_f16_f32_e32 v11, v11
	;; [unrolled: 1-line block ×4, first 2 shown]
	v_cvt_f32_f16_e32 v10, v1
	v_cvt_f32_f16_e32 v11, v11
	;; [unrolled: 1-line block ×4, first 2 shown]
	s_nop 1
	v_mfma_f32_16x16x16_f16 v[10:13], v[14:15], v[32:33], v[10:13]
	v_perm_b32 v15, v122, v19, s2
	v_perm_b32 v14, v136, v129, s2
	;; [unrolled: 1-line block ×4, first 2 shown]
	s_nop 3
	v_cvt_f16_f32_e32 v1, v10
	v_cvt_f16_f32_e32 v11, v11
	v_cvt_f16_f32_e32 v12, v12
	v_cvt_f16_f32_e32 v13, v13
	v_cvt_f32_f16_e32 v10, v1
	v_cvt_f32_f16_e32 v11, v11
	;; [unrolled: 1-line block ×5, first 2 shown]
	s_nop 0
	v_mfma_f32_16x16x16_f16 v[10:13], v[14:15], v[36:37], v[10:13]
	v_perm_b32 v15, v17, v16, s2
	v_perm_b32 v14, v178, v158, s2
	v_pk_mul_f16 v17, v141, v55
	s_nop 0
	v_cvt_f32_f16_e32 v16, v17
	s_nop 2
	v_cvt_f16_f32_e32 v1, v10
	v_cvt_f16_f32_e32 v11, v11
	v_cvt_f16_f32_e32 v12, v12
	v_cvt_f16_f32_e32 v13, v13
	v_cvt_f32_f16_e32 v10, v1
	v_cvt_f32_f16_e32 v11, v11
	v_cvt_f32_f16_e32 v12, v12
	v_cvt_f32_f16_e32 v13, v13
	v_pk_mul_f16 v1, v142, v55
	v_cvt_f32_f16_sdwa v17, v17 dst_sel:DWORD dst_unused:UNUSED_PAD src0_sel:WORD_1
	v_mfma_f32_16x16x16_f16 v[10:13], v[14:15], v[38:39], v[10:13]
	v_cvt_f32_f16_e32 v14, v1
	v_cvt_f32_f16_sdwa v15, v1 dst_sel:DWORD dst_unused:UNUSED_PAD src0_sel:WORD_1
	s_nop 1
	v_mfma_f32_16x16x16_f16 v[14:17], v[18:19], v[30:31], v[14:17]
	v_perm_b32 v19, v90, v83, s2
	v_perm_b32 v18, v106, v97, s2
	s_nop 5
	v_cvt_f16_f32_e32 v1, v14
	v_cvt_f16_f32_e32 v15, v15
	v_cvt_f16_f32_e32 v16, v16
	v_cvt_f16_f32_e32 v17, v17
	v_cvt_f32_f16_e32 v14, v1
	v_cvt_f32_f16_e32 v15, v15
	v_cvt_f32_f16_e32 v16, v16
	v_cvt_f32_f16_e32 v17, v17
	s_nop 1
	v_mfma_f32_16x16x16_f16 v[14:17], v[18:19], v[32:33], v[14:17]
	v_perm_b32 v19, v123, v114, s2
	v_perm_b32 v18, v139, v130, s2
	s_nop 5
	v_cvt_f16_f32_e32 v1, v14
	v_cvt_f16_f32_e32 v15, v15
	v_cvt_f16_f32_e32 v16, v16
	v_cvt_f16_f32_e32 v17, v17
	v_cvt_f32_f16_e32 v14, v1
	v_cvt_f32_f16_e32 v15, v15
	v_cvt_f32_f16_e32 v16, v16
	v_cvt_f32_f16_e32 v17, v17
	;; [unrolled: 13-line block ×3, first 2 shown]
	v_pk_mul_f16 v1, v138, v55
	s_nop 0
	v_mfma_f32_16x16x16_f16 v[14:17], v[18:19], v[38:39], v[14:17]
	v_cvt_f32_f16_e32 v18, v1
	v_cvt_f32_f16_sdwa v19, v1 dst_sel:DWORD dst_unused:UNUSED_PAD src0_sel:WORD_1
	s_nop 1
	v_mfma_f32_16x16x16_f16 v[18:21], v[56:57], v[30:31], v[18:21]
	v_perm_b32 v57, v91, v84, s2
	v_perm_b32 v56, v107, v98, s2
	s_nop 5
	v_cvt_f16_f32_e32 v1, v18
	v_cvt_f16_f32_e32 v19, v19
	v_cvt_f16_f32_e32 v20, v20
	v_cvt_f16_f32_e32 v21, v21
	v_cvt_f32_f16_e32 v18, v1
	v_cvt_f32_f16_e32 v19, v19
	v_cvt_f32_f16_e32 v20, v20
	v_cvt_f32_f16_e32 v21, v21
	s_nop 1
	v_mfma_f32_16x16x16_f16 v[18:21], v[56:57], v[32:33], v[18:21]
	v_perm_b32 v57, v124, v117, s2
	v_perm_b32 v56, v140, v131, s2
	s_nop 5
	v_cvt_f16_f32_e32 v1, v18
	v_cvt_f16_f32_e32 v19, v19
	v_cvt_f16_f32_e32 v20, v20
	v_cvt_f16_f32_e32 v21, v21
	v_cvt_f32_f16_e32 v18, v1
	v_cvt_f32_f16_e32 v19, v19
	v_cvt_f32_f16_e32 v20, v20
	v_cvt_f32_f16_e32 v21, v21
	;; [unrolled: 13-line block ×3, first 2 shown]
	v_pk_mul_f16 v1, v43, v55
	v_perm_b32 v43, v66, v59, s2
	v_mfma_f32_16x16x16_f16 v[18:21], v[56:57], v[38:39], v[18:21]
	v_cvt_f32_f16_e32 v56, v1
	v_cvt_f32_f16_sdwa v57, v1 dst_sel:DWORD dst_unused:UNUSED_PAD src0_sel:WORD_1
	v_cvt_f32_f16_sdwa v59, v62 dst_sel:DWORD dst_unused:UNUSED_PAD src0_sel:WORD_1
	v_add_f32_e32 v1, v22, v0
	v_cndmask_b32_e64 v22, v0, v1, s[24:25]
	v_mfma_f32_16x16x16_f16 v[56:59], v[42:43], v[30:31], v[56:59]
	v_add_f32_e32 v23, v22, v23
	v_cndmask_b32_e64 v22, v22, v23, s[20:21]
	v_add_f32_e32 v23, v22, v24
	v_cndmask_b32_e64 v22, v22, v23, s[22:23]
	s_nop 3
	v_cvt_f16_f32_e32 v0, v56
	v_cvt_f16_f32_e32 v1, v57
	;; [unrolled: 1-line block ×4, first 2 shown]
	v_cvt_f32_f16_e32 v56, v0
	v_cvt_f32_f16_e32 v57, v1
	v_perm_b32 v1, v92, v85, s2
	v_perm_b32 v0, v109, v99, s2
	v_cvt_f32_f16_e32 v58, v42
	v_cvt_f32_f16_e32 v59, v43
	v_pk_mul_f16 v43, v40, v55
	v_cvt_f32_f16_e32 v40, v41
	v_mfma_f32_16x16x16_f16 v[56:59], v[0:1], v[32:33], v[56:59]
	v_cvt_f32_f16_sdwa v41, v41 dst_sel:DWORD dst_unused:UNUSED_PAD src0_sel:WORD_1
	s_nop 6
	v_cvt_f16_f32_e32 v0, v56
	v_cvt_f16_f32_e32 v1, v57
	v_cvt_f16_f32_e32 v23, v58
	v_cvt_f16_f32_e32 v24, v59
	v_cvt_f32_f16_e32 v56, v0
	v_cvt_f32_f16_e32 v57, v1
	v_perm_b32 v1, v125, v118, s2
	v_perm_b32 v0, v145, v132, s2
	v_cvt_f32_f16_e32 v58, v23
	v_cvt_f32_f16_e32 v59, v24
	v_add_f32_e32 v23, v25, v22
	v_cndmask_b32_e64 v42, v22, v23, s[18:19]
	v_mfma_f32_16x16x16_f16 v[22:25], v[0:1], v[36:37], v[56:59]
	v_add_f32_e32 v27, v27, v42
	v_cndmask_b32_e64 v27, v42, v27, s[16:17]
	v_cvt_f32_f16_e32 v42, v43
	v_cvt_f32_f16_sdwa v43, v43 dst_sel:DWORD dst_unused:UNUSED_PAD src0_sel:WORD_1
	s_nop 3
	v_cvt_f16_f32_e32 v0, v22
	v_cvt_f16_f32_e32 v1, v23
	;; [unrolled: 1-line block ×4, first 2 shown]
	v_cvt_f32_f16_e32 v22, v0
	v_cvt_f32_f16_e32 v23, v1
	v_perm_b32 v1, v155, v150, s2
	v_perm_b32 v0, v181, v174, s2
	v_cvt_f32_f16_e32 v24, v24
	v_cvt_f32_f16_e32 v25, v25
	v_add_f32_e32 v26, v26, v27
	v_cndmask_b32_e64 v26, v27, v26, s[14:15]
	v_mfma_f32_16x16x16_f16 v[22:25], v[0:1], v[38:39], v[22:25]
	v_perm_b32 v1, v67, v60, s2
	v_perm_b32 v0, v81, v74, s2
	v_add_f32_e32 v27, v28, v26
	v_cndmask_b32_e64 v26, v26, v27, s[10:11]
	v_mfma_f32_16x16x16_f16 v[40:43], v[0:1], v[30:31], v[40:43]
	v_add_f32_e32 v27, v29, v26
	v_cndmask_b32_e64 v56, v26, v27, s[12:13]
	s_nop 5
	v_cvt_f16_f32_e32 v0, v40
	v_cvt_f16_f32_e32 v1, v41
	v_cvt_f16_f32_e32 v28, v42
	v_cvt_f16_f32_e32 v43, v43
	v_cvt_f32_f16_e32 v40, v0
	v_cvt_f32_f16_e32 v41, v1
	v_perm_b32 v1, v93, v86, s2
	v_perm_b32 v0, v110, v100, s2
	v_cvt_f32_f16_e32 v42, v28
	v_cvt_f32_f16_e32 v43, v43
	s_nop 1
	v_mfma_f32_16x16x16_f16 v[26:29], v[0:1], v[32:33], v[40:43]
	s_nop 2
	v_add_f32_e32 v40, v48, v56
	v_cndmask_b32_e64 v40, v56, v40, s[8:9]
	s_nop 2
	v_cvt_f16_f32_e32 v0, v26
	v_cvt_f16_f32_e32 v1, v27
	;; [unrolled: 1-line block ×4, first 2 shown]
	v_cvt_f32_f16_e32 v26, v0
	v_cvt_f32_f16_e32 v27, v1
	v_perm_b32 v1, v126, v119, s2
	v_perm_b32 v0, v146, v133, s2
	v_cvt_f32_f16_e32 v28, v28
	v_cvt_f32_f16_e32 v29, v29
	v_add_f32_e32 v41, v50, v40
	v_cndmask_b32_e64 v48, v40, v41, s[6:7]
	v_mfma_f32_16x16x16_f16 v[26:29], v[0:1], v[36:37], v[26:29]
	v_pk_mul_f16 v41, v116, v55
	v_pk_mul_f16 v43, v115, v55
	v_cvt_f32_f16_e32 v40, v41
	v_cvt_f32_f16_sdwa v41, v41 dst_sel:DWORD dst_unused:UNUSED_PAD src0_sel:WORD_1
	s_nop 3
	v_cvt_f16_f32_e32 v0, v26
	v_cvt_f16_f32_e32 v1, v27
	;; [unrolled: 1-line block ×4, first 2 shown]
	v_cvt_f32_f16_e32 v26, v0
	v_cvt_f32_f16_e32 v27, v1
	v_perm_b32 v1, v156, v151, s2
	v_perm_b32 v0, v182, v175, s2
	v_cvt_f32_f16_e32 v28, v28
	v_cvt_f32_f16_e32 v29, v29
	;; [unrolled: 1-line block ×3, first 2 shown]
	v_cvt_f32_f16_sdwa v43, v43 dst_sel:DWORD dst_unused:UNUSED_PAD src0_sel:WORD_1
	v_mfma_f32_16x16x16_f16 v[26:29], v[0:1], v[38:39], v[26:29]
	v_perm_b32 v1, v68, v61, s2
	v_perm_b32 v0, v82, v75, s2
	v_add_f32_e32 v49, v49, v48
	v_cndmask_b32_e64 v48, v48, v49, s[4:5]
	v_mfma_f32_16x16x16_f16 v[40:43], v[0:1], v[30:31], v[40:43]
	v_add_f32_e32 v49, v52, v48
	s_nop 6
	v_cvt_f16_f32_e32 v0, v40
	v_cvt_f16_f32_e32 v1, v41
	;; [unrolled: 1-line block ×4, first 2 shown]
	v_cvt_f32_f16_e32 v40, v0
	v_cvt_f32_f16_e32 v41, v1
	v_perm_b32 v1, v94, v87, s2
	v_perm_b32 v0, v111, v101, s2
	v_cvt_f32_f16_e32 v42, v30
	v_cvt_f32_f16_e32 v43, v31
	v_cndmask_b32_e64 v30, v48, v49, s[0:1]
	v_add_f32_e32 v31, v53, v30
	v_cndmask_b32_e64 v48, v30, v31, s[38:39]
	v_mfma_f32_16x16x16_f16 v[30:33], v[0:1], v[32:33], v[40:43]
	s_nop 2
	v_add_f32_e32 v40, v51, v48
	v_cndmask_b32_e32 v40, v48, v40, vcc
	s_nop 2
	v_cvt_f16_f32_e32 v0, v30
	v_cvt_f16_f32_e32 v1, v31
	;; [unrolled: 1-line block ×4, first 2 shown]
	v_cvt_f32_f16_e32 v30, v0
	v_cvt_f32_f16_e32 v31, v1
	v_perm_b32 v1, v127, v120, s2
	v_perm_b32 v0, v147, v134, s2
	v_cvt_f32_f16_e32 v32, v32
	v_cvt_f32_f16_e32 v33, v33
	v_add_f32_e32 v41, v54, v40
	v_cmp_lt_u32_e32 vcc, 15, v44
	v_mfma_f32_16x16x16_f16 v[30:33], v[0:1], v[36:37], v[30:33]
	v_cndmask_b32_e64 v36, v40, v41, s[26:27]
	v_fmac_f32_e32 v36, v108, v47
	ds_bpermute_b32 v35, v35, v36
	s_nop 4
	v_cvt_f16_f32_e32 v0, v30
	v_cvt_f16_f32_e32 v1, v31
	;; [unrolled: 1-line block ×4, first 2 shown]
	v_cvt_f32_f16_e32 v30, v0
	v_cvt_f32_f16_e32 v31, v1
	v_perm_b32 v1, v157, v152, s2
	v_perm_b32 v0, v183, v176, s2
	v_cvt_f32_f16_e32 v32, v32
	v_cvt_f32_f16_e32 v33, v33
	s_nop 1
	v_mfma_f32_16x16x16_f16 v[30:33], v[0:1], v[38:39], v[30:33]
	s_waitcnt lgkmcnt(0)
	v_add_f32_e32 v1, v36, v35
	ds_bpermute_b32 v35, v46, v1
                                        ; implicit-def: $vgpr0
	s_and_saveexec_b64 s[0:1], vcc
	s_xor_b64 s[0:1], exec, s[0:1]
; %bb.553:
	v_lshlrev_b32_e32 v0, 4, v172
                                        ; implicit-def: $vgpr1
                                        ; implicit-def: $vgpr35
                                        ; implicit-def: $vgpr34
; %bb.554:
	s_or_saveexec_b64 s[0:1], s[0:1]
	v_readlane_b32 s4, v254, 30
	v_readlane_b32 s14, v254, 40
	;; [unrolled: 1-line block ×5, first 2 shown]
	s_mov_b64 s[14:15], s[18:19]
	v_add_u32_e32 v36, 12, v172
	v_add_u32_e32 v37, 8, v172
	;; [unrolled: 1-line block ×3, first 2 shown]
	v_readlane_b32 s5, v254, 31
	v_readlane_b32 s6, v254, 32
	;; [unrolled: 1-line block ×11, first 2 shown]
	s_xor_b64 exec, exec, s[0:1]
	s_cbranch_execz .LBB24_556
; %bb.555:
	s_add_i32 s2, s46, s45
	s_lshl_b32 s2, s2, 6
	s_mov_b32 s3, 0
	v_lshlrev_b32_e32 v0, 4, v172
	s_lshl_b64 s[2:3], s[2:3], 3
	s_waitcnt lgkmcnt(0)
	v_add_f32_e32 v35, v1, v35
	v_or_b32_e32 v1, v0, v44
	s_add_u32 s2, s14, s2
	s_addc_u32 s3, s15, s3
	v_lshlrev_b32_e32 v1, 3, v1
	global_store_dwordx2 v1, v[34:35], s[2:3]
.LBB24_556:
	s_or_b64 exec, exec, s[0:1]
	v_readlane_b32 s4, v254, 8
	v_readlane_b32 s5, v254, 9
	s_load_dword s0, s[4:5], 0x0
	s_load_dword s2, s[4:5], 0x10
	v_or_b32_e32 v0, v0, v113
	v_mul_i32_i24_e32 v0, 0x110, v0
	v_cvt_pk_f16_f32 v1, v4, v5
	v_cvt_pk_f16_f32 v2, v2, v3
	s_waitcnt lgkmcnt(0)
	s_lshr_b32 s2, s2, 16
	s_cmp_lg_u32 s2, 0
	s_cselect_b64 s[2:3], -1, 0
	v_cvt_pk_f16_f32 v4, v6, v7
	s_movk_i32 s4, 0x110
	v_add3_u32 v0, 0, v0, v112
	s_cmp_lg_u64 s[2:3], 0
	v_cvt_pk_f16_f32 v3, v8, v9
	v_cvt_pk_f16_f32 v5, v12, v13
	;; [unrolled: 1-line block ×13, first 2 shown]
	s_addc_u32 s0, s0, 0
	ds_write2_b32 v0, v2, v1 offset1:1
	ds_write2_b32 v0, v4, v3 offset0:8 offset1:9
	ds_write2_b32 v0, v6, v5 offset0:16 offset1:17
	;; [unrolled: 1-line block ×7, first 2 shown]
	v_mad_u32_u24 v4, v172, s4, v45
	s_mov_b32 s1, 0
	s_lshl_b32 s0, s0, 7
	s_waitcnt lgkmcnt(0)
	s_barrier
	ds_read_b32 v1, v4
	ds_read_b32 v3, v4 offset:1088
	ds_read_b32 v5, v4 offset:2176
	;; [unrolled: 1-line block ×7, first 2 shown]
	s_lshl_b32 s2, s45, 12
	s_mov_b32 s3, s1
	s_lshl_b64 s[0:1], s[0:1], 3
	s_waitcnt lgkmcnt(7)
	v_cvt_f32_f16_e32 v0, v1
	v_cvt_f32_f16_sdwa v1, v1 dst_sel:DWORD dst_unused:UNUSED_PAD src0_sel:WORD_1
	s_add_u32 s5, s14, s0
	v_lshlrev_b32_e32 v2, 6, v172
	s_addc_u32 s6, s15, s1
	s_lshl_b64 s[0:1], s[2:3], 3
	v_add_lshl_u32 v11, v2, v44, 3
	s_waitcnt lgkmcnt(6)
	v_cvt_f32_f16_e32 v2, v3
	v_cvt_f32_f16_sdwa v3, v3 dst_sel:DWORD dst_unused:UNUSED_PAD src0_sel:WORD_1
	s_add_u32 s0, s5, s0
	s_addc_u32 s1, s6, s1
	v_pk_add_f32 v[0:1], v[0:1], 0 op_sel_hi:[1,0]
	global_store_dwordx2 v11, v[0:1], s[0:1]
	v_lshlrev_b32_e32 v0, 6, v38
	v_add_lshl_u32 v11, v0, v44, 3
	v_pk_add_f32 v[0:1], v[2:3], 0 op_sel_hi:[1,0]
	s_waitcnt lgkmcnt(5)
	v_cvt_f32_f16_e32 v2, v5
	v_cvt_f32_f16_sdwa v3, v5 dst_sel:DWORD dst_unused:UNUSED_PAD src0_sel:WORD_1
	global_store_dwordx2 v11, v[0:1], s[0:1]
	v_lshlrev_b32_e32 v0, 6, v37
	v_add_lshl_u32 v5, v0, v44, 3
	v_pk_add_f32 v[0:1], v[2:3], 0 op_sel_hi:[1,0]
	s_waitcnt lgkmcnt(4)
	v_cvt_f32_f16_e32 v2, v6
	v_cvt_f32_f16_sdwa v3, v6 dst_sel:DWORD dst_unused:UNUSED_PAD src0_sel:WORD_1
	global_store_dwordx2 v5, v[0:1], s[0:1]
	v_lshlrev_b32_e32 v0, 6, v36
	v_add_lshl_u32 v5, v0, v44, 3
	v_pk_add_f32 v[0:1], v[2:3], 0 op_sel_hi:[1,0]
	v_and_b32_e32 v2, 15, v172
	s_movk_i32 s2, 0x7f0
	v_and_or_b32 v3, v171, s2, v2
	v_and_or_b32 v6, v167, s2, v2
	v_mad_u32_u24 v3, v3, s4, v45
	v_mad_u32_u24 v6, v6, s4, v45
	v_and_or_b32 v2, v163, s2, v2
	v_mad_u32_u24 v2, v2, s4, v45
	ds_read_b32 v3, v3
	ds_read_b32 v6, v6
	ds_read_b32 v11, v4 offset:10880
	ds_read_b32 v12, v4 offset:11968
	ds_read_b32 v13, v2
	ds_read_b32 v14, v4 offset:14144
	ds_read_b32 v15, v4 offset:15232
	;; [unrolled: 1-line block ×3, first 2 shown]
	s_waitcnt lgkmcnt(7)
	v_cvt_f32_f16_e32 v2, v3
	v_cvt_f32_f16_sdwa v3, v3 dst_sel:DWORD dst_unused:UNUSED_PAD src0_sel:WORD_1
	global_store_dwordx2 v5, v[0:1], s[0:1]
	v_lshlrev_b32_e32 v0, 6, v171
	v_add_lshl_u32 v5, v0, v44, 3
	v_pk_add_f32 v[0:1], v[2:3], 0 op_sel_hi:[1,0]
	v_cvt_f32_f16_e32 v2, v7
	v_cvt_f32_f16_sdwa v3, v7 dst_sel:DWORD dst_unused:UNUSED_PAD src0_sel:WORD_1
	global_store_dwordx2 v5, v[0:1], s[0:1]
	v_lshlrev_b32_e32 v0, 6, v170
	v_add_lshl_u32 v5, v0, v44, 3
	v_pk_add_f32 v[0:1], v[2:3], 0 op_sel_hi:[1,0]
	;; [unrolled: 6-line block ×4, first 2 shown]
	s_waitcnt lgkmcnt(6)
	v_cvt_f32_f16_e32 v2, v6
	v_cvt_f32_f16_sdwa v3, v6 dst_sel:DWORD dst_unused:UNUSED_PAD src0_sel:WORD_1
	global_store_dwordx2 v5, v[0:1], s[0:1]
	v_lshlrev_b32_e32 v0, 6, v167
	v_add_lshl_u32 v5, v0, v44, 3
	v_pk_add_f32 v[0:1], v[2:3], 0 op_sel_hi:[1,0]
	v_cvt_f32_f16_e32 v2, v10
	v_cvt_f32_f16_sdwa v3, v10 dst_sel:DWORD dst_unused:UNUSED_PAD src0_sel:WORD_1
	global_store_dwordx2 v5, v[0:1], s[0:1]
	v_lshlrev_b32_e32 v0, 6, v166
	v_add_lshl_u32 v5, v0, v44, 3
	v_pk_add_f32 v[0:1], v[2:3], 0 op_sel_hi:[1,0]
	s_waitcnt lgkmcnt(5)
	v_cvt_f32_f16_e32 v2, v11
	v_cvt_f32_f16_sdwa v3, v11 dst_sel:DWORD dst_unused:UNUSED_PAD src0_sel:WORD_1
	global_store_dwordx2 v5, v[0:1], s[0:1]
	v_lshlrev_b32_e32 v0, 6, v165
	v_add_lshl_u32 v5, v0, v44, 3
	v_pk_add_f32 v[0:1], v[2:3], 0 op_sel_hi:[1,0]
	s_waitcnt lgkmcnt(4)
	;; [unrolled: 7-line block ×6, first 2 shown]
	v_cvt_f32_f16_e32 v2, v4
	v_cvt_f32_f16_sdwa v3, v4 dst_sel:DWORD dst_unused:UNUSED_PAD src0_sel:WORD_1
	global_store_dwordx2 v5, v[0:1], s[0:1]
	v_lshlrev_b32_e32 v0, 6, v160
	v_add_lshl_u32 v4, v0, v44, 3
	v_pk_add_f32 v[0:1], v[2:3], 0 op_sel_hi:[1,0]
	global_store_dwordx2 v4, v[0:1], s[0:1]
.LBB24_557:
	s_endpgm
	.section	.rodata,"a",@progbits
	.p2align	6, 0x0
	.amdhsa_kernel _ZL18flash_attn_ext_f16ILi128ELi128ELi64ELi1ELb0ELb0EEvPKcS1_S1_S1_S1_PKiPfP15HIP_vector_typeIfLj2EEffffjfiS5_IjLj3EEiiiiiiiiiiiliiliiiiil
		.amdhsa_group_segment_fixed_size 0
		.amdhsa_private_segment_fixed_size 192
		.amdhsa_kernarg_size 464
		.amdhsa_user_sgpr_count 2
		.amdhsa_user_sgpr_dispatch_ptr 0
		.amdhsa_user_sgpr_queue_ptr 0
		.amdhsa_user_sgpr_kernarg_segment_ptr 1
		.amdhsa_user_sgpr_dispatch_id 0
		.amdhsa_user_sgpr_kernarg_preload_length 0
		.amdhsa_user_sgpr_kernarg_preload_offset 0
		.amdhsa_user_sgpr_private_segment_size 0
		.amdhsa_uses_dynamic_stack 0
		.amdhsa_enable_private_segment 1
		.amdhsa_system_sgpr_workgroup_id_x 1
		.amdhsa_system_sgpr_workgroup_id_y 0
		.amdhsa_system_sgpr_workgroup_id_z 0
		.amdhsa_system_sgpr_workgroup_info 0
		.amdhsa_system_vgpr_workitem_id 1
		.amdhsa_next_free_vgpr 256
		.amdhsa_next_free_sgpr 100
		.amdhsa_accum_offset 256
		.amdhsa_reserve_vcc 1
		.amdhsa_float_round_mode_32 0
		.amdhsa_float_round_mode_16_64 0
		.amdhsa_float_denorm_mode_32 3
		.amdhsa_float_denorm_mode_16_64 3
		.amdhsa_dx10_clamp 1
		.amdhsa_ieee_mode 1
		.amdhsa_fp16_overflow 0
		.amdhsa_tg_split 0
		.amdhsa_exception_fp_ieee_invalid_op 0
		.amdhsa_exception_fp_denorm_src 0
		.amdhsa_exception_fp_ieee_div_zero 0
		.amdhsa_exception_fp_ieee_overflow 0
		.amdhsa_exception_fp_ieee_underflow 0
		.amdhsa_exception_fp_ieee_inexact 0
		.amdhsa_exception_int_div_zero 0
	.end_amdhsa_kernel
	.section	.text._ZL18flash_attn_ext_f16ILi128ELi128ELi64ELi1ELb0ELb0EEvPKcS1_S1_S1_S1_PKiPfP15HIP_vector_typeIfLj2EEffffjfiS5_IjLj3EEiiiiiiiiiiiliiliiiiil,"axG",@progbits,_ZL18flash_attn_ext_f16ILi128ELi128ELi64ELi1ELb0ELb0EEvPKcS1_S1_S1_S1_PKiPfP15HIP_vector_typeIfLj2EEffffjfiS5_IjLj3EEiiiiiiiiiiiliiliiiiil,comdat
.Lfunc_end24:
	.size	_ZL18flash_attn_ext_f16ILi128ELi128ELi64ELi1ELb0ELb0EEvPKcS1_S1_S1_S1_PKiPfP15HIP_vector_typeIfLj2EEffffjfiS5_IjLj3EEiiiiiiiiiiiliiliiiiil, .Lfunc_end24-_ZL18flash_attn_ext_f16ILi128ELi128ELi64ELi1ELb0ELb0EEvPKcS1_S1_S1_S1_PKiPfP15HIP_vector_typeIfLj2EEffffjfiS5_IjLj3EEiiiiiiiiiiiliiliiiiil
                                        ; -- End function
	.set _ZL18flash_attn_ext_f16ILi128ELi128ELi64ELi1ELb0ELb0EEvPKcS1_S1_S1_S1_PKiPfP15HIP_vector_typeIfLj2EEffffjfiS5_IjLj3EEiiiiiiiiiiiliiliiiiil.num_vgpr, 256
	.set _ZL18flash_attn_ext_f16ILi128ELi128ELi64ELi1ELb0ELb0EEvPKcS1_S1_S1_S1_PKiPfP15HIP_vector_typeIfLj2EEffffjfiS5_IjLj3EEiiiiiiiiiiiliiliiiiil.num_agpr, 0
	.set _ZL18flash_attn_ext_f16ILi128ELi128ELi64ELi1ELb0ELb0EEvPKcS1_S1_S1_S1_PKiPfP15HIP_vector_typeIfLj2EEffffjfiS5_IjLj3EEiiiiiiiiiiiliiliiiiil.numbered_sgpr, 100
	.set _ZL18flash_attn_ext_f16ILi128ELi128ELi64ELi1ELb0ELb0EEvPKcS1_S1_S1_S1_PKiPfP15HIP_vector_typeIfLj2EEffffjfiS5_IjLj3EEiiiiiiiiiiiliiliiiiil.num_named_barrier, 0
	.set _ZL18flash_attn_ext_f16ILi128ELi128ELi64ELi1ELb0ELb0EEvPKcS1_S1_S1_S1_PKiPfP15HIP_vector_typeIfLj2EEffffjfiS5_IjLj3EEiiiiiiiiiiiliiliiiiil.private_seg_size, 192
	.set _ZL18flash_attn_ext_f16ILi128ELi128ELi64ELi1ELb0ELb0EEvPKcS1_S1_S1_S1_PKiPfP15HIP_vector_typeIfLj2EEffffjfiS5_IjLj3EEiiiiiiiiiiiliiliiiiil.uses_vcc, 1
	.set _ZL18flash_attn_ext_f16ILi128ELi128ELi64ELi1ELb0ELb0EEvPKcS1_S1_S1_S1_PKiPfP15HIP_vector_typeIfLj2EEffffjfiS5_IjLj3EEiiiiiiiiiiiliiliiiiil.uses_flat_scratch, 0
	.set _ZL18flash_attn_ext_f16ILi128ELi128ELi64ELi1ELb0ELb0EEvPKcS1_S1_S1_S1_PKiPfP15HIP_vector_typeIfLj2EEffffjfiS5_IjLj3EEiiiiiiiiiiiliiliiiiil.has_dyn_sized_stack, 0
	.set _ZL18flash_attn_ext_f16ILi128ELi128ELi64ELi1ELb0ELb0EEvPKcS1_S1_S1_S1_PKiPfP15HIP_vector_typeIfLj2EEffffjfiS5_IjLj3EEiiiiiiiiiiiliiliiiiil.has_recursion, 0
	.set _ZL18flash_attn_ext_f16ILi128ELi128ELi64ELi1ELb0ELb0EEvPKcS1_S1_S1_S1_PKiPfP15HIP_vector_typeIfLj2EEffffjfiS5_IjLj3EEiiiiiiiiiiiliiliiiiil.has_indirect_call, 0
	.section	.AMDGPU.csdata,"",@progbits
; Kernel info:
; codeLenInByte = 78784
; TotalNumSgprs: 106
; NumVgprs: 256
; NumAgprs: 0
; TotalNumVgprs: 256
; ScratchSize: 192
; MemoryBound: 0
; FloatMode: 240
; IeeeMode: 1
; LDSByteSize: 0 bytes/workgroup (compile time only)
; SGPRBlocks: 13
; VGPRBlocks: 31
; NumSGPRsForWavesPerEU: 106
; NumVGPRsForWavesPerEU: 256
; AccumOffset: 256
; Occupancy: 2
; WaveLimiterHint : 0
; COMPUTE_PGM_RSRC2:SCRATCH_EN: 1
; COMPUTE_PGM_RSRC2:USER_SGPR: 2
; COMPUTE_PGM_RSRC2:TRAP_HANDLER: 0
; COMPUTE_PGM_RSRC2:TGID_X_EN: 1
; COMPUTE_PGM_RSRC2:TGID_Y_EN: 0
; COMPUTE_PGM_RSRC2:TGID_Z_EN: 0
; COMPUTE_PGM_RSRC2:TIDIG_COMP_CNT: 1
; COMPUTE_PGM_RSRC3_GFX90A:ACCUM_OFFSET: 63
; COMPUTE_PGM_RSRC3_GFX90A:TG_SPLIT: 0
	.section	.text._ZL18flash_attn_ext_f16ILi128ELi128ELi64ELi1ELb1ELb0EEvPKcS1_S1_S1_S1_PKiPfP15HIP_vector_typeIfLj2EEffffjfiS5_IjLj3EEiiiiiiiiiiiliiliiiiil,"axG",@progbits,_ZL18flash_attn_ext_f16ILi128ELi128ELi64ELi1ELb1ELb0EEvPKcS1_S1_S1_S1_PKiPfP15HIP_vector_typeIfLj2EEffffjfiS5_IjLj3EEiiiiiiiiiiiliiliiiiil,comdat
	.globl	_ZL18flash_attn_ext_f16ILi128ELi128ELi64ELi1ELb1ELb0EEvPKcS1_S1_S1_S1_PKiPfP15HIP_vector_typeIfLj2EEffffjfiS5_IjLj3EEiiiiiiiiiiiliiliiiiil ; -- Begin function _ZL18flash_attn_ext_f16ILi128ELi128ELi64ELi1ELb1ELb0EEvPKcS1_S1_S1_S1_PKiPfP15HIP_vector_typeIfLj2EEffffjfiS5_IjLj3EEiiiiiiiiiiiliiliiiiil
	.p2align	8
	.type	_ZL18flash_attn_ext_f16ILi128ELi128ELi64ELi1ELb1ELb0EEvPKcS1_S1_S1_S1_PKiPfP15HIP_vector_typeIfLj2EEffffjfiS5_IjLj3EEiiiiiiiiiiiliiliiiiil,@function
_ZL18flash_attn_ext_f16ILi128ELi128ELi64ELi1ELb1ELb0EEvPKcS1_S1_S1_S1_PKiPfP15HIP_vector_typeIfLj2EEffffjfiS5_IjLj3EEiiiiiiiiiiiliiliiiiil: ; @_ZL18flash_attn_ext_f16ILi128ELi128ELi64ELi1ELb1ELb0EEvPKcS1_S1_S1_S1_PKiPfP15HIP_vector_typeIfLj2EEffffjfiS5_IjLj3EEiiiiiiiiiiiliiliiiiil
; %bb.0:
	s_load_dwordx2 s[10:11], s[0:1], 0x80
	s_load_dwordx4 s[68:71], s[0:1], 0x64
	s_mov_b32 s23, s2
	v_mov_b32_e32 v3, v0
                                        ; implicit-def: $vgpr254 : SGPR spill to VGPR lane
	s_load_dword s24, s[0:1], 0xd0
	s_waitcnt lgkmcnt(0)
	s_abs_i32 s2, s11
	v_cvt_f32_u32_e32 v0, s2
	s_sub_i32 s6, 0, s2
	s_abs_i32 s5, s69
	s_xor_b32 s3, s69, s11
	v_rcp_iflag_f32_e32 v0, v0
	s_ashr_i32 s3, s3, 31
	s_mov_b32 s4, 0
	v_mul_f32_e32 v0, 0x4f7ffffe, v0
	v_cvt_u32_f32_e32 v0, v0
	s_nop 0
	v_readfirstlane_b32 s7, v0
	s_mul_i32 s6, s6, s7
	s_mul_hi_u32 s6, s7, s6
	s_add_i32 s7, s7, s6
	s_mul_hi_u32 s6, s5, s7
	s_mul_i32 s7, s6, s2
	s_sub_i32 s5, s5, s7
	s_add_i32 s8, s6, 1
	s_sub_i32 s7, s5, s2
	s_cmp_ge_u32 s5, s2
	s_cselect_b32 s6, s8, s6
	s_cselect_b32 s5, s7, s5
	s_add_i32 s7, s6, 1
	s_cmp_ge_u32 s5, s2
	s_cselect_b32 s2, s7, s6
	s_add_i32 s5, s10, 63
	s_xor_b32 s2, s2, s3
	s_ashr_i32 s6, s5, 31
	s_sub_i32 s3, s2, s3
	s_lshr_b32 s2, s6, 26
	s_add_i32 s5, s5, s2
	s_add_i32 s2, s68, 63
	s_lshr_b32 s2, s2, 6
	s_ashr_i32 s5, s5, 6
	v_writelane_b32 v254, s2, 0
	v_writelane_b32 v254, s5, 1
	s_mul_i32 s2, s2, s5
	v_writelane_b32 v254, s3, 2
	v_writelane_b32 v254, s2, 3
	s_mul_i32 s3, s2, s3
	s_mov_b32 s2, s10
	v_writelane_b32 v254, s2, 4
	s_nop 1
	v_writelane_b32 v254, s3, 5
	s_mul_i32 s2, s3, s11
	s_mul_i32 s8, s2, s70
	v_writelane_b32 v254, s3, 6
	s_ashr_i32 s9, s8, 31
	v_writelane_b32 v254, s2, 7
	s_mul_i32 s2, s9, s23
	s_mul_hi_u32 s3, s8, s23
	s_add_i32 s5, s3, s2
	s_add_u32 s2, s0, 0xd0
	s_addc_u32 s3, s1, 0
	v_writelane_b32 v254, s2, 8
	s_cmp_lg_u64 s[4:5], 0
	s_mul_i32 s4, s8, s23
	v_writelane_b32 v254, s3, 9
	s_cbranch_scc0 .LBB25_2
; %bb.1:
	s_add_u32 s2, s24, 0
	s_addc_u32 s3, 0, 0
	s_xor_b64 s[6:7], s[2:3], 0
	v_cvt_f32_u32_e32 v0, s6
	v_cvt_f32_u32_e32 v1, s7
	s_sub_u32 s12, 0, s6
	s_subb_u32 s13, 0, s7
	s_mov_b64 s[2:3], 0
	v_fmamk_f32 v0, v1, 0x4f800000, v0
	v_rcp_f32_e32 v0, v0
	s_nop 0
	v_mul_f32_e32 v0, 0x5f7ffffc, v0
	v_mul_f32_e32 v1, 0x2f800000, v0
	v_trunc_f32_e32 v1, v1
	v_fmamk_f32 v0, v1, 0xcf800000, v0
	v_cvt_u32_f32_e32 v1, v1
	v_cvt_u32_f32_e32 v0, v0
	v_readfirstlane_b32 s14, v1
	v_readfirstlane_b32 s10, v0
	s_mul_i32 s11, s12, s14
	s_mul_hi_u32 s16, s12, s10
	s_mul_i32 s15, s13, s10
	s_add_i32 s11, s16, s11
	s_add_i32 s11, s11, s15
	s_mul_i32 s17, s12, s10
	s_mul_i32 s16, s10, s11
	s_mul_hi_u32 s18, s10, s17
	s_mul_hi_u32 s15, s10, s11
	s_add_u32 s16, s18, s16
	s_addc_u32 s15, 0, s15
	s_mul_hi_u32 s19, s14, s17
	s_mul_i32 s17, s14, s17
	s_add_u32 s16, s16, s17
	s_mul_hi_u32 s18, s14, s11
	s_addc_u32 s15, s15, s19
	s_addc_u32 s16, s18, 0
	s_mul_i32 s11, s14, s11
	s_add_u32 s11, s15, s11
	s_addc_u32 s15, 0, s16
	s_add_u32 s16, s10, s11
	s_cselect_b64 s[10:11], -1, 0
	s_cmp_lg_u64 s[10:11], 0
	s_addc_u32 s14, s14, s15
	s_mul_i32 s10, s12, s14
	s_mul_hi_u32 s11, s12, s16
	s_add_i32 s10, s11, s10
	s_mul_i32 s13, s13, s16
	s_add_i32 s10, s10, s13
	s_mul_i32 s12, s12, s16
	s_mul_hi_u32 s13, s14, s12
	s_mul_i32 s15, s14, s12
	s_mul_i32 s18, s16, s10
	s_mul_hi_u32 s12, s16, s12
	s_mul_hi_u32 s17, s16, s10
	s_add_u32 s12, s12, s18
	s_addc_u32 s17, 0, s17
	s_add_u32 s12, s12, s15
	s_mul_hi_u32 s11, s14, s10
	s_addc_u32 s12, s17, s13
	s_addc_u32 s11, s11, 0
	s_mul_i32 s10, s14, s10
	s_add_u32 s10, s12, s10
	s_addc_u32 s12, 0, s11
	s_add_u32 s15, s16, s10
	s_cselect_b64 s[10:11], -1, 0
	s_cmp_lg_u64 s[10:11], 0
	s_addc_u32 s14, s14, s12
	s_ashr_i32 s10, s5, 31
	s_add_u32 s12, s4, s10
	s_mov_b32 s11, s10
	s_addc_u32 s13, s5, s10
	s_xor_b64 s[12:13], s[12:13], s[10:11]
	s_mul_i32 s16, s12, s14
	s_mul_hi_u32 s17, s12, s15
	s_mul_hi_u32 s5, s12, s14
	s_add_u32 s16, s17, s16
	s_addc_u32 s5, 0, s5
	s_mul_hi_u32 s18, s13, s15
	s_mul_i32 s15, s13, s15
	s_add_u32 s15, s16, s15
	s_mul_hi_u32 s17, s13, s14
	s_addc_u32 s5, s5, s18
	s_addc_u32 s15, s17, 0
	s_mul_i32 s14, s13, s14
	s_add_u32 s5, s5, s14
	s_addc_u32 s18, 0, s15
	s_mul_i32 s14, s6, s18
	s_mul_hi_u32 s15, s6, s5
	s_add_i32 s14, s15, s14
	s_mul_i32 s15, s7, s5
	s_add_i32 s19, s14, s15
	s_sub_i32 s16, s13, s19
	s_mul_i32 s14, s6, s5
	s_sub_u32 s12, s12, s14
	s_cselect_b64 s[14:15], -1, 0
	s_cmp_lg_u64 s[14:15], 0
	s_subb_u32 s20, s16, s7
	s_sub_u32 s21, s12, s6
	s_cselect_b64 s[16:17], -1, 0
	s_cmp_lg_u64 s[16:17], 0
	s_subb_u32 s16, s20, 0
	s_cmp_ge_u32 s16, s7
	s_cselect_b32 s17, -1, 0
	s_cmp_ge_u32 s21, s6
	s_cselect_b32 s20, -1, 0
	s_cmp_eq_u32 s16, s7
	s_cselect_b32 s16, s20, s17
	s_add_u32 s17, s5, 1
	s_addc_u32 s20, s18, 0
	s_add_u32 s21, s5, 2
	s_addc_u32 s22, s18, 0
	s_cmp_lg_u32 s16, 0
	s_cselect_b32 s16, s21, s17
	s_cselect_b32 s17, s22, s20
	s_cmp_lg_u64 s[14:15], 0
	s_subb_u32 s13, s13, s19
	s_cmp_ge_u32 s13, s7
	s_cselect_b32 s14, -1, 0
	s_cmp_ge_u32 s12, s6
	s_cselect_b32 s6, -1, 0
	s_cmp_eq_u32 s13, s7
	s_cselect_b32 s6, s6, s14
	s_cmp_lg_u32 s6, 0
	s_cselect_b32 s7, s17, s18
	s_cselect_b32 s6, s16, s5
	s_xor_b64 s[10:11], s[10:11], 0
	s_xor_b64 s[6:7], s[6:7], s[10:11]
	s_sub_u32 s6, s6, s10
	v_writelane_b32 v254, s6, 12
	s_nop 1
	v_writelane_b32 v254, s7, 13
	s_branch .LBB25_3
.LBB25_2:
	s_mov_b64 s[2:3], -1
                                        ; implicit-def: $sgpr6_sgpr7
                                        ; kill: killed $sgpr6_sgpr7
.LBB25_3:
	s_load_dwordx2 s[6:7], s[0:1], 0x74
	v_cvt_f32_u32_e32 v0, s24
	s_andn2_b64 vcc, exec, s[2:3]
	s_waitcnt lgkmcnt(0)
	v_writelane_b32 v254, s6, 10
	s_nop 1
	v_writelane_b32 v254, s7, 11
	s_cbranch_vccnz .LBB25_5
; %bb.4:
	v_rcp_iflag_f32_e32 v1, v0
	s_sub_i32 s2, 0, s24
	v_mul_f32_e32 v1, 0x4f7ffffe, v1
	v_cvt_u32_f32_e32 v1, v1
	s_nop 0
	v_readfirstlane_b32 s3, v1
	s_mul_i32 s2, s2, s3
	s_mul_hi_u32 s2, s3, s2
	s_add_i32 s3, s3, s2
	s_mul_hi_u32 s2, s4, s3
	s_mul_i32 s5, s2, s24
	s_sub_i32 s4, s4, s5
	s_add_i32 s3, s2, 1
	s_sub_i32 s5, s4, s24
	s_cmp_ge_u32 s4, s24
	s_cselect_b32 s2, s3, s2
	s_cselect_b32 s4, s5, s4
	s_add_i32 s3, s2, 1
	s_cmp_ge_u32 s4, s24
	s_cselect_b32 s2, s3, s2
	v_writelane_b32 v254, s2, 12
	s_nop 1
	v_writelane_b32 v254, s3, 13
.LBB25_5:
	s_add_i32 s2, s23, 1
	s_mul_i32 s3, s9, s2
	s_mul_hi_u32 s4, s8, s2
	s_add_i32 s7, s4, s3
	s_mov_b32 s6, 0
	s_cmp_lg_u64 s[6:7], 0
	s_mul_i32 s6, s8, s2
	s_cbranch_scc0 .LBB25_7
; %bb.6:
	s_add_u32 s2, s24, 0
	s_addc_u32 s3, 0, 0
	s_xor_b64 s[4:5], s[2:3], 0
	v_cvt_f32_u32_e32 v1, s4
	v_cvt_f32_u32_e32 v2, s5
	s_sub_u32 s10, 0, s4
	s_subb_u32 s11, 0, s5
	s_mov_b64 s[2:3], 0
	v_fmamk_f32 v1, v2, 0x4f800000, v1
	v_rcp_f32_e32 v1, v1
	s_nop 0
	v_mul_f32_e32 v1, 0x5f7ffffc, v1
	v_mul_f32_e32 v2, 0x2f800000, v1
	v_trunc_f32_e32 v2, v2
	v_fmamk_f32 v1, v2, 0xcf800000, v1
	v_cvt_u32_f32_e32 v2, v2
	v_cvt_u32_f32_e32 v1, v1
	v_readfirstlane_b32 s12, v2
	v_readfirstlane_b32 s8, v1
	s_mul_i32 s9, s10, s12
	s_mul_hi_u32 s14, s10, s8
	s_mul_i32 s13, s11, s8
	s_add_i32 s9, s14, s9
	s_add_i32 s9, s9, s13
	s_mul_i32 s15, s10, s8
	s_mul_i32 s14, s8, s9
	s_mul_hi_u32 s16, s8, s15
	s_mul_hi_u32 s13, s8, s9
	s_add_u32 s14, s16, s14
	s_addc_u32 s13, 0, s13
	s_mul_hi_u32 s17, s12, s15
	s_mul_i32 s15, s12, s15
	s_add_u32 s14, s14, s15
	s_mul_hi_u32 s16, s12, s9
	s_addc_u32 s13, s13, s17
	s_addc_u32 s14, s16, 0
	s_mul_i32 s9, s12, s9
	s_add_u32 s9, s13, s9
	s_addc_u32 s13, 0, s14
	s_add_u32 s14, s8, s9
	s_cselect_b64 s[8:9], -1, 0
	s_cmp_lg_u64 s[8:9], 0
	s_addc_u32 s12, s12, s13
	s_mul_i32 s8, s10, s12
	s_mul_hi_u32 s9, s10, s14
	s_add_i32 s8, s9, s8
	s_mul_i32 s11, s11, s14
	s_add_i32 s8, s8, s11
	s_mul_i32 s10, s10, s14
	s_mul_hi_u32 s11, s12, s10
	s_mul_i32 s13, s12, s10
	s_mul_i32 s16, s14, s8
	s_mul_hi_u32 s10, s14, s10
	s_mul_hi_u32 s15, s14, s8
	s_add_u32 s10, s10, s16
	s_addc_u32 s15, 0, s15
	s_add_u32 s10, s10, s13
	s_mul_hi_u32 s9, s12, s8
	s_addc_u32 s10, s15, s11
	s_addc_u32 s9, s9, 0
	s_mul_i32 s8, s12, s8
	s_add_u32 s8, s10, s8
	s_addc_u32 s10, 0, s9
	s_add_u32 s13, s14, s8
	s_cselect_b64 s[8:9], -1, 0
	s_cmp_lg_u64 s[8:9], 0
	s_addc_u32 s12, s12, s10
	s_ashr_i32 s8, s7, 31
	s_add_u32 s10, s6, s8
	s_mov_b32 s9, s8
	s_addc_u32 s11, s7, s8
	s_xor_b64 s[10:11], s[10:11], s[8:9]
	s_mul_i32 s14, s10, s12
	s_mul_hi_u32 s15, s10, s13
	s_mul_hi_u32 s7, s10, s12
	s_add_u32 s14, s15, s14
	s_addc_u32 s7, 0, s7
	s_mul_hi_u32 s16, s11, s13
	s_mul_i32 s13, s11, s13
	s_add_u32 s13, s14, s13
	s_mul_hi_u32 s15, s11, s12
	s_addc_u32 s7, s7, s16
	s_addc_u32 s13, s15, 0
	s_mul_i32 s12, s11, s12
	s_add_u32 s7, s7, s12
	s_addc_u32 s16, 0, s13
	s_mul_i32 s12, s4, s16
	s_mul_hi_u32 s13, s4, s7
	s_add_i32 s12, s13, s12
	s_mul_i32 s13, s5, s7
	s_add_i32 s17, s12, s13
	s_sub_i32 s14, s11, s17
	s_mul_i32 s12, s4, s7
	s_sub_u32 s10, s10, s12
	s_cselect_b64 s[12:13], -1, 0
	s_cmp_lg_u64 s[12:13], 0
	s_subb_u32 s18, s14, s5
	s_sub_u32 s19, s10, s4
	s_cselect_b64 s[14:15], -1, 0
	s_cmp_lg_u64 s[14:15], 0
	s_subb_u32 s14, s18, 0
	s_cmp_ge_u32 s14, s5
	s_cselect_b32 s15, -1, 0
	s_cmp_ge_u32 s19, s4
	s_cselect_b32 s18, -1, 0
	s_cmp_eq_u32 s14, s5
	s_cselect_b32 s14, s18, s15
	s_add_u32 s15, s7, 1
	s_addc_u32 s18, s16, 0
	s_add_u32 s19, s7, 2
	s_addc_u32 s20, s16, 0
	s_cmp_lg_u32 s14, 0
	s_cselect_b32 s14, s19, s15
	s_cselect_b32 s15, s20, s18
	s_cmp_lg_u64 s[12:13], 0
	s_subb_u32 s11, s11, s17
	s_cmp_ge_u32 s11, s5
	s_cselect_b32 s12, -1, 0
	s_cmp_ge_u32 s10, s4
	s_cselect_b32 s4, -1, 0
	s_cmp_eq_u32 s11, s5
	s_cselect_b32 s4, s4, s12
	s_cmp_lg_u32 s4, 0
	s_cselect_b32 s5, s15, s16
	s_cselect_b32 s4, s14, s7
	s_xor_b64 s[8:9], s[8:9], 0
	s_xor_b64 s[4:5], s[4:5], s[8:9]
	s_sub_u32 s4, s4, s8
	v_writelane_b32 v254, s4, 15
	s_nop 1
	v_writelane_b32 v254, s5, 16
	s_branch .LBB25_8
.LBB25_7:
	s_mov_b64 s[2:3], -1
                                        ; implicit-def: $sgpr4_sgpr5
                                        ; kill: killed $sgpr4_sgpr5
.LBB25_8:
	s_load_dwordx2 s[58:59], s[0:1], 0x5c
	v_writelane_b32 v254, s23, 14
	s_andn2_b64 vcc, exec, s[2:3]
	s_cbranch_vccnz .LBB25_10
; %bb.9:
	v_rcp_iflag_f32_e32 v0, v0
	s_sub_i32 s2, 0, s24
	v_mul_f32_e32 v0, 0x4f7ffffe, v0
	v_cvt_u32_f32_e32 v0, v0
	s_nop 0
	v_readfirstlane_b32 s3, v0
	s_mul_i32 s2, s2, s3
	s_mul_hi_u32 s2, s3, s2
	s_add_i32 s3, s3, s2
	s_mul_hi_u32 s2, s6, s3
	s_mul_i32 s4, s2, s24
	s_sub_i32 s4, s6, s4
	s_add_i32 s3, s2, 1
	s_sub_i32 s5, s4, s24
	s_cmp_ge_u32 s4, s24
	s_cselect_b32 s2, s3, s2
	s_cselect_b32 s4, s5, s4
	s_add_i32 s3, s2, 1
	s_cmp_ge_u32 s4, s24
	s_cselect_b32 s2, s3, s2
	v_writelane_b32 v254, s2, 15
	s_nop 1
	v_writelane_b32 v254, s3, 16
.LBB25_10:
	s_load_dwordx16 s[72:87], s[0:1], 0x0
	s_load_dwordx4 s[12:15], s[0:1], 0x40
	s_load_dwordx2 s[52:53], s[0:1], 0x50
	s_load_dwordx2 s[2:3], s[0:1], 0x8c
	s_load_dwordx4 s[4:7], s[0:1], 0x98
	s_load_dwordx2 s[8:9], s[0:1], 0xa8
	s_load_dwordx2 s[20:21], s[0:1], 0xb8
	s_nop 0
	s_load_dwordx2 s[0:1], s[0:1], 0xc8
	v_writelane_b32 v254, s24, 17
	s_waitcnt lgkmcnt(0)
	s_ashr_i32 s98, s2, 2
	s_ashr_i32 s96, s6, 2
	v_writelane_b32 v254, s8, 18
	s_ashr_i32 s66, s71, 3
	s_ashr_i32 s94, s21, 1
	v_writelane_b32 v254, s9, 19
	v_writelane_b32 v254, s0, 20
	v_cvt_f16_f32_e32 v118, s12
	v_bfe_u32 v172, v3, 10, 10
	v_writelane_b32 v254, s1, 21
	s_mov_b32 s1, s3
	v_readlane_b32 s9, v254, 1
	s_abs_i32 s8, s9
	v_cvt_f32_u32_e32 v0, s8
	v_writelane_b32 v254, s0, 22
	s_mov_b32 s3, s7
	s_mov_b32 s67, 0
	v_rcp_iflag_f32_e32 v0, v0
	v_writelane_b32 v254, s1, 23
	s_mov_b64 s[0:1], s[4:5]
	v_writelane_b32 v254, s0, 24
	v_mul_f32_e32 v0, 0x4f7ffffe, v0
	v_cvt_u32_f32_e32 v0, v0
	v_writelane_b32 v254, s1, 25
	v_writelane_b32 v254, s2, 26
	;; [unrolled: 1-line block ×3, first 2 shown]
	s_sub_i32 s2, 0, s8
	v_readlane_b32 s0, v254, 12
	v_readfirstlane_b32 s3, v0
	v_readlane_b32 s1, v254, 13
	s_mul_i32 s2, s2, s3
	s_mov_b32 s6, s0
	s_ashr_i32 s1, s9, 31
	s_mul_hi_u32 s2, s3, s2
	v_writelane_b32 v254, s1, 28
	s_abs_i32 s1, s6
	s_add_i32 s2, s3, s2
	v_writelane_b32 v254, s2, 29
	s_mul_hi_u32 s2, s1, s2
	s_mul_i32 s2, s2, s8
	s_sub_i32 s1, s1, s2
	s_ashr_i32 s0, s0, 31
	s_sub_i32 s2, s1, s8
	s_cmp_ge_u32 s1, s8
	s_cselect_b32 s1, s2, s1
	s_sub_i32 s2, s1, s8
	s_cmp_ge_u32 s1, s8
	s_cselect_b32 s1, s2, s1
	v_writelane_b32 v254, s8, 30
	s_xor_b32 s1, s1, s0
	s_sub_i32 s50, s1, s0
	v_readlane_b32 s0, v254, 15
	v_readlane_b32 s1, v254, 16
	v_writelane_b32 v254, s72, 31
	s_mov_b32 s8, s0
	s_sub_i32 s0, s0, s6
	v_writelane_b32 v254, s73, 32
	v_writelane_b32 v254, s74, 33
	;; [unrolled: 1-line block ×8, first 2 shown]
	s_add_i32 s4, s0, s50
	v_writelane_b32 v254, s81, 40
	s_min_i32 s55, s9, s4
	v_writelane_b32 v254, s82, 41
	s_cmp_gt_i32 s8, s6
	v_writelane_b32 v254, s83, 42
	s_cselect_b64 s[2:3], -1, 0
	s_cmp_le_i32 s8, s6
	v_writelane_b32 v254, s84, 43
	s_cselect_b64 s[0:1], -1, 0
	s_cmp_gt_i32 s9, s4
	v_writelane_b32 v254, s85, 44
	s_cselect_b64 s[4:5], -1, 0
	v_writelane_b32 v254, s86, 45
	s_or_b64 s[0:1], s[4:5], s[0:1]
	v_writelane_b32 v254, s87, 46
	s_mov_b64 s[6:7], s[14:15]
	s_mov_b32 s5, s13
	v_writelane_b32 v254, s4, 47
	s_and_b64 vcc, exec, s[0:1]
	v_add_u32_e32 v117, 4, v172
	v_writelane_b32 v254, s5, 48
	v_writelane_b32 v254, s6, 49
	v_writelane_b32 v254, s7, 50
	v_writelane_b32 v254, s20, 51
	v_add_u32_e32 v116, 8, v172
	v_mov_b32_e32 v9, v3
	v_add_u32_e32 v83, 12, v172
	v_add_u32_e32 v171, 16, v172
	;; [unrolled: 1-line block ×13, first 2 shown]
	v_writelane_b32 v254, s21, 52
	scratch_store_dword off, v9, off offset:100 ; 4-byte Folded Spill
	s_cbranch_vccnz .LBB25_687
; %bb.11:
	s_cmp_lg_u64 s[78:79], 0
	s_cselect_b64 s[0:1], -1, 0
	v_writelane_b32 v254, s0, 53
	s_cmp_eq_u64 s[80:81], 0
	v_and_b32_e32 v2, 15, v9
	v_writelane_b32 v254, s1, 54
	s_mul_i32 s0, s68, s69
	v_writelane_b32 v254, s0, 55
	s_cselect_b64 s[0:1], -1, 0
	v_writelane_b32 v254, s0, 56
	s_cmp_lg_u64 s[82:83], 0
	v_bfe_u32 v4, v9, 1, 9
	v_writelane_b32 v254, s1, 57
	v_cmp_nle_f32_e64 s[0:1], s13, 0
	v_and_b32_e32 v50, 0x3ff, v9
	v_mul_u32_u24_e32 v3, 0x110, v2
	v_writelane_b32 v254, s0, 58
	v_and_b32_e32 v5, 0x78, v4
	v_lshlrev_b32_e32 v54, 1, v50
	v_writelane_b32 v254, s1, 59
	s_cselect_b64 s[0:1], -1, 0
	v_writelane_b32 v254, s0, 60
	v_lshlrev_b32_e32 v0, 2, v50
	s_lshl_b32 s2, s98, 4
	v_writelane_b32 v254, s1, 61
	s_movk_i32 s0, 0x1100
	v_mad_u32_u24 v1, v172, s0, 0
	v_add3_u32 v57, v1, v3, v5
	v_mul_i32_i24_e32 v3, 0xffffef90, v172
	v_add3_u32 v176, v1, v3, v54
	v_bfe_u32 v3, v9, 4, 6
	v_lshl_add_u32 v177, v172, 2, v3
	v_mul_lo_u32 v58, s98, v177
	v_and_b32_e32 v56, 60, v0
	v_add_u32_e32 v60, s2, v58
	v_lshlrev_b32_e32 v1, 4, v172
	v_mul_u32_u24_e32 v3, 0x110, v177
	v_lshlrev_b32_e32 v6, 2, v56
	v_add_u32_e32 v62, s2, v60
	v_add3_u32 v178, 0, v3, v6
	v_add_u32_e32 v64, s2, v62
	v_or_b32_e32 v6, v2, v1
	s_movk_i32 s2, 0x90
	v_mad_u32_u24 v7, v6, s2, 0
	s_movk_i32 s2, 0x1fc
	v_bitop3_b32 v4, v4, s2, 4 bitop3:0xc8
	v_mul_lo_u32 v66, s96, v177
	s_lshl_b32 s2, s96, 4
	v_add_u32_e32 v68, s2, v66
	v_add_u32_e32 v70, s2, v68
	;; [unrolled: 1-line block ×3, first 2 shown]
	s_movk_i32 s2, 0x100
	v_cmp_gt_u32_e64 s[12:13], s2, v50
	s_movk_i32 s2, 0xc0
	v_cmp_gt_u32_e64 s[14:15], s2, v50
	v_readlane_b32 s2, v254, 14
	v_writelane_b32 v254, s66, 62
	s_lshl_b32 s66, s2, 6
	s_ashr_i32 s95, s94, 31
	s_ashr_i32 s99, s98, 31
	;; [unrolled: 1-line block ×3, first 2 shown]
	v_add_u32_e32 v3, 0, v5
	v_bfe_u32 v5, v9, 2, 8
	s_lshl_b64 s[2:3], s[66:67], 3
	v_and_b32_e32 v180, 60, v5
	s_add_u32 s2, s86, s2
	v_readlane_b32 s29, v254, 7
	v_add_u32_e32 v183, 16, v180
	v_add_u32_e32 v185, 32, v180
	;; [unrolled: 1-line block ×3, first 2 shown]
	s_addc_u32 s3, s87, s3
	s_abs_i32 s18, s29
	v_lshl_add_u32 v181, v180, 1, v7
	v_add_u32_e32 v182, v7, v4
	v_lshl_add_u32 v184, v183, 1, v7
	v_lshl_add_u32 v186, v185, 1, v7
	;; [unrolled: 1-line block ×3, first 2 shown]
	v_cvt_f32_u32_e32 v7, s18
	v_readlane_b32 s66, v254, 62
	v_readlane_b32 s28, v254, 6
	v_writelane_b32 v254, s18, 63
	v_rcp_iflag_f32_e32 v7, v7
	s_movk_i32 s25, 0x110
	v_or_b32_e32 v8, v1, v50
	s_abs_i32 s19, s28
	v_readlane_b32 s27, v254, 3
	v_lshlrev_b32_e32 v52, 3, v8
	v_mul_u32_u24_e32 v8, 0x110, v6
	v_mad_u32_u24 v190, v6, s25, v3
	v_mul_f32_e32 v6, 0x4f7ffffe, v7
	v_cvt_f32_u32_e32 v7, s19
	s_abs_i32 s21, s27
	v_cvt_f32_u32_e32 v11, s21
	v_cvt_u32_f32_e32 v6, v6
	v_rcp_iflag_f32_e32 v7, v7
	s_sub_i32 s18, 0, s18
	v_rcp_iflag_f32_e32 v11, v11
	v_mul_lo_u32 v10, s18, v6
	v_mul_hi_u32 v10, v6, v10
	v_mul_f32_e32 v7, 0x4f7ffffe, v7
	v_cvt_u32_f32_e32 v7, v7
	v_add_u32_e32 v191, v6, v10
	v_mul_f32_e32 v10, 0x4f7ffffe, v11
	v_cvt_u32_f32_e32 v10, v10
	s_sub_i32 s18, 0, s19
	v_mul_lo_u32 v6, s18, v7
	s_sub_i32 s18, 0, s21
	v_mul_lo_u32 v12, s18, v10
	v_mul_hi_u32 v6, v7, v6
	v_bfe_u32 v9, v9, 10, 4
	s_movk_i32 s18, 0x1f0
	v_add_u32_e32 v192, v7, v6
	v_mul_hi_u32 v7, v10, v12
	v_add_u32_e32 v193, v10, v7
	v_and_or_b32 v7, v167, s18, v9
	v_mad_u32_u24 v207, v172, s25, 0
	v_mul_u32_u24_e32 v15, 0x110, v7
	v_or_b32_e32 v195, 3, v5
	v_mad_u32_u24 v5, v7, s25, 0
	v_add_u32_e32 v7, v207, v0
	scratch_store_dword off, v7, off offset:24 ; 4-byte Folded Spill
	v_add_u32_e32 v7, 0x440, v207
	v_add_u32_e32 v7, v7, v0
	scratch_store_dword off, v7, off offset:96 ; 4-byte Folded Spill
	v_add_u32_e32 v7, 0x880, v207
	v_add_u32_e32 v7, v7, v0
	v_mad_u32_u24 v179, v2, s25, v3
	v_and_or_b32 v6, v171, s18, v9
	v_add_u32_e32 v194, v3, v8
	v_mov_b32_e32 v3, 0x880
	scratch_store_dword off, v7, off offset:104 ; 4-byte Folded Spill
	v_add_u32_e32 v7, 0xcc0, v207
	v_mad_u32_u24 v198, v172, s25, v3
	v_mad_u32_u24 v3, v6, s25, 0
	v_add_u32_e32 v7, v7, v0
	scratch_store_dword off, v7, off offset:108 ; 4-byte Folded Spill
	scratch_store_dword off, v3, off offset:116 ; 4-byte Folded Spill
	v_add_u32_e32 v3, v3, v0
	scratch_store_dword off, v3, off offset:120 ; 4-byte Folded Spill
	v_add_u32_e32 v3, 0x1540, v207
	v_add_u32_e32 v3, v3, v0
	scratch_store_dword off, v3, off offset:124 ; 4-byte Folded Spill
	v_add_u32_e32 v3, 0x1980, v207
	v_add_u32_e32 v3, v3, v0
	s_abs_i32 s30, s20
	scratch_store_dword off, v3, off offset:128 ; 4-byte Folded Spill
	v_add_u32_e32 v3, 0x1dc0, v207
	v_cvt_f32_u32_e32 v11, s30
	v_add_u32_e32 v3, v3, v0
	scratch_store_dword off, v3, off offset:132 ; 4-byte Folded Spill
	scratch_store_dword off, v5, off offset:140 ; 4-byte Folded Spill
	v_add_u32_e32 v3, v5, v0
	scratch_store_dword off, v3, off offset:144 ; 4-byte Folded Spill
	v_add_u32_e32 v3, 0x2640, v207
	v_add_u32_e32 v3, v3, v0
	v_rcp_iflag_f32_e32 v11, v11
	scratch_store_dword off, v3, off offset:148 ; 4-byte Folded Spill
	v_add_u32_e32 v3, 0x2a80, v207
	v_add_u32_e32 v3, v3, v0
	v_and_or_b32 v9, v163, s18, v9
	scratch_store_dword off, v3, off offset:152 ; 4-byte Folded Spill
	v_add_u32_e32 v3, 0x2ec0, v207
	v_mul_u32_u24_e32 v14, 0x110, v6
	v_mad_u32_u24 v6, v9, s25, 0
	v_add_u32_e32 v3, v3, v0
	v_mul_f32_e32 v11, 0x4f7ffffe, v11
	scratch_store_dword off, v3, off offset:156 ; 4-byte Folded Spill
	scratch_store_dword off, v6, off offset:164 ; 4-byte Folded Spill
	v_add_u32_e32 v3, v6, v0
	v_cvt_u32_f32_e32 v11, v11
	scratch_store_dword off, v3, off offset:168 ; 4-byte Folded Spill
	v_add_u32_e32 v3, 0x3740, v207
	v_add_u32_e32 v3, v3, v0
                                        ; implicit-def: $vgpr255 : SGPR spill to VGPR lane
	scratch_store_dword off, v3, off offset:172 ; 4-byte Folded Spill
	v_add_u32_e32 v3, 0x3b80, v207
	v_writelane_b32 v255, s19, 0
	v_add_u32_e32 v3, v3, v0
	v_lshl_add_u32 v4, v2, 1, 0
	v_writelane_b32 v255, s21, 1
	v_readfirstlane_b32 s26, v11
	v_mov_b32_e32 v10, 0x440
	v_mov_b32_e32 v8, 0xcc0
	;; [unrolled: 1-line block ×5, first 2 shown]
	s_lshl_b32 s31, s69, 6
	scratch_store_dword off, v3, off offset:176 ; 4-byte Folded Spill
	v_add_u32_e32 v3, 0x3fc0, v207
	v_mad_u32_u24 v189, v180, s25, v4
	v_mad_u32_u24 v196, v195, s25, v4
	v_writelane_b32 v255, s31, 2
	v_mad_u32_u24 v197, v172, s25, v10
	v_mad_u32_u24 v199, v172, s25, v8
	;; [unrolled: 1-line block ×5, first 2 shown]
	v_add_u32_e32 v206, 0, v0
	v_add_u32_e32 v0, v3, v0
	s_ashr_i32 s25, s29, 31
	scratch_store_dword off, v0, off offset:180 ; 4-byte Folded Spill
	v_writelane_b32 v255, s25, 3
	s_ashr_i32 s25, s28, 31
                                        ; implicit-def: $vgpr0
                                        ; implicit-def: $vgpr0
	;; [unrolled: 1-line block ×4, first 2 shown]
	v_writelane_b32 v255, s25, 4
	s_ashr_i32 s25, s27, 31
	v_add_u32_e32 v0, v206, v14
	v_mul_u32_u24_e32 v4, 0x110, v9
	v_add_u32_e32 v1, v1, v50
	v_writelane_b32 v255, s25, 5
	s_sub_i32 s25, 0, s30
	scratch_store_dword off, v0, off offset:112 ; 4-byte Folded Spill
	v_add_u32_e32 v0, v206, v15
	v_mul_u32_u24_e32 v1, 0x110, v1
	s_mul_i32 s25, s25, s26
	scratch_store_dword off, v0, off offset:136 ; 4-byte Folded Spill
	v_add_u32_e32 v0, v206, v4
	s_mul_hi_u32 s25, s26, s25
	scratch_store_dword off, v0, off offset:160 ; 4-byte Folded Spill
	v_add_u32_e32 v0, 0, v1
	v_mov_b32_e32 v53, 0
	v_writelane_b32 v255, s30, 6
	s_add_i32 s25, s26, s25
	scratch_store_dword off, v0, off offset:28 ; 4-byte Folded Spill
	v_mbcnt_lo_u32_b32 v0, -1, 0
	v_writelane_b32 v255, s25, 7
	v_mbcnt_hi_u32_b32 v240, -1, v0
	v_lshl_add_u64 v[0:1], s[2:3], 0, v[52:53]
	v_cmp_gt_u32_e64 s[2:3], 16, v50
	v_ashrrev_i32_e32 v67, 31, v66
	v_ashrrev_i32_e32 v69, 31, v68
	v_writelane_b32 v255, s2, 8
	scratch_store_dwordx2 off, v[0:1], off offset:16 ; 8-byte Folded Spill
	v_lshl_add_u64 v[0:1], v[66:67], 2, s[76:77]
	v_writelane_b32 v255, s3, 9
	s_lshl_b64 s[2:3], s[94:95], 1
	v_writelane_b32 v255, s2, 10
	v_ashrrev_i32_e32 v71, 31, v70
	scratch_store_dwordx2 off, v[0:1], off offset:32 ; 8-byte Folded Spill
	v_lshl_add_u64 v[0:1], v[68:69], 2, s[76:77]
	v_writelane_b32 v255, s3, 11
	v_ashrrev_i32_e32 v73, 31, v72
	scratch_store_dwordx2 off, v[0:1], off offset:40 ; 8-byte Folded Spill
	v_lshl_add_u64 v[0:1], v[70:71], 2, s[76:77]
	s_lshl_b64 s[64:65], s[96:97], 8
	v_writelane_b32 v255, s96, 12
	v_ashrrev_i32_e32 v59, 31, v58
	scratch_store_dwordx2 off, v[0:1], off offset:48 ; 8-byte Folded Spill
	v_lshl_add_u64 v[0:1], v[72:73], 2, s[76:77]
	v_writelane_b32 v255, s97, 13
	v_ashrrev_i32_e32 v61, 31, v60
	scratch_store_dwordx2 off, v[0:1], off offset:56 ; 8-byte Folded Spill
	v_lshl_add_u64 v[0:1], v[58:59], 2, s[74:75]
	s_lshl_b64 s[62:63], s[98:99], 8
	v_writelane_b32 v255, s98, 14
	v_ashrrev_i32_e32 v63, 31, v62
	scratch_store_dwordx2 off, v[0:1], off offset:64 ; 8-byte Folded Spill
	v_lshl_add_u64 v[0:1], v[60:61], 2, s[74:75]
	v_writelane_b32 v255, s99, 15
	s_mov_b32 s2, s94
	s_mov_b64 s[56:57], src_private_base
	s_mov_b32 s24, 0x10001
	v_ashrrev_i32_e32 v65, 31, v64
	s_movk_i32 s22, 0x80
	scratch_store_dwordx2 off, v[0:1], off offset:72 ; 8-byte Folded Spill
	v_lshl_add_u64 v[0:1], v[62:63], 2, s[74:75]
	v_writelane_b32 v255, s2, 16
	v_cmp_gt_u32_e64 s[0:1], 64, v50
	v_cmp_lt_u32_e64 s[48:49], 63, v50
	v_cmp_gt_u32_e64 s[4:5], 64, v177
	v_cmp_gt_u32_e64 s[6:7], 48, v177
	;; [unrolled: 1-line block ×8, first 2 shown]
	v_mov_b32_e32 v55, v53
	v_lshlrev_b32_e32 v74, 4, v2
	v_mov_b32_e32 v75, v53
	s_mov_b32 s69, 0x42b17218
	s_mov_b32 s56, 0x3fb8aa3b
	;; [unrolled: 1-line block ×3, first 2 shown]
	s_brev_b32 s70, -2
	s_mov_b32 s71, 0x3f200000
	v_mov_b32_e32 v228, v53
	v_mov_b32_e32 v229, v53
	;; [unrolled: 1-line block ×4, first 2 shown]
	v_mul_lo_u32 v241, v118, s24
	s_mov_b32 s54, 0x5040100
	v_add_u32_e32 v242, 0x240, v176
	v_add_u32_e32 v243, 0x480, v176
	;; [unrolled: 1-line block ×24, first 2 shown]
	v_mul_u32_u24_e32 v226, 0x110, v172
	v_or_b32_e32 v125, 1, v180
	v_or_b32_e32 v220, 2, v180
	v_add_u32_e32 v222, 17, v180
	v_add_u32_e32 v237, 19, v180
	;; [unrolled: 1-line block ×6, first 2 shown]
	v_mov_b32_e32 v217, 0x3ca908c9
	v_mov_b32_e32 v213, 0x7f800000
	;; [unrolled: 1-line block ×3, first 2 shown]
	v_cmp_gt_u32_e64 s[24:25], 31, v180
	scratch_store_dwordx2 off, v[0:1], off offset:80 ; 8-byte Folded Spill
	v_lshl_add_u64 v[0:1], v[64:65], 2, s[74:75]
	v_cmp_gt_u32_e64 s[26:27], 30, v180
	v_cmp_gt_u32_e64 s[28:29], 29, v180
	;; [unrolled: 1-line block ×5, first 2 shown]
	s_mov_b64 s[60:61], 0x80
	s_mov_b32 s97, 0xc1a00000
	v_writelane_b32 v255, s3, 17
	v_mov_b32_e32 v223, v118
	scratch_store_dwordx2 off, v[0:1], off offset:88 ; 8-byte Folded Spill
	s_branch .LBB25_13
.LBB25_12:                              ;   in Loop: Header=BB25_13 Depth=1
	s_or_b64 exec, exec, s[38:39]
	v_readlane_b32 s41, v254, 1
	v_readlane_b32 s2, v254, 12
	s_add_i32 s2, s2, s41
	s_abs_i32 s38, s2
	v_readlane_b32 s39, v254, 29
	s_mul_hi_u32 s39, s38, s39
	v_readlane_b32 s40, v254, 30
	s_mul_i32 s39, s39, s40
	v_readlane_b32 s3, v254, 13
	s_sub_i32 s38, s38, s39
	s_ashr_i32 s3, s2, 31
	s_sub_i32 s39, s38, s40
	s_cmp_ge_u32 s38, s40
	s_cselect_b32 s38, s39, s38
	s_sub_i32 s39, s38, s40
	s_cmp_ge_u32 s38, s40
	s_cselect_b32 s38, s39, s38
	s_xor_b32 s38, s38, s3
	s_sub_i32 s3, s3, s38
	s_add_i32 s40, s2, s3
	v_readlane_b32 s2, v254, 15
	s_sub_i32 s38, s2, s40
	v_readlane_b32 s3, v254, 16
	s_mov_b32 s42, s2
	s_min_i32 s55, s41, s38
	s_mov_b32 s2, s40
	v_writelane_b32 v254, s2, 12
	s_cmp_gt_i32 s42, s40
	s_mov_b32 s50, 0
	v_writelane_b32 v254, s3, 13
	s_cselect_b64 s[2:3], -1, 0
	s_cmp_le_i32 s41, s38
	s_cselect_b64 s[38:39], -1, 0
	s_and_b64 s[38:39], s[38:39], s[2:3]
	s_and_b64 vcc, exec, s[38:39]
	s_cbranch_vccz .LBB25_687
.LBB25_13:                              ; =>This Loop Header: Depth=1
                                        ;     Child Loop BB25_97 Depth 2
                                        ;     Child Loop BB25_429 Depth 2
	v_readlane_b32 s2, v254, 12
	v_readlane_b32 s3, v254, 13
	s_mov_b32 s38, s2
	s_ashr_i32 s2, s2, 31
	v_readlane_b32 s3, v255, 3
	s_xor_b32 s2, s2, s3
	s_abs_i32 s3, s38
	v_mul_hi_u32 v0, s3, v191
	v_readlane_b32 s38, v254, 63
	v_add_u32_e32 v2, 1, v0
	s_nop 0
	v_mul_lo_u32 v1, v0, s38
	v_sub_u32_e32 v1, s3, v1
	v_subrev_u32_e32 v3, s38, v1
	v_cmp_le_u32_e32 vcc, s38, v1
	s_nop 1
	v_cndmask_b32_e32 v0, v0, v2, vcc
	v_cndmask_b32_e32 v1, v1, v3, vcc
	v_add_u32_e32 v2, 1, v0
	v_cmp_le_u32_e32 vcc, s38, v1
	s_nop 1
	v_cndmask_b32_e32 v0, v0, v2, vcc
	v_xor_b32_e32 v0, s2, v0
	v_subrev_u32_e32 v1, s2, v0
	v_readlane_b32 s2, v254, 53
	v_readlane_b32 s3, v254, 54
	s_andn2_b64 vcc, exec, s[2:3]
	v_ashrrev_i32_e32 v4, 31, v1
	s_cbranch_vccnz .LBB25_15
; %bb.14:                               ;   in Loop: Header=BB25_13 Depth=1
	v_sub_u32_e32 v0, 0, v1
	v_max_i32_e32 v0, v1, v0
	v_readlane_b32 s2, v255, 7
	v_readlane_b32 s72, v254, 31
	;; [unrolled: 1-line block ×3, first 2 shown]
	v_mul_hi_u32 v2, v0, s2
	v_readlane_b32 s2, v255, 6
	v_readlane_b32 s79, v254, 38
	;; [unrolled: 1-line block ×3, first 2 shown]
	v_mul_lo_u32 v2, v2, s2
	v_sub_u32_e32 v0, v0, v2
	v_subrev_u32_e32 v2, s2, v0
	v_cmp_le_u32_e32 vcc, s2, v0
	v_readlane_b32 s74, v254, 33
	v_readlane_b32 s75, v254, 34
	v_cndmask_b32_e32 v0, v0, v2, vcc
	v_subrev_u32_e32 v2, s2, v0
	v_cmp_le_u32_e32 vcc, s2, v0
	v_readlane_b32 s2, v254, 20
	v_readlane_b32 s3, v254, 21
	v_cndmask_b32_e32 v0, v0, v2, vcc
	v_xor_b32_e32 v0, v0, v4
	v_sub_u32_e32 v0, v0, v4
	v_ashrrev_i32_e32 v2, 31, v0
	v_mul_lo_u32 v2, s2, v2
	v_mul_hi_u32 v3, s2, v0
	v_add_u32_e32 v2, v3, v2
	v_mul_lo_u32 v3, s3, v0
	v_add_u32_e32 v3, v2, v3
	v_mul_lo_u32 v2, s2, v0
	v_lshl_add_u64 v[102:103], s[78:79], 0, v[2:3]
	v_readlane_b32 s76, v254, 35
	v_readlane_b32 s77, v254, 36
	;; [unrolled: 1-line block ×10, first 2 shown]
	s_branch .LBB25_16
.LBB25_15:                              ;   in Loop: Header=BB25_13 Depth=1
	v_mov_b64_e32 v[102:103], 0
.LBB25_16:                              ;   in Loop: Header=BB25_13 Depth=1
	v_readlane_b32 s2, v254, 7
	v_mov_b32_e32 v100, 1.0
	s_nop 0
	v_mul_lo_u32 v0, v1, s2
	v_readlane_b32 s2, v254, 12
	v_readlane_b32 s3, v254, 13
	s_nop 0
	v_sub_u32_e32 v0, s2, v0
	v_sub_u32_e32 v3, 0, v0
	v_ashrrev_i32_e32 v2, 31, v0
	v_readlane_b32 s2, v255, 4
	v_max_i32_e32 v3, v0, v3
	v_mul_hi_u32 v5, v3, v192
	v_xor_b32_e32 v2, s2, v2
	v_readlane_b32 s2, v255, 0
	s_nop 1
	v_mul_lo_u32 v6, v5, s2
	v_sub_u32_e32 v3, v3, v6
	v_add_u32_e32 v6, 1, v5
	v_subrev_u32_e32 v7, s2, v3
	v_cmp_le_u32_e32 vcc, s2, v3
	s_nop 1
	v_cndmask_b32_e32 v5, v5, v6, vcc
	v_cndmask_b32_e32 v3, v3, v7, vcc
	v_add_u32_e32 v6, 1, v5
	v_cmp_le_u32_e32 vcc, s2, v3
	v_readlane_b32 s2, v254, 6
	s_nop 0
	v_cndmask_b32_e32 v3, v5, v6, vcc
	v_xor_b32_e32 v3, v3, v2
	v_sub_u32_e32 v5, v3, v2
	v_mul_lo_u32 v2, v5, s2
	v_sub_u32_e32 v3, v0, v2
	v_sub_u32_e32 v2, 0, v3
	v_ashrrev_i32_e32 v0, 31, v3
	v_readlane_b32 s2, v255, 5
	v_max_i32_e32 v2, v3, v2
	v_mul_hi_u32 v6, v2, v193
	v_xor_b32_e32 v0, s2, v0
	v_readlane_b32 s2, v255, 1
	s_nop 1
	v_mul_lo_u32 v7, v6, s2
	v_sub_u32_e32 v2, v2, v7
	v_add_u32_e32 v7, 1, v6
	v_subrev_u32_e32 v8, s2, v2
	v_cmp_le_u32_e32 vcc, s2, v2
	s_nop 1
	v_cndmask_b32_e32 v6, v6, v7, vcc
	v_cndmask_b32_e32 v2, v2, v8, vcc
	v_add_u32_e32 v7, 1, v6
	v_cmp_le_u32_e32 vcc, s2, v2
	v_readlane_b32 s2, v254, 2
	s_nop 0
	v_cndmask_b32_e32 v2, v6, v7, vcc
	v_xor_b32_e32 v2, v2, v0
	v_sub_u32_e32 v6, v2, v0
	v_mul_lo_u32 v0, v5, s2
	v_readlane_b32 s2, v254, 58
	v_readlane_b32 s3, v254, 59
	v_add_u32_e32 v2, v0, v6
	s_andn2_b64 vcc, exec, s[2:3]
	s_cbranch_vccnz .LBB25_18
; %bb.17:                               ;   in Loop: Header=BB25_13 Depth=1
	v_readlane_b32 s40, v254, 47
	v_readlane_b32 s42, v254, 49
	;; [unrolled: 1-line block ×3, first 2 shown]
	v_subrev_co_u32_e32 v8, vcc, s52, v2
	s_nop 0
	v_mov_b32_e32 v0, s43
	v_mov_b32_e32 v7, s42
	v_lshlrev_b32_e32 v8, 1, v8
	v_cndmask_b32_e32 v0, v0, v7, vcc
	v_add_u32_e32 v7, 1, v2
	v_or_b32_e32 v8, 1, v8
	v_cndmask_b32_e32 v7, v8, v7, vcc
	v_cvt_f32_i32_e32 v7, v7
	v_cmp_neq_f32_e32 vcc, 1.0, v0
	s_mov_b32 s2, 0x3f2aaaab
	s_movk_i32 s3, 0x204
	v_cndmask_b32_e32 v7, 1.0, v7, vcc
	v_cmp_neq_f32_e32 vcc, 0, v7
	v_readlane_b32 s41, v254, 48
	v_cmp_gt_f32_e64 s[40:41], 0, v7
	v_cndmask_b32_e32 v0, 1.0, v0, vcc
	v_frexp_mant_f32_e64 v8, |v0|
	v_cmp_gt_f32_e32 vcc, s2, v8
	s_mov_b32 s2, 0x3f317218
	s_nop 0
	v_cndmask_b32_e64 v9, 1.0, 2.0, vcc
	v_mul_f32_e32 v8, v8, v9
	v_add_f32_e32 v11, 1.0, v8
	v_rcp_f32_e32 v16, v11
	v_add_f32_e32 v9, -1.0, v11
	v_sub_f32_e32 v13, v8, v9
	v_add_f32_e32 v9, -1.0, v8
	v_mul_f32_e32 v17, v9, v16
	v_mul_f32_e32 v10, v11, v17
	v_fma_f32 v12, v17, v11, -v10
	v_fmac_f32_e32 v12, v17, v13
	v_add_f32_e32 v8, v10, v12
	v_sub_f32_e32 v11, v9, v8
	v_pk_add_f32 v[14:15], v[8:9], v[10:11] neg_lo:[0,1] neg_hi:[0,1]
	v_mov_b32_e32 v13, v8
	v_pk_add_f32 v[8:9], v[14:15], v[12:13] neg_lo:[0,1] neg_hi:[0,1]
	v_mov_b32_e32 v12, 0x3e91f4c4
	v_add_f32_e32 v8, v8, v9
	v_add_f32_e32 v8, v11, v8
	v_mul_f32_e32 v9, v16, v8
	v_add_f32_e32 v8, v17, v9
	v_sub_f32_e32 v10, v8, v17
	v_sub_f32_e32 v18, v9, v10
	v_mul_f32_e32 v9, v8, v8
	v_fma_f32 v11, v8, v8, -v9
	v_add_f32_e32 v10, v18, v18
	v_fmac_f32_e32 v11, v8, v10
	v_add_f32_e32 v10, v9, v11
	v_fmamk_f32 v12, v10, 0x3e76c4e1, v12
	v_fmaak_f32 v12, v10, v12, 0x3ecccdef
	v_sub_f32_e32 v9, v10, v9
	v_sub_f32_e32 v19, v11, v9
	v_mul_f32_e32 v9, v10, v12
	v_fma_f32 v11, v10, v12, -v9
	v_fmac_f32_e32 v11, v19, v12
	v_add_f32_e32 v12, v9, v11
	v_add_f32_e32 v13, 0x3f2aaaaa, v12
	v_sub_f32_e32 v9, v12, v9
	v_sub_f32_e32 v9, v11, v9
	v_add_f32_e32 v11, 0xbf2aaaaa, v13
	v_add_f32_e32 v9, 0x31739010, v9
	v_sub_f32_e32 v11, v12, v11
	v_pk_mul_f32 v[14:15], v[8:9], v[10:11]
	v_pk_add_f32 v[16:17], v[8:9], v[10:11]
	v_fma_f32 v12, v10, v8, -v14
	v_fmac_f32_e32 v12, v10, v18
	v_mov_b32_e32 v15, v17
	v_fmac_f32_e32 v12, v19, v8
	v_pk_add_f32 v[10:11], v[14:15], v[12:13]
	v_ldexp_f32 v20, v18, 1
	v_sub_f32_e32 v9, v10, v14
	v_sub_f32_e32 v9, v12, v9
	;; [unrolled: 1-line block ×3, first 2 shown]
	v_add_f32_e32 v16, v17, v12
	v_pk_mul_f32 v[12:13], v[10:11], v[10:11] op_sel:[0,1] op_sel_hi:[1,0]
	v_cvt_f64_f32_e64 v[14:15], |v0|
	v_frexp_exp_i32_f64_e32 v13, v[14:15]
	v_subbrev_co_u32_e32 v13, vcc, 0, v13, vcc
	v_cvt_f32_i32_e32 v13, v13
	v_fma_f32 v14, v10, v11, -v12
	v_fmac_f32_e32 v14, v10, v16
	v_fmac_f32_e32 v14, v9, v11
	v_mul_f32_e32 v10, 0x3f317218, v13
	v_fma_f32 v16, v13, s2, -v10
	v_fmac_f32_e32 v16, 0xb102e308, v13
	v_ldexp_f32 v17, v8, 1
	v_add_f32_e32 v11, v12, v14
	v_pk_add_f32 v[8:9], v[10:11], v[16:17]
	v_mov_b32_e32 v18, v11
	v_mov_b32_e32 v19, v9
	;; [unrolled: 1-line block ×3, first 2 shown]
	v_pk_add_f32 v[12:13], v[18:19], v[12:13] neg_lo:[0,1] neg_hi:[0,1]
	v_mov_b32_e32 v15, v11
	v_pk_add_f32 v[12:13], v[14:15], v[12:13] neg_lo:[0,1] neg_hi:[0,1]
	v_mov_b32_e32 v17, v8
	v_add_f32_e32 v11, v20, v12
	v_add_f32_e32 v11, v11, v13
	v_pk_add_f32 v[12:13], v[8:9], v[10:11] neg_lo:[0,1] neg_hi:[0,1]
	v_pk_add_f32 v[14:15], v[8:9], v[10:11]
	v_mov_b32_e32 v22, v9
	v_mov_b32_e32 v13, v15
	v_pk_add_f32 v[18:19], v[16:17], v[12:13] neg_lo:[0,1] neg_hi:[0,1]
	v_pk_add_f32 v[12:13], v[16:17], v[12:13]
	v_mov_b32_e32 v10, v11
	v_pk_add_f32 v[16:17], v[12:13], v[8:9] op_sel:[1,0] op_sel_hi:[0,1] neg_lo:[0,1] neg_hi:[0,1]
	v_pk_add_f32 v[20:21], v[14:15], v[16:17] op_sel_hi:[1,0] neg_lo:[0,1] neg_hi:[0,1]
	v_mov_b32_e32 v14, v15
	v_mov_b32_e32 v15, v13
	;; [unrolled: 1-line block ×3, first 2 shown]
	v_pk_add_f32 v[14:15], v[14:15], v[22:23] neg_lo:[0,1] neg_hi:[0,1]
	v_mov_b32_e32 v11, v8
	v_pk_add_f32 v[8:9], v[10:11], v[14:15] neg_lo:[0,1] neg_hi:[0,1]
	v_mov_b32_e32 v20, v18
	v_pk_add_f32 v[10:11], v[20:21], v[8:9]
	v_mov_b32_e32 v19, v13
	v_pk_add_f32 v[14:15], v[10:11], v[10:11] op_sel:[0,1] op_sel_hi:[1,0]
	s_mov_b32 s2, 0x7f800000
	v_pk_add_f32 v[12:13], v[12:13], v[14:15] op_sel:[1,0] op_sel_hi:[0,1]
	v_mov_b32_e32 v11, v12
	v_pk_add_f32 v[16:17], v[10:11], v[18:19] neg_lo:[0,1] neg_hi:[0,1]
	v_mov_b32_e32 v9, v14
	v_sub_f32_e32 v10, v10, v16
	v_pk_add_f32 v[8:9], v[8:9], v[16:17] neg_lo:[0,1] neg_hi:[0,1]
	v_sub_f32_e32 v10, v18, v10
	v_add_f32_e32 v8, v8, v10
	v_add_f32_e32 v8, v8, v9
	;; [unrolled: 1-line block ×3, first 2 shown]
	v_sub_f32_e32 v10, v9, v12
	v_sub_f32_e32 v8, v8, v10
	v_mul_f32_e32 v10, v7, v9
	v_fma_f32 v9, v7, v9, -v10
	v_fmac_f32_e32 v9, v7, v8
	v_add_f32_e32 v8, v10, v9
	v_cmp_class_f32_e64 vcc, v10, s3
	v_sub_f32_e32 v11, v8, v10
	v_sub_f32_e32 v9, v9, v11
	v_cndmask_b32_e32 v8, v8, v10, vcc
	v_cmp_eq_f32_e32 vcc, s69, v8
	v_mov_b32_e32 v10, 0x37000000
	s_nop 0
	v_cndmask_b32_e32 v10, 0, v10, vcc
	v_sub_f32_e32 v11, v8, v10
	v_mul_f32_e32 v12, 0x3fb8aa3b, v11
	v_fma_f32 v13, v11, s56, -v12
	v_rndne_f32_e32 v14, v12
	v_fmac_f32_e32 v13, 0x32a5705f, v11
	v_sub_f32_e32 v12, v12, v14
	v_add_f32_e32 v12, v12, v13
	v_exp_f32_e32 v12, v12
	v_cvt_i32_f32_e32 v13, v14
	v_cmp_neq_f32_e64 vcc, |v8|, s2
	s_nop 1
	v_cndmask_b32_e32 v8, 0, v9, vcc
	v_ldexp_f32 v9, v12, v13
	v_cmp_ngt_f32_e32 vcc, s33, v11
	v_add_f32_e32 v8, v10, v8
	s_nop 0
	v_cndmask_b32_e32 v9, 0, v9, vcc
	v_cmp_nlt_f32_e32 vcc, s69, v11
	s_nop 1
	v_cndmask_b32_e32 v9, v213, v9, vcc
	v_fma_f32 v8, v9, v8, v9
	v_cmp_class_f32_e64 vcc, v9, s3
	v_cmp_class_f32_e64 s[2:3], v0, s3
	s_nop 0
	v_cndmask_b32_e32 v8, v8, v9, vcc
	v_trunc_f32_e32 v9, v7
	v_cmp_eq_f32_e32 vcc, v9, v7
	v_mul_f32_e32 v9, 0.5, v7
	v_trunc_f32_e32 v10, v9
	v_cmp_neq_f32_e64 s[38:39], v10, v9
	s_and_b64 s[38:39], vcc, s[38:39]
	v_mov_b32_e32 v10, 0x7fc00000
	v_cndmask_b32_e64 v9, 1.0, v0, s[38:39]
	v_bfi_b32 v8, s70, v8, v9
	v_cndmask_b32_e32 v9, v10, v8, vcc
	v_cmp_gt_f32_e32 vcc, 0, v0
	s_nop 1
	v_cndmask_b32_e32 v8, v8, v9, vcc
	v_cmp_eq_f32_e32 vcc, 0, v0
	s_xor_b64 s[40:41], s[40:41], vcc
	v_cndmask_b32_e64 v7, v213, 0, s[40:41]
	v_cndmask_b32_e64 v9, 0, v0, s[38:39]
	v_bfi_b32 v7, s70, v7, v9
	s_or_b64 vcc, vcc, s[2:3]
	v_cndmask_b32_e32 v7, v8, v7, vcc
	v_cmp_o_f32_e32 vcc, v0, v0
	s_nop 1
	v_cndmask_b32_e32 v100, v10, v7, vcc
.LBB25_18:                              ;   in Loop: Header=BB25_13 Depth=1
	v_readlane_b32 s2, v254, 3
	s_nop 1
	v_mul_lo_u32 v0, v6, s2
	v_sub_u32_e32 v0, v3, v0
	v_ashrrev_i32_e32 v3, 31, v0
	v_readlane_b32 s2, v254, 28
	v_sub_u32_e32 v6, 0, v0
	v_max_i32_e32 v0, v0, v6
	v_xor_b32_e32 v3, s2, v3
	v_readlane_b32 s2, v254, 29
	s_nop 1
	v_mul_hi_u32 v6, v0, s2
	v_readlane_b32 s2, v254, 30
	s_nop 1
	v_mul_lo_u32 v7, v6, s2
	v_sub_u32_e32 v0, v0, v7
	v_add_u32_e32 v7, 1, v6
	v_subrev_u32_e32 v8, s2, v0
	v_cmp_le_u32_e32 vcc, s2, v0
	s_nop 1
	v_cndmask_b32_e32 v6, v6, v7, vcc
	v_cndmask_b32_e32 v0, v0, v8, vcc
	v_add_u32_e32 v7, 1, v6
	v_cmp_le_u32_e32 vcc, s2, v0
	v_readlane_b32 s2, v254, 60
	v_readlane_b32 s3, v254, 61
	v_cndmask_b32_e32 v0, v6, v7, vcc
	v_xor_b32_e32 v0, v0, v3
	s_andn2_b64 vcc, exec, s[2:3]
	v_sub_u32_e32 v6, v0, v3
	s_cbranch_vccnz .LBB25_20
; %bb.19:                               ;   in Loop: Header=BB25_13 Depth=1
	v_readlane_b32 s2, v254, 0
	v_readlane_b32 s72, v254, 31
	;; [unrolled: 1-line block ×3, first 2 shown]
	v_mul_lo_u32 v0, v1, s2
	v_add_u32_e32 v8, v6, v0
	v_ashrrev_i32_e32 v9, 31, v8
	v_lshlrev_b64 v[8:9], 2, v[8:9]
	v_readlane_b32 s83, v254, 42
	v_readlane_b32 s73, v254, 32
	;; [unrolled: 1-line block ×3, first 2 shown]
	v_lshl_add_u64 v[8:9], s[82:83], 0, v[8:9]
	global_load_dword v0, v[8:9], off
	v_readlane_b32 s75, v254, 34
	v_readlane_b32 s76, v254, 35
	;; [unrolled: 1-line block ×11, first 2 shown]
	s_waitcnt vmcnt(0)
	v_readfirstlane_b32 s2, v0
	s_ashr_i32 s3, s2, 31
	s_lshr_b32 s3, s3, 26
	s_add_i32 s2, s2, s3
	s_ashr_i32 s2, s2, 6
	s_min_i32 s55, s55, s2
	s_branch .LBB25_21
.LBB25_20:                              ;   in Loop: Header=BB25_13 Depth=1
	v_readlane_b32 s72, v254, 31
	v_readlane_b32 s73, v254, 32
	;; [unrolled: 1-line block ×16, first 2 shown]
.LBB25_21:                              ;   in Loop: Header=BB25_13 Depth=1
	v_readlane_b32 s2, v254, 55
	v_readlane_b32 s40, v254, 24
	;; [unrolled: 1-line block ×3, first 2 shown]
	v_mul_lo_u32 v0, s2, v1
	v_add_u32_e32 v0, v2, v0
	v_readlane_b32 s2, v254, 18
	v_lshlrev_b32_e32 v52, 6, v0
	v_readlane_b32 s3, v254, 19
	v_mul_lo_u32 v0, s2, v4
	v_mul_hi_u32 v3, s2, v1
	v_add_u32_e32 v0, v3, v0
	v_mul_lo_u32 v3, s3, v1
	v_lshlrev_b64 v[8:9], 3, v[52:53]
	v_add_u32_e32 v107, v0, v3
	v_mul_lo_u32 v106, s2, v1
	v_mul_lo_u32 v108, v5, s43
	v_lshl_add_u64 v[94:95], s[84:85], 0, v[8:9]
	v_lshl_add_u64 v[8:9], s[76:77], 0, v[106:107]
	v_ashrrev_i32_e32 v109, 31, v108
	v_ashrrev_i32_e32 v3, 31, v2
	v_lshl_add_u64 v[98:99], v[8:9], 0, v[108:109]
	v_lshlrev_b64 v[8:9], 2, v[2:3]
	v_readlane_b32 s2, v254, 56
	v_lshl_add_u64 v[8:9], s[80:81], 0, v[8:9]
	v_readlane_b32 s3, v254, 57
	v_readlane_b32 s41, v254, 25
	v_mul_lo_u32 v0, s40, v4
	v_cndmask_b32_e64 v97, v9, 0, s[2:3]
	v_cndmask_b32_e64 v96, v8, 0, s[2:3]
	v_readlane_b32 s2, v254, 10
	v_readlane_b32 s3, v254, 11
	v_mul_lo_u32 v110, s40, v1
	v_mul_lo_u32 v2, v2, s2
	;; [unrolled: 1-line block ×3, first 2 shown]
	v_ashrrev_i32_e32 v9, 31, v8
	v_lshl_add_u64 v[8:9], s[72:73], 0, v[8:9]
	v_ashrrev_i32_e32 v3, 31, v2
	v_lshl_add_u64 v[114:115], v[8:9], 0, v[2:3]
	v_mul_hi_u32 v2, s40, v1
	v_readlane_b32 s2, v254, 22
	v_add_u32_e32 v0, v2, v0
	v_mul_lo_u32 v2, s41, v1
	v_readlane_b32 s3, v254, 23
	v_add_u32_e32 v111, v0, v2
	v_lshl_add_u64 v[2:3], s[74:75], 0, v[110:111]
	v_mul_lo_u32 v112, v5, s3
	v_ashrrev_i32_e32 v113, 31, v112
	v_lshlrev_b32_e32 v156, 6, v6
	v_lshl_add_u64 v[104:105], v[2:3], 0, v[112:113]
	s_cmp_lg_u32 s50, 0
	v_add_u32_e32 v214, v172, v156
	v_readlane_b32 s42, v254, 26
	s_cbranch_scc0 .LBB25_167
; %bb.22:                               ;   in Loop: Header=BB25_13 Depth=1
	v_cmp_gt_i32_e64 s[2:3], s68, v214
	v_cmp_le_i32_e32 vcc, s68, v214
	s_nop 0
	v_writelane_b32 v255, s2, 18
	s_nop 1
	v_writelane_b32 v255, s3, 19
	s_and_saveexec_b64 s[2:3], vcc
	s_xor_b64 s[2:3], exec, s[2:3]
; %bb.23:                               ;   in Loop: Header=BB25_13 Depth=1
	v_add_u32_e32 v0, v206, v226
	ds_write_b32 v0, v53
; %bb.24:                               ;   in Loop: Header=BB25_13 Depth=1
	s_andn2_saveexec_b64 s[2:3], s[2:3]
	s_cbranch_execz .LBB25_26
; %bb.25:                               ;   in Loop: Header=BB25_13 Depth=1
	v_mad_u64_u32 v[0:1], s[38:39], v214, s66, v[50:51]
	v_ashrrev_i32_e32 v1, 31, v0
	v_lshl_add_u64 v[0:1], v[0:1], 3, v[114:115]
	global_load_dwordx2 v[0:1], v[0:1], off
	s_waitcnt vmcnt(0)
	v_cvt_pk_f16_f32 v0, v0, v1
	v_pk_mul_f16 v0, v0, v241
	v_add_u32_e32 v1, v206, v226
	ds_write_b32 v1, v0
.LBB25_26:                              ;   in Loop: Header=BB25_13 Depth=1
	s_or_b64 exec, exec, s[2:3]
	v_add_u32_e32 v80, v117, v156
	v_cmp_gt_i32_e64 s[2:3], s68, v80
	v_cmp_le_i32_e32 vcc, s68, v80
	s_nop 0
	v_writelane_b32 v255, s2, 20
	s_nop 1
	v_writelane_b32 v255, s3, 21
	s_and_saveexec_b64 s[2:3], vcc
	s_xor_b64 s[2:3], exec, s[2:3]
; %bb.27:                               ;   in Loop: Header=BB25_13 Depth=1
	v_add_u32_e32 v0, v206, v197
	ds_write_b32 v0, v53
; %bb.28:                               ;   in Loop: Header=BB25_13 Depth=1
	s_andn2_saveexec_b64 s[2:3], s[2:3]
	s_cbranch_execz .LBB25_30
; %bb.29:                               ;   in Loop: Header=BB25_13 Depth=1
	v_mad_u64_u32 v[0:1], s[38:39], v80, s66, v[50:51]
	v_ashrrev_i32_e32 v1, 31, v0
	v_lshl_add_u64 v[0:1], v[0:1], 3, v[114:115]
	global_load_dwordx2 v[0:1], v[0:1], off
	s_waitcnt vmcnt(0)
	v_cvt_pk_f16_f32 v0, v0, v1
	v_pk_mul_f16 v0, v0, v241
	v_add_u32_e32 v1, v206, v197
	ds_write_b32 v1, v0
.LBB25_30:                              ;   in Loop: Header=BB25_13 Depth=1
	s_or_b64 exec, exec, s[2:3]
	v_add_u32_e32 v212, v116, v156
	;; [unrolled: 27-line block ×7, first 2 shown]
	v_cmp_gt_i32_e64 s[2:3], s68, v204
	v_cmp_le_i32_e32 vcc, s68, v204
	s_nop 0
	v_writelane_b32 v255, s2, 32
	s_nop 1
	v_writelane_b32 v255, s3, 33
	s_and_saveexec_b64 s[2:3], vcc
	s_xor_b64 s[2:3], exec, s[2:3]
; %bb.51:                               ;   in Loop: Header=BB25_13 Depth=1
	v_add_u32_e32 v0, v206, v202
	ds_write_b32 v0, v53 offset:1088
; %bb.52:                               ;   in Loop: Header=BB25_13 Depth=1
	s_andn2_saveexec_b64 s[2:3], s[2:3]
	s_cbranch_execz .LBB25_54
; %bb.53:                               ;   in Loop: Header=BB25_13 Depth=1
	v_mad_u64_u32 v[0:1], s[38:39], v204, s66, v[50:51]
	v_ashrrev_i32_e32 v1, 31, v0
	v_lshl_add_u64 v[0:1], v[0:1], 3, v[114:115]
	global_load_dwordx2 v[0:1], v[0:1], off
	s_waitcnt vmcnt(0)
	v_cvt_pk_f16_f32 v0, v0, v1
	v_pk_mul_f16 v0, v0, v241
	v_add_u32_e32 v1, v206, v202
	ds_write_b32 v1, v0 offset:1088
.LBB25_54:                              ;   in Loop: Header=BB25_13 Depth=1
	s_or_b64 exec, exec, s[2:3]
	v_add_u32_e32 v203, v167, v156
	v_cmp_gt_i32_e64 s[2:3], s68, v203
	v_cmp_le_i32_e32 vcc, s68, v203
	s_nop 0
	v_writelane_b32 v255, s2, 34
	s_nop 1
	v_writelane_b32 v255, s3, 35
	s_and_saveexec_b64 s[2:3], vcc
	s_xor_b64 s[2:3], exec, s[2:3]
; %bb.55:                               ;   in Loop: Header=BB25_13 Depth=1
	v_add_u32_e32 v0, v206, v202
	ds_write_b32 v0, v53 offset:2176
; %bb.56:                               ;   in Loop: Header=BB25_13 Depth=1
	s_andn2_saveexec_b64 s[2:3], s[2:3]
	s_cbranch_execz .LBB25_58
; %bb.57:                               ;   in Loop: Header=BB25_13 Depth=1
	v_mad_u64_u32 v[0:1], s[38:39], v203, s66, v[50:51]
	v_ashrrev_i32_e32 v1, 31, v0
	v_lshl_add_u64 v[0:1], v[0:1], 3, v[114:115]
	global_load_dwordx2 v[0:1], v[0:1], off
	s_waitcnt vmcnt(0)
	v_cvt_pk_f16_f32 v0, v0, v1
	v_pk_mul_f16 v0, v0, v241
	v_add_u32_e32 v1, v206, v202
	ds_write_b32 v1, v0 offset:2176
.LBB25_58:                              ;   in Loop: Header=BB25_13 Depth=1
	s_or_b64 exec, exec, s[2:3]
	v_add_u32_e32 v159, v166, v156
	;; [unrolled: 27-line block ×8, first 2 shown]
	v_cmp_gt_i32_e64 s[2:3], s68, v211
	v_cmp_le_i32_e32 vcc, s68, v211
	s_nop 0
	v_writelane_b32 v255, s2, 48
	s_nop 1
	v_writelane_b32 v255, s3, 49
	s_and_saveexec_b64 s[2:3], vcc
	s_xor_b64 s[2:3], exec, s[2:3]
; %bb.83:                               ;   in Loop: Header=BB25_13 Depth=1
	v_add_u32_e32 v0, v206, v202
	ds_write_b32 v0, v53 offset:9792
; %bb.84:                               ;   in Loop: Header=BB25_13 Depth=1
	s_andn2_saveexec_b64 s[2:3], s[2:3]
	s_cbranch_execz .LBB25_86
; %bb.85:                               ;   in Loop: Header=BB25_13 Depth=1
	v_mad_u64_u32 v[0:1], s[38:39], v211, s66, v[50:51]
	v_ashrrev_i32_e32 v1, 31, v0
	v_lshl_add_u64 v[0:1], v[0:1], 3, v[114:115]
	global_load_dwordx2 v[0:1], v[0:1], off
	s_waitcnt vmcnt(0)
	v_cvt_pk_f16_f32 v0, v0, v1
	v_pk_mul_f16 v0, v0, v241
	v_add_u32_e32 v1, v206, v202
	ds_write_b32 v1, v0 offset:9792
.LBB25_86:                              ;   in Loop: Header=BB25_13 Depth=1
	s_or_b64 exec, exec, s[2:3]
	s_waitcnt lgkmcnt(0)
	s_barrier
	ds_read2_b64 v[14:17], v57 offset1:4
	ds_read2_b64 v[10:13], v57 offset0:8 offset1:12
	ds_read2_b64 v[6:9], v57 offset0:16 offset1:20
	;; [unrolled: 1-line block ×3, first 2 shown]
	s_add_i32 s40, s55, -1
	s_cmp_ge_i32 s50, s40
	s_waitcnt lgkmcnt(0)
	s_barrier
	s_cbranch_scc1 .LBB25_168
; %bb.87:                               ;   in Loop: Header=BB25_13 Depth=1
	v_mul_hi_u32 v0, s58, v214
	v_add_u32_e32 v0, v214, v0
	v_lshrrev_b32_e32 v0, s59, v0
	v_mul_lo_u32 v0, v0, s68
	v_sub_u32_e32 v0, v214, v0
	v_mad_i64_i32 v[118:119], s[2:3], v0, s94, 0
	v_mul_hi_u32 v0, s58, v80
	v_add_u32_e32 v0, v80, v0
	v_lshrrev_b32_e32 v0, s59, v0
	v_mul_lo_u32 v0, v0, s68
	v_sub_u32_e32 v0, v80, v0
	v_mad_i64_i32 v[120:121], s[2:3], v0, s94, 0
	;; [unrolled: 6-line block ×16, first 2 shown]
	v_and_b32_e32 v0, 64, v240
	v_add_u32_e32 v0, 64, v0
	v_xor_b32_e32 v1, 32, v240
	v_cmp_lt_i32_e32 vcc, v1, v0
	v_lshlrev_b32_e32 v52, 1, v50
	v_cmp_ne_u64_e64 s[72:73], 0, v[102:103]
	v_cndmask_b32_e32 v1, v240, v1, vcc
	v_lshlrev_b32_e32 v83, 2, v1
	v_xor_b32_e32 v1, 16, v240
	v_cmp_lt_i32_e32 vcc, v1, v0
	v_lshl_add_u64 v[116:117], v[102:103], 0, v[52:53]
	v_mov_b32_e32 v150, v100
	v_cndmask_b32_e32 v0, v240, v1, vcc
	v_lshlrev_b32_e32 v239, 2, v0
	v_mov_b32_e32 v151, v100
	s_lshl_b32 s2, s50, 6
	v_mov_b32_e32 v84, 0
	v_mov_b32_e32 v175, 0xfeffffff
	;; [unrolled: 1-line block ×18, first 2 shown]
	s_andn2_b64 vcc, exec, s[72:73]
	s_ashr_i32 s3, s2, 31
	s_cbranch_vccnz .LBB25_97
.LBB25_88:                              ;   in Loop: Header=BB25_13 Depth=1
	s_and_saveexec_b64 s[38:39], s[48:49]
	s_xor_b64 s[38:39], exec, s[38:39]
	s_cbranch_execz .LBB25_90
; %bb.89:                               ;   in Loop: Header=BB25_13 Depth=1
	ds_write_b16 v176, v53 offset:17408
	ds_write_b16 v242, v53 offset:17408
	;; [unrolled: 1-line block ×4, first 2 shown]
.LBB25_90:                              ;   in Loop: Header=BB25_13 Depth=1
	s_or_saveexec_b64 s[38:39], s[38:39]
	v_lshl_add_u64 v[18:19], s[2:3], 1, v[116:117]
	v_mov_b32_e32 v1, 0
	v_mov_b32_e32 v20, 0
	;; [unrolled: 1-line block ×4, first 2 shown]
	s_xor_b64 exec, exec, s[38:39]
	s_cbranch_execz .LBB25_92
; %bb.91:                               ;   in Loop: Header=BB25_13 Depth=1
	v_lshl_add_u64 v[0:1], v[118:119], 1, v[18:19]
	global_load_ushort v20, v[0:1], off
	v_lshl_add_u64 v[0:1], v[120:121], 1, v[18:19]
	global_load_ushort v21, v[0:1], off
	;; [unrolled: 2-line block ×4, first 2 shown]
	s_waitcnt vmcnt(3)
	ds_write_b16 v176, v20 offset:17408
	s_waitcnt vmcnt(2)
	ds_write_b16 v242, v21 offset:17408
	;; [unrolled: 2-line block ×4, first 2 shown]
	v_lshl_add_u64 v[0:1], v[126:127], 1, v[18:19]
	v_lshl_add_u64 v[20:21], v[128:129], 1, v[18:19]
	v_lshl_add_u64 v[22:23], v[130:131], 1, v[18:19]
	global_load_ushort v1, v[0:1], off
	s_nop 0
	global_load_ushort v20, v[20:21], off
	s_nop 0
	global_load_ushort v21, v[22:23], off
	v_lshl_add_u64 v[22:23], v[132:133], 1, v[18:19]
	global_load_ushort v22, v[22:23], off
.LBB25_92:                              ;   in Loop: Header=BB25_13 Depth=1
	s_or_b64 exec, exec, s[38:39]
	s_waitcnt vmcnt(3)
	ds_write_b16 v245, v1 offset:17408
	s_waitcnt vmcnt(2)
	ds_write_b16 v246, v20 offset:17408
	;; [unrolled: 2-line block ×4, first 2 shown]
	s_and_saveexec_b64 s[38:39], s[48:49]
	s_xor_b64 s[38:39], exec, s[38:39]
	s_cbranch_execz .LBB25_94
; %bb.93:                               ;   in Loop: Header=BB25_13 Depth=1
	ds_write_b16 v249, v53 offset:17408
	ds_write_b16 v250, v53 offset:17408
	;; [unrolled: 1-line block ×4, first 2 shown]
                                        ; implicit-def: $vgpr18_vgpr19
.LBB25_94:                              ;   in Loop: Header=BB25_13 Depth=1
	s_or_saveexec_b64 s[38:39], s[38:39]
	v_mov_b32_e32 v1, 0
	v_mov_b32_e32 v20, 0
	;; [unrolled: 1-line block ×4, first 2 shown]
	s_xor_b64 exec, exec, s[38:39]
	s_cbranch_execz .LBB25_96
; %bb.95:                               ;   in Loop: Header=BB25_13 Depth=1
	v_lshl_add_u64 v[0:1], v[134:135], 1, v[18:19]
	global_load_ushort v20, v[0:1], off
	v_lshl_add_u64 v[0:1], v[136:137], 1, v[18:19]
	global_load_ushort v21, v[0:1], off
	;; [unrolled: 2-line block ×4, first 2 shown]
	s_waitcnt vmcnt(3)
	ds_write_b16 v249, v20 offset:17408
	s_waitcnt vmcnt(2)
	ds_write_b16 v250, v21 offset:17408
	;; [unrolled: 2-line block ×4, first 2 shown]
	v_lshl_add_u64 v[0:1], v[142:143], 1, v[18:19]
	v_lshl_add_u64 v[20:21], v[144:145], 1, v[18:19]
	;; [unrolled: 1-line block ×4, first 2 shown]
	global_load_ushort v1, v[0:1], off
	s_nop 0
	global_load_ushort v20, v[20:21], off
	s_nop 0
	;; [unrolled: 2-line block ×3, first 2 shown]
	global_load_ushort v22, v[18:19], off
.LBB25_96:                              ;   in Loop: Header=BB25_13 Depth=1
	s_or_b64 exec, exec, s[38:39]
	s_waitcnt vmcnt(3)
	ds_write_b16 v253, v1 offset:17408
	s_waitcnt vmcnt(2)
	ds_write_b16 v234, v20 offset:17408
	;; [unrolled: 2-line block ×4, first 2 shown]
.LBB25_97:                              ;   Parent Loop BB25_13 Depth=1
                                        ; =>  This Inner Loop Header: Depth=2
	s_mul_hi_i32 s39, s2, s98
	s_mul_i32 s38, s2, s98
	s_lshl_b64 s[38:39], s[38:39], 2
	v_lshl_add_u64 v[0:1], v[104:105], 0, s[38:39]
	v_lshlrev_b32_e32 v52, 2, v56
	v_lshl_add_u64 v[20:21], v[60:61], 2, v[0:1]
	v_lshl_add_u64 v[18:19], v[58:59], 2, v[0:1]
	v_mov_b32_e32 v26, s57
	v_lshl_add_u64 v[20:21], v[20:21], 0, v[52:53]
	v_lshl_add_u64 v[18:19], v[18:19], 0, v[52:53]
	v_cndmask_b32_e64 v23, v26, v21, s[6:7]
	v_cndmask_b32_e64 v22, v236, v20, s[6:7]
	v_lshl_add_u64 v[20:21], v[62:63], 2, v[0:1]
	v_cndmask_b32_e64 v19, v26, v19, s[4:5]
	v_cndmask_b32_e64 v18, v236, v18, s[4:5]
	v_lshl_add_u64 v[20:21], v[20:21], 0, v[52:53]
	scratch_store_dwordx4 off, v[228:231], off
	v_cndmask_b32_e64 v25, v26, v21, s[8:9]
	v_cndmask_b32_e64 v24, v236, v20, s[8:9]
	flat_load_dwordx4 v[18:21], v[18:19]
	v_lshl_add_u64 v[0:1], v[64:65], 2, v[0:1]
	v_lshl_add_u64 v[0:1], v[0:1], 0, v[52:53]
	v_cndmask_b32_e64 v1, v26, v1, s[10:11]
	v_cndmask_b32_e64 v0, v236, v0, s[10:11]
	s_waitcnt vmcnt(0) lgkmcnt(0)
	ds_write_b128 v178, v[18:21]
	flat_load_dwordx4 v[18:21], v[22:23]
	s_waitcnt vmcnt(0) lgkmcnt(0)
	ds_write_b128 v233, v[18:21]
	flat_load_dwordx4 v[18:21], v[24:25]
	s_waitcnt vmcnt(0) lgkmcnt(0)
	ds_write_b128 v227, v[18:21]
	flat_load_dwordx4 v[18:21], v[0:1]
	v_add_u32_e32 v0, 0x1000, v179
                                        ; implicit-def: $vgpr1
	s_waitcnt vmcnt(0) lgkmcnt(0)
	ds_write_b128 v238, v[18:21]
	s_waitcnt lgkmcnt(0)
	s_barrier
	ds_read2_b64 v[18:21], v179 offset1:4
	s_waitcnt lgkmcnt(0)
	v_mfma_f32_16x16x16_f16 v[22:25], v[18:19], v[14:15], 0
	v_mfma_f32_16x16x16_f16 v[18:21], v[20:21], v[16:17], v[22:25]
	s_nop 6
	ds_read2_b64 v[22:25], v179 offset0:8 offset1:12
	s_waitcnt lgkmcnt(0)
	v_mfma_f32_16x16x16_f16 v[18:21], v[22:23], v[10:11], v[18:21]
	v_mfma_f32_16x16x16_f16 v[18:21], v[24:25], v[12:13], v[18:21]
	ds_read2_b64 v[22:25], v179 offset0:16 offset1:20
	s_waitcnt lgkmcnt(0)
	v_mfma_f32_16x16x16_f16 v[18:21], v[22:23], v[6:7], v[18:21]
	v_mfma_f32_16x16x16_f16 v[18:21], v[24:25], v[8:9], v[18:21]
	;; [unrolled: 4-line block ×3, first 2 shown]
	ds_read2_b64 v[22:25], v0 offset0:32 offset1:36
	s_waitcnt lgkmcnt(0)
	v_mfma_f32_16x16x16_f16 v[26:29], v[22:23], v[14:15], 0
	s_nop 4
	v_cmp_nlt_f32_e64 s[38:39], |v18|, s71
	v_mfma_f32_16x16x16_f16 v[22:25], v[24:25], v[16:17], v[26:29]
	s_nop 2
	ds_read2_b64 v[26:29], v0 offset0:40 offset1:44
	s_waitcnt lgkmcnt(0)
	v_mfma_f32_16x16x16_f16 v[22:25], v[26:27], v[10:11], v[22:25]
	v_mfma_f32_16x16x16_f16 v[22:25], v[28:29], v[12:13], v[22:25]
	ds_read2_b64 v[26:29], v0 offset0:48 offset1:52
	s_waitcnt lgkmcnt(0)
	v_mfma_f32_16x16x16_f16 v[22:25], v[26:27], v[6:7], v[22:25]
	v_mfma_f32_16x16x16_f16 v[22:25], v[28:29], v[8:9], v[22:25]
	ds_read2_b64 v[26:29], v0 offset0:56 offset1:60
	v_add_u32_e32 v0, 0x2000, v179
	s_waitcnt lgkmcnt(0)
	v_mfma_f32_16x16x16_f16 v[22:25], v[26:27], v[2:3], v[22:25]
	v_mfma_f32_16x16x16_f16 v[22:25], v[28:29], v[4:5], v[22:25]
	ds_read2_b64 v[26:29], v0 offset0:64 offset1:68
	s_waitcnt lgkmcnt(0)
	v_mfma_f32_16x16x16_f16 v[30:33], v[26:27], v[14:15], 0
	v_mfma_f32_16x16x16_f16 v[26:29], v[28:29], v[16:17], v[30:33]
	s_nop 6
	ds_read2_b64 v[30:33], v0 offset0:72 offset1:76
	s_waitcnt lgkmcnt(0)
	v_mfma_f32_16x16x16_f16 v[26:29], v[30:31], v[10:11], v[26:29]
	v_mfma_f32_16x16x16_f16 v[26:29], v[32:33], v[12:13], v[26:29]
	ds_read2_b64 v[30:33], v0 offset0:80 offset1:84
	s_waitcnt lgkmcnt(0)
	v_mfma_f32_16x16x16_f16 v[26:29], v[30:31], v[6:7], v[26:29]
	v_mfma_f32_16x16x16_f16 v[26:29], v[32:33], v[8:9], v[26:29]
	ds_read2_b64 v[30:33], v0 offset0:88 offset1:92
	v_add_u32_e32 v0, 0x3000, v179
	s_waitcnt lgkmcnt(0)
	v_mfma_f32_16x16x16_f16 v[26:29], v[30:31], v[2:3], v[26:29]
	v_mfma_f32_16x16x16_f16 v[26:29], v[32:33], v[4:5], v[26:29]
	ds_read2_b64 v[30:33], v0 offset0:96 offset1:100
	s_waitcnt lgkmcnt(0)
	v_mfma_f32_16x16x16_f16 v[34:37], v[30:31], v[14:15], 0
	v_mfma_f32_16x16x16_f16 v[30:33], v[32:33], v[16:17], v[34:37]
	s_nop 6
	ds_read2_b64 v[34:37], v0 offset0:104 offset1:108
	s_waitcnt lgkmcnt(0)
	v_mfma_f32_16x16x16_f16 v[30:33], v[34:35], v[10:11], v[30:33]
	v_mfma_f32_16x16x16_f16 v[30:33], v[36:37], v[12:13], v[30:33]
	ds_read2_b64 v[34:37], v0 offset0:112 offset1:116
	s_waitcnt lgkmcnt(0)
	v_mfma_f32_16x16x16_f16 v[30:33], v[34:35], v[6:7], v[30:33]
	v_mfma_f32_16x16x16_f16 v[30:33], v[36:37], v[8:9], v[30:33]
	ds_read2_b64 v[34:37], v0 offset0:120 offset1:124
	s_waitcnt lgkmcnt(0)
	s_barrier
	v_mfma_f32_16x16x16_f16 v[30:33], v[34:35], v[2:3], v[30:33]
	v_mfma_f32_16x16x16_f16 v[30:33], v[36:37], v[4:5], v[30:33]
	s_and_saveexec_b64 s[42:43], s[38:39]
	s_xor_b64 s[38:39], exec, s[42:43]
	s_cbranch_execz .LBB25_99
; %bb.98:                               ;   in Loop: Header=BB25_97 Depth=2
	v_add_f32_e64 v0, |v18|, |v18|
	v_mul_f32_e32 v1, 0x3fb8aa3b, v0
	v_rndne_f32_e32 v34, v1
	v_sub_f32_e32 v35, v1, v34
	v_fma_f32 v1, v0, s56, -v1
	v_fmac_f32_e32 v1, 0x32a5705f, v0
	v_add_f32_e32 v1, v35, v1
	v_cvt_i32_f32_e32 v34, v34
	v_exp_f32_e32 v1, v1
	v_cmp_ngt_f32_e32 vcc, s33, v0
	v_ldexp_f32 v1, v1, v34
	s_nop 0
	v_cndmask_b32_e32 v1, 0, v1, vcc
	v_cmp_nlt_f32_e32 vcc, s69, v0
	s_nop 1
	v_cndmask_b32_e32 v0, v213, v1, vcc
	v_add_f32_e32 v0, 1.0, v0
	v_rcp_f32_e32 v0, v0
	s_nop 0
	v_fma_f32 v1, v0, -2.0, 1.0
.LBB25_99:                              ;   in Loop: Header=BB25_97 Depth=2
	s_andn2_saveexec_b64 s[38:39], s[38:39]
; %bb.100:                              ;   in Loop: Header=BB25_97 Depth=2
	v_mul_f32_e32 v0, v18, v18
	v_fmamk_f32 v1, v0, 0xbbbac73d, v217
	v_fmaak_f32 v1, v0, v1, 0xbd5c1c4e
	v_fmaak_f32 v1, v0, v1, 0x3e088382
	;; [unrolled: 1-line block ×3, first 2 shown]
	v_mul_f32_e64 v1, |v18|, v1
	v_fma_f32 v1, v0, v1, |v18|
; %bb.101:                              ;   in Loop: Header=BB25_97 Depth=2
	s_or_b64 exec, exec, s[38:39]
	v_cmp_nlt_f32_e64 s[38:39], |v19|, s71
                                        ; implicit-def: $vgpr37
	s_and_saveexec_b64 s[42:43], s[38:39]
	s_xor_b64 s[38:39], exec, s[42:43]
	s_cbranch_execz .LBB25_103
; %bb.102:                              ;   in Loop: Header=BB25_97 Depth=2
	v_add_f32_e64 v0, |v19|, |v19|
	v_mul_f32_e32 v34, 0x3fb8aa3b, v0
	v_rndne_f32_e32 v35, v34
	v_sub_f32_e32 v36, v34, v35
	v_fma_f32 v34, v0, s56, -v34
	v_fmac_f32_e32 v34, 0x32a5705f, v0
	v_add_f32_e32 v34, v36, v34
	v_cvt_i32_f32_e32 v35, v35
	v_exp_f32_e32 v34, v34
	v_cmp_ngt_f32_e32 vcc, s33, v0
	v_ldexp_f32 v34, v34, v35
	s_nop 0
	v_cndmask_b32_e32 v34, 0, v34, vcc
	v_cmp_nlt_f32_e32 vcc, s69, v0
	s_nop 1
	v_cndmask_b32_e32 v0, v213, v34, vcc
	v_add_f32_e32 v0, 1.0, v0
	v_rcp_f32_e32 v0, v0
	s_nop 0
	v_fma_f32 v37, v0, -2.0, 1.0
.LBB25_103:                             ;   in Loop: Header=BB25_97 Depth=2
	s_andn2_saveexec_b64 s[38:39], s[38:39]
; %bb.104:                              ;   in Loop: Header=BB25_97 Depth=2
	v_mul_f32_e32 v0, v19, v19
	v_fmamk_f32 v34, v0, 0xbbbac73d, v217
	v_fmaak_f32 v34, v0, v34, 0xbd5c1c4e
	v_fmaak_f32 v34, v0, v34, 0x3e088382
	;; [unrolled: 1-line block ×3, first 2 shown]
	v_mul_f32_e64 v34, |v19|, v34
	v_fma_f32 v37, v0, v34, |v19|
; %bb.105:                              ;   in Loop: Header=BB25_97 Depth=2
	s_or_b64 exec, exec, s[38:39]
	v_cmp_nlt_f32_e64 s[38:39], |v20|, s71
                                        ; implicit-def: $vgpr48
	s_and_saveexec_b64 s[42:43], s[38:39]
	s_xor_b64 s[38:39], exec, s[42:43]
	s_cbranch_execz .LBB25_107
; %bb.106:                              ;   in Loop: Header=BB25_97 Depth=2
	v_add_f32_e64 v0, |v20|, |v20|
	v_mul_f32_e32 v34, 0x3fb8aa3b, v0
	v_rndne_f32_e32 v35, v34
	v_sub_f32_e32 v36, v34, v35
	v_fma_f32 v34, v0, s56, -v34
	v_fmac_f32_e32 v34, 0x32a5705f, v0
	v_add_f32_e32 v34, v36, v34
	v_cvt_i32_f32_e32 v35, v35
	v_exp_f32_e32 v34, v34
	v_cmp_ngt_f32_e32 vcc, s33, v0
	v_ldexp_f32 v34, v34, v35
	s_nop 0
	v_cndmask_b32_e32 v34, 0, v34, vcc
	v_cmp_nlt_f32_e32 vcc, s69, v0
	s_nop 1
	v_cndmask_b32_e32 v0, v213, v34, vcc
	v_add_f32_e32 v0, 1.0, v0
	v_rcp_f32_e32 v0, v0
	s_nop 0
	v_fma_f32 v48, v0, -2.0, 1.0
.LBB25_107:                             ;   in Loop: Header=BB25_97 Depth=2
	s_andn2_saveexec_b64 s[38:39], s[38:39]
; %bb.108:                              ;   in Loop: Header=BB25_97 Depth=2
	v_mul_f32_e32 v0, v20, v20
	v_fmamk_f32 v34, v0, 0xbbbac73d, v217
	v_fmaak_f32 v34, v0, v34, 0xbd5c1c4e
	v_fmaak_f32 v34, v0, v34, 0x3e088382
	;; [unrolled: 1-line block ×3, first 2 shown]
	v_mul_f32_e64 v34, |v20|, v34
	v_fma_f32 v48, v0, v34, |v20|
; %bb.109:                              ;   in Loop: Header=BB25_97 Depth=2
	s_or_b64 exec, exec, s[38:39]
	v_cmp_nlt_f32_e64 s[38:39], |v21|, s71
                                        ; implicit-def: $vgpr49
	s_and_saveexec_b64 s[42:43], s[38:39]
	s_xor_b64 s[38:39], exec, s[42:43]
	s_cbranch_execz .LBB25_111
; %bb.110:                              ;   in Loop: Header=BB25_97 Depth=2
	v_add_f32_e64 v0, |v21|, |v21|
	v_mul_f32_e32 v34, 0x3fb8aa3b, v0
	v_rndne_f32_e32 v35, v34
	v_sub_f32_e32 v36, v34, v35
	v_fma_f32 v34, v0, s56, -v34
	v_fmac_f32_e32 v34, 0x32a5705f, v0
	v_add_f32_e32 v34, v36, v34
	v_cvt_i32_f32_e32 v35, v35
	v_exp_f32_e32 v34, v34
	v_cmp_ngt_f32_e32 vcc, s33, v0
	v_ldexp_f32 v34, v34, v35
	s_nop 0
	v_cndmask_b32_e32 v34, 0, v34, vcc
	v_cmp_nlt_f32_e32 vcc, s69, v0
	s_nop 1
	v_cndmask_b32_e32 v0, v213, v34, vcc
	v_add_f32_e32 v0, 1.0, v0
	v_rcp_f32_e32 v0, v0
	s_nop 0
	v_fma_f32 v49, v0, -2.0, 1.0
.LBB25_111:                             ;   in Loop: Header=BB25_97 Depth=2
	s_andn2_saveexec_b64 s[38:39], s[38:39]
; %bb.112:                              ;   in Loop: Header=BB25_97 Depth=2
	v_mul_f32_e32 v0, v21, v21
	v_fmamk_f32 v34, v0, 0xbbbac73d, v217
	v_fmaak_f32 v34, v0, v34, 0xbd5c1c4e
	v_fmaak_f32 v34, v0, v34, 0x3e088382
	;; [unrolled: 1-line block ×3, first 2 shown]
	v_mul_f32_e64 v34, |v21|, v34
	v_fma_f32 v49, v0, v34, |v21|
; %bb.113:                              ;   in Loop: Header=BB25_97 Depth=2
	s_or_b64 exec, exec, s[38:39]
	v_cmp_nlt_f32_e64 s[38:39], |v22|, s71
                                        ; implicit-def: $vgpr42
	s_and_saveexec_b64 s[42:43], s[38:39]
	s_xor_b64 s[38:39], exec, s[42:43]
	s_cbranch_execz .LBB25_115
; %bb.114:                              ;   in Loop: Header=BB25_97 Depth=2
	v_add_f32_e64 v0, |v22|, |v22|
	v_mul_f32_e32 v34, 0x3fb8aa3b, v0
	v_rndne_f32_e32 v35, v34
	v_sub_f32_e32 v36, v34, v35
	v_fma_f32 v34, v0, s56, -v34
	v_fmac_f32_e32 v34, 0x32a5705f, v0
	v_add_f32_e32 v34, v36, v34
	v_cvt_i32_f32_e32 v35, v35
	v_exp_f32_e32 v34, v34
	v_cmp_ngt_f32_e32 vcc, s33, v0
	v_ldexp_f32 v34, v34, v35
	s_nop 0
	v_cndmask_b32_e32 v34, 0, v34, vcc
	v_cmp_nlt_f32_e32 vcc, s69, v0
	s_nop 1
	v_cndmask_b32_e32 v0, v213, v34, vcc
	v_add_f32_e32 v0, 1.0, v0
	v_rcp_f32_e32 v0, v0
	s_nop 0
	v_fma_f32 v42, v0, -2.0, 1.0
.LBB25_115:                             ;   in Loop: Header=BB25_97 Depth=2
	s_andn2_saveexec_b64 s[38:39], s[38:39]
; %bb.116:                              ;   in Loop: Header=BB25_97 Depth=2
	v_mul_f32_e32 v0, v22, v22
	v_fmamk_f32 v34, v0, 0xbbbac73d, v217
	v_fmaak_f32 v34, v0, v34, 0xbd5c1c4e
	v_fmaak_f32 v34, v0, v34, 0x3e088382
	;; [unrolled: 1-line block ×3, first 2 shown]
	v_mul_f32_e64 v34, |v22|, v34
	v_fma_f32 v42, v0, v34, |v22|
; %bb.117:                              ;   in Loop: Header=BB25_97 Depth=2
	s_or_b64 exec, exec, s[38:39]
	v_cmp_nlt_f32_e64 s[38:39], |v23|, s71
                                        ; implicit-def: $vgpr43
	s_and_saveexec_b64 s[42:43], s[38:39]
	s_xor_b64 s[38:39], exec, s[42:43]
	s_cbranch_execz .LBB25_119
; %bb.118:                              ;   in Loop: Header=BB25_97 Depth=2
	v_add_f32_e64 v0, |v23|, |v23|
	v_mul_f32_e32 v34, 0x3fb8aa3b, v0
	v_rndne_f32_e32 v35, v34
	v_sub_f32_e32 v36, v34, v35
	v_fma_f32 v34, v0, s56, -v34
	v_fmac_f32_e32 v34, 0x32a5705f, v0
	v_add_f32_e32 v34, v36, v34
	v_cvt_i32_f32_e32 v35, v35
	v_exp_f32_e32 v34, v34
	v_cmp_ngt_f32_e32 vcc, s33, v0
	v_ldexp_f32 v34, v34, v35
	s_nop 0
	v_cndmask_b32_e32 v34, 0, v34, vcc
	v_cmp_nlt_f32_e32 vcc, s69, v0
	s_nop 1
	v_cndmask_b32_e32 v0, v213, v34, vcc
	v_add_f32_e32 v0, 1.0, v0
	v_rcp_f32_e32 v0, v0
	s_nop 0
	v_fma_f32 v43, v0, -2.0, 1.0
.LBB25_119:                             ;   in Loop: Header=BB25_97 Depth=2
	s_andn2_saveexec_b64 s[38:39], s[38:39]
; %bb.120:                              ;   in Loop: Header=BB25_97 Depth=2
	v_mul_f32_e32 v0, v23, v23
	v_fmamk_f32 v34, v0, 0xbbbac73d, v217
	v_fmaak_f32 v34, v0, v34, 0xbd5c1c4e
	v_fmaak_f32 v34, v0, v34, 0x3e088382
	;; [unrolled: 1-line block ×3, first 2 shown]
	v_mul_f32_e64 v34, |v23|, v34
	v_fma_f32 v43, v0, v34, |v23|
; %bb.121:                              ;   in Loop: Header=BB25_97 Depth=2
	s_or_b64 exec, exec, s[38:39]
	v_cmp_nlt_f32_e64 s[38:39], |v24|, s71
                                        ; implicit-def: $vgpr44
	s_and_saveexec_b64 s[42:43], s[38:39]
	s_xor_b64 s[38:39], exec, s[42:43]
	s_cbranch_execz .LBB25_123
; %bb.122:                              ;   in Loop: Header=BB25_97 Depth=2
	v_add_f32_e64 v0, |v24|, |v24|
	v_mul_f32_e32 v34, 0x3fb8aa3b, v0
	v_rndne_f32_e32 v35, v34
	v_sub_f32_e32 v36, v34, v35
	v_fma_f32 v34, v0, s56, -v34
	v_fmac_f32_e32 v34, 0x32a5705f, v0
	v_add_f32_e32 v34, v36, v34
	v_cvt_i32_f32_e32 v35, v35
	v_exp_f32_e32 v34, v34
	v_cmp_ngt_f32_e32 vcc, s33, v0
	v_ldexp_f32 v34, v34, v35
	s_nop 0
	v_cndmask_b32_e32 v34, 0, v34, vcc
	v_cmp_nlt_f32_e32 vcc, s69, v0
	s_nop 1
	v_cndmask_b32_e32 v0, v213, v34, vcc
	v_add_f32_e32 v0, 1.0, v0
	v_rcp_f32_e32 v0, v0
	s_nop 0
	v_fma_f32 v44, v0, -2.0, 1.0
.LBB25_123:                             ;   in Loop: Header=BB25_97 Depth=2
	s_andn2_saveexec_b64 s[38:39], s[38:39]
; %bb.124:                              ;   in Loop: Header=BB25_97 Depth=2
	v_mul_f32_e32 v0, v24, v24
	v_fmamk_f32 v34, v0, 0xbbbac73d, v217
	v_fmaak_f32 v34, v0, v34, 0xbd5c1c4e
	v_fmaak_f32 v34, v0, v34, 0x3e088382
	;; [unrolled: 1-line block ×3, first 2 shown]
	v_mul_f32_e64 v34, |v24|, v34
	v_fma_f32 v44, v0, v34, |v24|
; %bb.125:                              ;   in Loop: Header=BB25_97 Depth=2
	s_or_b64 exec, exec, s[38:39]
	v_cmp_nlt_f32_e64 s[38:39], |v25|, s71
                                        ; implicit-def: $vgpr45
	s_and_saveexec_b64 s[42:43], s[38:39]
	s_xor_b64 s[38:39], exec, s[42:43]
	s_cbranch_execz .LBB25_127
; %bb.126:                              ;   in Loop: Header=BB25_97 Depth=2
	v_add_f32_e64 v0, |v25|, |v25|
	v_mul_f32_e32 v34, 0x3fb8aa3b, v0
	v_rndne_f32_e32 v35, v34
	v_sub_f32_e32 v36, v34, v35
	v_fma_f32 v34, v0, s56, -v34
	v_fmac_f32_e32 v34, 0x32a5705f, v0
	v_add_f32_e32 v34, v36, v34
	v_cvt_i32_f32_e32 v35, v35
	v_exp_f32_e32 v34, v34
	v_cmp_ngt_f32_e32 vcc, s33, v0
	v_ldexp_f32 v34, v34, v35
	s_nop 0
	v_cndmask_b32_e32 v34, 0, v34, vcc
	v_cmp_nlt_f32_e32 vcc, s69, v0
	s_nop 1
	v_cndmask_b32_e32 v0, v213, v34, vcc
	v_add_f32_e32 v0, 1.0, v0
	v_rcp_f32_e32 v0, v0
	s_nop 0
	v_fma_f32 v45, v0, -2.0, 1.0
.LBB25_127:                             ;   in Loop: Header=BB25_97 Depth=2
	s_andn2_saveexec_b64 s[38:39], s[38:39]
; %bb.128:                              ;   in Loop: Header=BB25_97 Depth=2
	v_mul_f32_e32 v0, v25, v25
	v_fmamk_f32 v34, v0, 0xbbbac73d, v217
	v_fmaak_f32 v34, v0, v34, 0xbd5c1c4e
	v_fmaak_f32 v34, v0, v34, 0x3e088382
	;; [unrolled: 1-line block ×3, first 2 shown]
	v_mul_f32_e64 v34, |v25|, v34
	v_fma_f32 v45, v0, v34, |v25|
; %bb.129:                              ;   in Loop: Header=BB25_97 Depth=2
	s_or_b64 exec, exec, s[38:39]
	v_cmp_nlt_f32_e64 s[38:39], |v26|, s71
                                        ; implicit-def: $vgpr38
	s_and_saveexec_b64 s[42:43], s[38:39]
	s_xor_b64 s[38:39], exec, s[42:43]
	s_cbranch_execz .LBB25_131
; %bb.130:                              ;   in Loop: Header=BB25_97 Depth=2
	v_add_f32_e64 v0, |v26|, |v26|
	v_mul_f32_e32 v34, 0x3fb8aa3b, v0
	v_rndne_f32_e32 v35, v34
	v_sub_f32_e32 v36, v34, v35
	v_fma_f32 v34, v0, s56, -v34
	v_fmac_f32_e32 v34, 0x32a5705f, v0
	v_add_f32_e32 v34, v36, v34
	v_cvt_i32_f32_e32 v35, v35
	v_exp_f32_e32 v34, v34
	v_cmp_ngt_f32_e32 vcc, s33, v0
	v_ldexp_f32 v34, v34, v35
	s_nop 0
	v_cndmask_b32_e32 v34, 0, v34, vcc
	v_cmp_nlt_f32_e32 vcc, s69, v0
	s_nop 1
	v_cndmask_b32_e32 v0, v213, v34, vcc
	v_add_f32_e32 v0, 1.0, v0
	v_rcp_f32_e32 v0, v0
	s_nop 0
	v_fma_f32 v38, v0, -2.0, 1.0
.LBB25_131:                             ;   in Loop: Header=BB25_97 Depth=2
	s_andn2_saveexec_b64 s[38:39], s[38:39]
; %bb.132:                              ;   in Loop: Header=BB25_97 Depth=2
	v_mul_f32_e32 v0, v26, v26
	v_fmamk_f32 v34, v0, 0xbbbac73d, v217
	v_fmaak_f32 v34, v0, v34, 0xbd5c1c4e
	v_fmaak_f32 v34, v0, v34, 0x3e088382
	;; [unrolled: 1-line block ×3, first 2 shown]
	v_mul_f32_e64 v34, |v26|, v34
	v_fma_f32 v38, v0, v34, |v26|
; %bb.133:                              ;   in Loop: Header=BB25_97 Depth=2
	s_or_b64 exec, exec, s[38:39]
	v_cmp_nlt_f32_e64 s[38:39], |v27|, s71
                                        ; implicit-def: $vgpr39
	s_and_saveexec_b64 s[42:43], s[38:39]
	s_xor_b64 s[38:39], exec, s[42:43]
	s_cbranch_execz .LBB25_135
; %bb.134:                              ;   in Loop: Header=BB25_97 Depth=2
	v_add_f32_e64 v0, |v27|, |v27|
	v_mul_f32_e32 v34, 0x3fb8aa3b, v0
	v_rndne_f32_e32 v35, v34
	v_sub_f32_e32 v36, v34, v35
	v_fma_f32 v34, v0, s56, -v34
	v_fmac_f32_e32 v34, 0x32a5705f, v0
	v_add_f32_e32 v34, v36, v34
	v_cvt_i32_f32_e32 v35, v35
	v_exp_f32_e32 v34, v34
	v_cmp_ngt_f32_e32 vcc, s33, v0
	v_ldexp_f32 v34, v34, v35
	s_nop 0
	v_cndmask_b32_e32 v34, 0, v34, vcc
	v_cmp_nlt_f32_e32 vcc, s69, v0
	s_nop 1
	v_cndmask_b32_e32 v0, v213, v34, vcc
	v_add_f32_e32 v0, 1.0, v0
	v_rcp_f32_e32 v0, v0
	s_nop 0
	v_fma_f32 v39, v0, -2.0, 1.0
.LBB25_135:                             ;   in Loop: Header=BB25_97 Depth=2
	s_andn2_saveexec_b64 s[38:39], s[38:39]
; %bb.136:                              ;   in Loop: Header=BB25_97 Depth=2
	v_mul_f32_e32 v0, v27, v27
	v_fmamk_f32 v34, v0, 0xbbbac73d, v217
	v_fmaak_f32 v34, v0, v34, 0xbd5c1c4e
	v_fmaak_f32 v34, v0, v34, 0x3e088382
	;; [unrolled: 1-line block ×3, first 2 shown]
	v_mul_f32_e64 v34, |v27|, v34
	v_fma_f32 v39, v0, v34, |v27|
; %bb.137:                              ;   in Loop: Header=BB25_97 Depth=2
	s_or_b64 exec, exec, s[38:39]
	v_cmp_nlt_f32_e64 s[38:39], |v28|, s71
                                        ; implicit-def: $vgpr40
	s_and_saveexec_b64 s[42:43], s[38:39]
	s_xor_b64 s[38:39], exec, s[42:43]
	s_cbranch_execz .LBB25_139
; %bb.138:                              ;   in Loop: Header=BB25_97 Depth=2
	v_add_f32_e64 v0, |v28|, |v28|
	v_mul_f32_e32 v34, 0x3fb8aa3b, v0
	v_rndne_f32_e32 v35, v34
	v_sub_f32_e32 v36, v34, v35
	v_fma_f32 v34, v0, s56, -v34
	v_fmac_f32_e32 v34, 0x32a5705f, v0
	v_add_f32_e32 v34, v36, v34
	v_cvt_i32_f32_e32 v35, v35
	v_exp_f32_e32 v34, v34
	v_cmp_ngt_f32_e32 vcc, s33, v0
	v_ldexp_f32 v34, v34, v35
	s_nop 0
	v_cndmask_b32_e32 v34, 0, v34, vcc
	v_cmp_nlt_f32_e32 vcc, s69, v0
	s_nop 1
	v_cndmask_b32_e32 v0, v213, v34, vcc
	v_add_f32_e32 v0, 1.0, v0
	v_rcp_f32_e32 v0, v0
	s_nop 0
	v_fma_f32 v40, v0, -2.0, 1.0
.LBB25_139:                             ;   in Loop: Header=BB25_97 Depth=2
	s_andn2_saveexec_b64 s[38:39], s[38:39]
; %bb.140:                              ;   in Loop: Header=BB25_97 Depth=2
	v_mul_f32_e32 v0, v28, v28
	v_fmamk_f32 v34, v0, 0xbbbac73d, v217
	v_fmaak_f32 v34, v0, v34, 0xbd5c1c4e
	v_fmaak_f32 v34, v0, v34, 0x3e088382
	;; [unrolled: 1-line block ×3, first 2 shown]
	v_mul_f32_e64 v34, |v28|, v34
	v_fma_f32 v40, v0, v34, |v28|
; %bb.141:                              ;   in Loop: Header=BB25_97 Depth=2
	s_or_b64 exec, exec, s[38:39]
	v_cmp_nlt_f32_e64 s[38:39], |v29|, s71
                                        ; implicit-def: $vgpr41
	s_and_saveexec_b64 s[42:43], s[38:39]
	s_xor_b64 s[38:39], exec, s[42:43]
	s_cbranch_execz .LBB25_143
; %bb.142:                              ;   in Loop: Header=BB25_97 Depth=2
	v_add_f32_e64 v0, |v29|, |v29|
	v_mul_f32_e32 v34, 0x3fb8aa3b, v0
	v_rndne_f32_e32 v35, v34
	v_sub_f32_e32 v36, v34, v35
	v_fma_f32 v34, v0, s56, -v34
	v_fmac_f32_e32 v34, 0x32a5705f, v0
	v_add_f32_e32 v34, v36, v34
	v_cvt_i32_f32_e32 v35, v35
	v_exp_f32_e32 v34, v34
	v_cmp_ngt_f32_e32 vcc, s33, v0
	v_ldexp_f32 v34, v34, v35
	s_nop 0
	v_cndmask_b32_e32 v34, 0, v34, vcc
	v_cmp_nlt_f32_e32 vcc, s69, v0
	s_nop 1
	v_cndmask_b32_e32 v0, v213, v34, vcc
	v_add_f32_e32 v0, 1.0, v0
	v_rcp_f32_e32 v0, v0
	s_nop 0
	v_fma_f32 v41, v0, -2.0, 1.0
.LBB25_143:                             ;   in Loop: Header=BB25_97 Depth=2
	s_andn2_saveexec_b64 s[38:39], s[38:39]
; %bb.144:                              ;   in Loop: Header=BB25_97 Depth=2
	v_mul_f32_e32 v0, v29, v29
	v_fmamk_f32 v34, v0, 0xbbbac73d, v217
	v_fmaak_f32 v34, v0, v34, 0xbd5c1c4e
	v_fmaak_f32 v34, v0, v34, 0x3e088382
	v_fmaak_f32 v34, v0, v34, 0xbeaaaa99
	v_mul_f32_e64 v34, |v29|, v34
	v_fma_f32 v41, v0, v34, |v29|
; %bb.145:                              ;   in Loop: Header=BB25_97 Depth=2
	s_or_b64 exec, exec, s[38:39]
	v_cmp_nlt_f32_e64 s[38:39], |v30|, s71
                                        ; implicit-def: $vgpr34
	s_and_saveexec_b64 s[42:43], s[38:39]
	s_xor_b64 s[38:39], exec, s[42:43]
	s_cbranch_execz .LBB25_147
; %bb.146:                              ;   in Loop: Header=BB25_97 Depth=2
	v_add_f32_e64 v0, |v30|, |v30|
	v_mul_f32_e32 v34, 0x3fb8aa3b, v0
	v_rndne_f32_e32 v35, v34
	v_sub_f32_e32 v36, v34, v35
	v_fma_f32 v34, v0, s56, -v34
	v_fmac_f32_e32 v34, 0x32a5705f, v0
	v_add_f32_e32 v34, v36, v34
	v_cvt_i32_f32_e32 v35, v35
	v_exp_f32_e32 v34, v34
	v_cmp_ngt_f32_e32 vcc, s33, v0
	v_ldexp_f32 v34, v34, v35
	s_nop 0
	v_cndmask_b32_e32 v34, 0, v34, vcc
	v_cmp_nlt_f32_e32 vcc, s69, v0
	s_nop 1
	v_cndmask_b32_e32 v0, v213, v34, vcc
	v_add_f32_e32 v0, 1.0, v0
	v_rcp_f32_e32 v0, v0
	s_nop 0
	v_fma_f32 v34, v0, -2.0, 1.0
.LBB25_147:                             ;   in Loop: Header=BB25_97 Depth=2
	s_andn2_saveexec_b64 s[38:39], s[38:39]
; %bb.148:                              ;   in Loop: Header=BB25_97 Depth=2
	v_mul_f32_e32 v0, v30, v30
	v_fmamk_f32 v34, v0, 0xbbbac73d, v217
	v_fmaak_f32 v34, v0, v34, 0xbd5c1c4e
	v_fmaak_f32 v34, v0, v34, 0x3e088382
	;; [unrolled: 1-line block ×3, first 2 shown]
	v_mul_f32_e64 v34, |v30|, v34
	v_fma_f32 v34, v0, v34, |v30|
; %bb.149:                              ;   in Loop: Header=BB25_97 Depth=2
	s_or_b64 exec, exec, s[38:39]
	v_cmp_nlt_f32_e64 s[38:39], |v31|, s71
                                        ; implicit-def: $vgpr35
	s_and_saveexec_b64 s[42:43], s[38:39]
	s_xor_b64 s[38:39], exec, s[42:43]
	s_cbranch_execz .LBB25_151
; %bb.150:                              ;   in Loop: Header=BB25_97 Depth=2
	v_add_f32_e64 v0, |v31|, |v31|
	v_mul_f32_e32 v35, 0x3fb8aa3b, v0
	v_rndne_f32_e32 v36, v35
	v_sub_f32_e32 v46, v35, v36
	v_fma_f32 v35, v0, s56, -v35
	v_fmac_f32_e32 v35, 0x32a5705f, v0
	v_add_f32_e32 v35, v46, v35
	v_cvt_i32_f32_e32 v36, v36
	v_exp_f32_e32 v35, v35
	v_cmp_ngt_f32_e32 vcc, s33, v0
	v_ldexp_f32 v35, v35, v36
	s_nop 0
	v_cndmask_b32_e32 v35, 0, v35, vcc
	v_cmp_nlt_f32_e32 vcc, s69, v0
	s_nop 1
	v_cndmask_b32_e32 v0, v213, v35, vcc
	v_add_f32_e32 v0, 1.0, v0
	v_rcp_f32_e32 v0, v0
	s_nop 0
	v_fma_f32 v35, v0, -2.0, 1.0
.LBB25_151:                             ;   in Loop: Header=BB25_97 Depth=2
	s_andn2_saveexec_b64 s[38:39], s[38:39]
; %bb.152:                              ;   in Loop: Header=BB25_97 Depth=2
	v_mul_f32_e32 v0, v31, v31
	v_fmamk_f32 v35, v0, 0xbbbac73d, v217
	v_fmaak_f32 v35, v0, v35, 0xbd5c1c4e
	v_fmaak_f32 v35, v0, v35, 0x3e088382
	;; [unrolled: 1-line block ×3, first 2 shown]
	v_mul_f32_e64 v35, |v31|, v35
	v_fma_f32 v35, v0, v35, |v31|
; %bb.153:                              ;   in Loop: Header=BB25_97 Depth=2
	s_or_b64 exec, exec, s[38:39]
	v_cmp_nlt_f32_e64 s[38:39], |v32|, s71
                                        ; implicit-def: $vgpr36
	s_and_saveexec_b64 s[42:43], s[38:39]
	s_xor_b64 s[38:39], exec, s[42:43]
	s_cbranch_execz .LBB25_155
; %bb.154:                              ;   in Loop: Header=BB25_97 Depth=2
	v_add_f32_e64 v0, |v32|, |v32|
	v_mul_f32_e32 v36, 0x3fb8aa3b, v0
	v_rndne_f32_e32 v46, v36
	v_sub_f32_e32 v47, v36, v46
	v_fma_f32 v36, v0, s56, -v36
	v_fmac_f32_e32 v36, 0x32a5705f, v0
	v_add_f32_e32 v36, v47, v36
	v_cvt_i32_f32_e32 v46, v46
	v_exp_f32_e32 v36, v36
	v_cmp_ngt_f32_e32 vcc, s33, v0
	v_ldexp_f32 v36, v36, v46
	s_nop 0
	v_cndmask_b32_e32 v36, 0, v36, vcc
	v_cmp_nlt_f32_e32 vcc, s69, v0
	s_nop 1
	v_cndmask_b32_e32 v0, v213, v36, vcc
	v_add_f32_e32 v0, 1.0, v0
	v_rcp_f32_e32 v0, v0
	s_nop 0
	v_fma_f32 v36, v0, -2.0, 1.0
.LBB25_155:                             ;   in Loop: Header=BB25_97 Depth=2
	s_andn2_saveexec_b64 s[38:39], s[38:39]
; %bb.156:                              ;   in Loop: Header=BB25_97 Depth=2
	v_mul_f32_e32 v0, v32, v32
	v_fmamk_f32 v36, v0, 0xbbbac73d, v217
	v_fmaak_f32 v36, v0, v36, 0xbd5c1c4e
	v_fmaak_f32 v36, v0, v36, 0x3e088382
	;; [unrolled: 1-line block ×3, first 2 shown]
	v_mul_f32_e64 v36, |v32|, v36
	v_fma_f32 v36, v0, v36, |v32|
; %bb.157:                              ;   in Loop: Header=BB25_97 Depth=2
	s_or_b64 exec, exec, s[38:39]
	v_cmp_nlt_f32_e64 s[38:39], |v33|, s71
                                        ; implicit-def: $vgpr81
	s_and_saveexec_b64 s[42:43], s[38:39]
	s_xor_b64 s[38:39], exec, s[42:43]
	s_cbranch_execz .LBB25_159
; %bb.158:                              ;   in Loop: Header=BB25_97 Depth=2
	v_add_f32_e64 v0, |v33|, |v33|
	v_mul_f32_e32 v46, 0x3fb8aa3b, v0
	v_rndne_f32_e32 v47, v46
	v_sub_f32_e32 v81, v46, v47
	v_fma_f32 v46, v0, s56, -v46
	v_fmac_f32_e32 v46, 0x32a5705f, v0
	v_add_f32_e32 v46, v81, v46
	v_cvt_i32_f32_e32 v47, v47
	v_exp_f32_e32 v46, v46
	v_cmp_ngt_f32_e32 vcc, s33, v0
	v_ldexp_f32 v46, v46, v47
	s_nop 0
	v_cndmask_b32_e32 v46, 0, v46, vcc
	v_cmp_nlt_f32_e32 vcc, s69, v0
	s_nop 1
	v_cndmask_b32_e32 v0, v213, v46, vcc
	v_add_f32_e32 v0, 1.0, v0
	v_rcp_f32_e32 v0, v0
	s_nop 0
	v_fma_f32 v81, v0, -2.0, 1.0
.LBB25_159:                             ;   in Loop: Header=BB25_97 Depth=2
	s_andn2_saveexec_b64 s[38:39], s[38:39]
; %bb.160:                              ;   in Loop: Header=BB25_97 Depth=2
	v_mul_f32_e32 v0, v33, v33
	v_fmamk_f32 v46, v0, 0xbbbac73d, v217
	v_fmaak_f32 v46, v0, v46, 0xbd5c1c4e
	v_fmaak_f32 v46, v0, v46, 0x3e088382
	v_fmaak_f32 v46, v0, v46, 0xbeaaaa99
	v_mul_f32_e64 v46, |v33|, v46
	v_fma_f32 v81, v0, v46, |v33|
; %bb.161:                              ;   in Loop: Header=BB25_97 Depth=2
	s_or_b64 exec, exec, s[38:39]
	v_bfi_b32 v0, s70, v34, v30
	v_mul_f32_e32 v34, s53, v0
	v_bfi_b32 v0, s70, v35, v31
	v_mul_f32_e32 v35, s53, v0
	v_bfi_b32 v0, s70, v36, v32
	v_mul_f32_e32 v36, s53, v0
	v_bfi_b32 v0, s70, v38, v26
	v_mul_f32_e32 v38, s53, v0
	v_bfi_b32 v0, s70, v39, v27
	v_mul_f32_e32 v39, s53, v0
	v_bfi_b32 v0, s70, v40, v28
	v_mul_f32_e32 v40, s53, v0
	v_bfi_b32 v0, s70, v41, v29
	v_mul_f32_e32 v41, s53, v0
	v_bfi_b32 v0, s70, v42, v22
	v_mul_f32_e32 v42, s53, v0
	v_bfi_b32 v0, s70, v43, v23
	v_mul_f32_e32 v43, s53, v0
	v_bfi_b32 v0, s70, v44, v24
	v_mul_f32_e32 v44, s53, v0
	v_bfi_b32 v0, s70, v45, v25
	v_mul_f32_e32 v45, s53, v0
	v_bfi_b32 v0, s70, v1, v18
	v_mul_f32_e32 v46, s53, v0
	v_bfi_b32 v0, s70, v37, v19
	v_mul_f32_e32 v47, s53, v0
	v_bfi_b32 v0, s70, v48, v20
	v_mul_f32_e32 v48, s53, v0
	v_bfi_b32 v0, s70, v49, v21
	v_mul_f32_e32 v49, s53, v0
	v_bfi_b32 v0, s70, v81, v33
	v_mul_f32_e32 v37, s53, v0
	s_and_b64 vcc, exec, s[72:73]
	s_cbranch_vccz .LBB25_166
; %bb.162:                              ;   in Loop: Header=BB25_97 Depth=2
	v_add_u32_e32 v0, 0x4400, v184
	ds_read_b32 v18, v181 offset:17408
	v_add_u32_e32 v19, 0x4400, v186
	ds_read_b32 v20, v182 offset:17408
	ds_read2_b32 v[0:1], v0 offset1:1
	ds_read2_b32 v[26:27], v19 offset1:1
	v_mov_b32_e32 v101, v100
	s_waitcnt lgkmcnt(3)
	v_cvt_f32_f16_sdwa v19, v18 dst_sel:DWORD dst_unused:UNUSED_PAD src0_sel:WORD_1
	s_waitcnt lgkmcnt(1)
	v_cvt_f32_f16_e32 v22, v0
	v_cvt_f32_f16_sdwa v23, v0 dst_sel:DWORD dst_unused:UNUSED_PAD src0_sel:WORD_1
	v_add_u32_e32 v0, 0x4400, v188
	v_cvt_f32_f16_e32 v24, v1
	v_cvt_f32_f16_sdwa v25, v1 dst_sel:DWORD dst_unused:UNUSED_PAD src0_sel:WORD_1
	ds_read2_b32 v[0:1], v0 offset1:1
	v_cvt_f32_f16_e32 v18, v18
	v_cvt_f32_f16_sdwa v21, v20 dst_sel:DWORD dst_unused:UNUSED_PAD src0_sel:WORD_1
	v_cvt_f32_f16_e32 v20, v20
	s_waitcnt lgkmcnt(1)
	v_cvt_f32_f16_e32 v30, v26
	v_cvt_f32_f16_sdwa v31, v26 dst_sel:DWORD dst_unused:UNUSED_PAD src0_sel:WORD_1
	v_cvt_f32_f16_e32 v26, v27
	v_cvt_f32_f16_sdwa v27, v27 dst_sel:DWORD dst_unused:UNUSED_PAD src0_sel:WORD_1
	s_waitcnt lgkmcnt(0)
	v_cvt_f32_f16_e32 v224, v0
	v_cvt_f32_f16_e32 v32, v1
	v_cvt_f32_f16_sdwa v33, v1 dst_sel:DWORD dst_unused:UNUSED_PAD src0_sel:WORD_1
	v_cvt_f32_f16_sdwa v225, v0 dst_sel:DWORD dst_unused:UNUSED_PAD src0_sel:WORD_1
	v_pk_fma_f32 v[20:21], v[100:101], v[20:21], v[48:49]
	v_pk_fma_f32 v[18:19], v[150:151], v[18:19], v[46:47]
	v_pk_fma_f32 v[24:25], v[100:101], v[24:25], v[44:45]
	v_pk_fma_f32 v[22:23], v[150:151], v[22:23], v[42:43]
	v_pk_fma_f32 v[28:29], v[100:101], v[26:27], v[40:41]
	v_pk_fma_f32 v[26:27], v[150:151], v[30:31], v[38:39]
	v_pk_fma_f32 v[32:33], v[100:101], v[32:33], v[36:37]
	v_pk_fma_f32 v[30:31], v[150:151], v[224:225], v[34:35]
	s_cbranch_execnz .LBB25_164
.LBB25_163:                             ;   in Loop: Header=BB25_97 Depth=2
	v_mov_b64_e32 v[30:31], v[34:35]
	v_mov_b64_e32 v[26:27], v[38:39]
	;; [unrolled: 1-line block ×8, first 2 shown]
.LBB25_164:                             ;   in Loop: Header=BB25_97 Depth=2
	v_add_f32_e32 v0, 0x40051340, v18
	v_max_f32_e32 v1, v175, v175
	v_max_f32_e32 v0, v1, v0
	v_cndmask_b32_e64 v0, v175, v0, s[12:13]
	v_add_f32_e32 v1, 0x40051340, v19
	v_max_f32_e32 v0, v0, v0
	v_max_f32_e32 v0, v0, v1
	v_cndmask_b32_e64 v0, v175, v0, s[12:13]
	;; [unrolled: 4-line block ×16, first 2 shown]
	ds_bpermute_b32 v1, v83, v0
	v_max_f32_e32 v0, v0, v0
	s_mul_hi_i32 s39, s2, s96
	s_mul_i32 s38, s2, s96
	s_lshl_b64 s[38:39], s[38:39], 2
	s_waitcnt lgkmcnt(0)
	v_max_f32_e32 v1, v1, v1
	v_max_f32_e32 v0, v0, v1
	ds_bpermute_b32 v1, v239, v0
	scratch_store_dwordx4 off, v[228:231], off
	s_add_i32 s50, s50, 1
	s_add_i32 s2, s2, 64
	s_cmp_lt_i32 s50, s40
	s_waitcnt lgkmcnt(0)
	v_max_f32_e32 v1, v1, v1
	v_max_f32_e32 v81, v0, v1
	v_sub_f32_e32 v0, v18, v81
	v_mul_f32_e32 v1, 0x3fb8aa3b, v0
	v_fma_f32 v18, v0, s56, -v1
	v_rndne_f32_e32 v34, v1
	v_fmac_f32_e32 v18, 0x32a5705f, v0
	v_sub_f32_e32 v1, v1, v34
	v_add_f32_e32 v1, v1, v18
	v_exp_f32_e32 v1, v1
	v_cvt_i32_f32_e32 v18, v34
	v_cmp_ngt_f32_e32 vcc, s33, v0
	v_ldexp_f32 v1, v1, v18
	s_nop 0
	v_cndmask_b32_e32 v1, 0, v1, vcc
	v_cmp_nlt_f32_e32 vcc, s69, v0
	s_nop 1
	v_cndmask_b32_e32 v0, v213, v1, vcc
	v_sub_f32_e32 v1, v19, v81
	v_mul_f32_e32 v19, 0x3fb8aa3b, v1
	v_fma_f32 v34, v1, s56, -v19
	v_rndne_f32_e32 v35, v19
	v_fmac_f32_e32 v34, 0x32a5705f, v1
	v_sub_f32_e32 v19, v19, v35
	v_add_f32_e32 v19, v19, v34
	v_exp_f32_e32 v19, v19
	v_cvt_i32_f32_e32 v34, v35
	v_cmp_ngt_f32_e32 vcc, s33, v1
	v_cndmask_b32_e64 v18, 0, v0, s[12:13]
	v_ldexp_f32 v19, v19, v34
	v_cndmask_b32_e32 v19, 0, v19, vcc
	v_cmp_nlt_f32_e32 vcc, s69, v1
	v_mov_b32_e32 v1, s67
	s_nop 0
	v_cndmask_b32_e32 v19, v213, v19, vcc
	v_add_f32_e32 v0, v0, v19
	v_cndmask_b32_e64 v1, v1, v19, s[12:13]
	v_sub_f32_e32 v19, v20, v81
	v_mul_f32_e32 v20, 0x3fb8aa3b, v19
	v_fma_f32 v34, v19, s56, -v20
	v_rndne_f32_e32 v35, v20
	v_fmac_f32_e32 v34, 0x32a5705f, v19
	v_sub_f32_e32 v20, v20, v35
	v_add_f32_e32 v20, v20, v34
	v_exp_f32_e32 v20, v20
	v_cvt_i32_f32_e32 v34, v35
	v_cmp_ngt_f32_e32 vcc, s33, v19
	v_ldexp_f32 v20, v20, v34
	s_nop 0
	v_cndmask_b32_e32 v20, 0, v20, vcc
	v_cmp_nlt_f32_e32 vcc, s69, v19
	s_nop 1
	v_cndmask_b32_e32 v19, v213, v20, vcc
	v_mov_b32_e32 v20, s67
	v_add_f32_e32 v0, v0, v19
	v_cndmask_b32_e64 v20, v20, v19, s[12:13]
	v_sub_f32_e32 v19, v21, v81
	v_mul_f32_e32 v21, 0x3fb8aa3b, v19
	v_fma_f32 v34, v19, s56, -v21
	v_rndne_f32_e32 v35, v21
	v_fmac_f32_e32 v34, 0x32a5705f, v19
	v_sub_f32_e32 v21, v21, v35
	v_add_f32_e32 v21, v21, v34
	v_exp_f32_e32 v21, v21
	v_cvt_i32_f32_e32 v34, v35
	v_cmp_ngt_f32_e32 vcc, s33, v19
	v_ldexp_f32 v21, v21, v34
	s_nop 0
	v_cndmask_b32_e32 v21, 0, v21, vcc
	v_cmp_nlt_f32_e32 vcc, s69, v19
	v_mov_b32_e32 v19, s67
	s_nop 0
	v_cndmask_b32_e32 v21, v213, v21, vcc
	v_cndmask_b32_e64 v46, v19, v21, s[12:13]
	v_sub_f32_e32 v19, v22, v81
	v_add_f32_e32 v0, v0, v21
	v_mul_f32_e32 v21, 0x3fb8aa3b, v19
	v_fma_f32 v22, v19, s56, -v21
	v_rndne_f32_e32 v34, v21
	v_fmac_f32_e32 v22, 0x32a5705f, v19
	v_sub_f32_e32 v21, v21, v34
	v_add_f32_e32 v21, v21, v22
	v_exp_f32_e32 v21, v21
	v_cvt_i32_f32_e32 v22, v34
	v_cmp_ngt_f32_e32 vcc, s33, v19
	v_cndmask_b32_e64 v0, 0, v0, s[12:13]
	v_ldexp_f32 v21, v21, v22
	v_cndmask_b32_e32 v21, 0, v21, vcc
	v_cmp_nlt_f32_e32 vcc, s69, v19
	v_mov_b32_e32 v22, s67
	s_nop 0
	v_cndmask_b32_e32 v19, v213, v21, vcc
	v_add_f32_e32 v21, v19, v0
	v_cndmask_b32_e64 v22, v22, v19, s[14:15]
	v_sub_f32_e32 v19, v23, v81
	v_cndmask_b32_e64 v0, v0, v21, s[14:15]
	v_mul_f32_e32 v21, 0x3fb8aa3b, v19
	v_fma_f32 v23, v19, s56, -v21
	v_rndne_f32_e32 v34, v21
	v_fmac_f32_e32 v23, 0x32a5705f, v19
	v_sub_f32_e32 v21, v21, v34
	v_add_f32_e32 v21, v21, v23
	v_exp_f32_e32 v21, v21
	v_cvt_i32_f32_e32 v23, v34
	v_cmp_ngt_f32_e32 vcc, s33, v19
	v_ldexp_f32 v21, v21, v23
	s_nop 0
	v_cndmask_b32_e32 v21, 0, v21, vcc
	v_cmp_nlt_f32_e32 vcc, s69, v19
	v_mov_b32_e32 v19, s67
	s_nop 0
	v_cndmask_b32_e32 v21, v213, v21, vcc
	v_add_f32_e32 v23, v21, v0
	v_cndmask_b32_e64 v19, v19, v21, s[16:17]
	v_sub_f32_e32 v21, v24, v81
	v_cndmask_b32_e64 v0, v0, v23, s[16:17]
	v_mul_f32_e32 v23, 0x3fb8aa3b, v21
	v_fma_f32 v24, v21, s56, -v23
	v_rndne_f32_e32 v34, v23
	v_fmac_f32_e32 v24, 0x32a5705f, v21
	v_sub_f32_e32 v23, v23, v34
	v_add_f32_e32 v23, v23, v24
	v_exp_f32_e32 v23, v23
	v_cvt_i32_f32_e32 v24, v34
	v_cmp_ngt_f32_e32 vcc, s33, v21
	v_ldexp_f32 v23, v23, v24
	s_nop 0
	v_cndmask_b32_e32 v23, 0, v23, vcc
	v_cmp_nlt_f32_e32 vcc, s69, v21
	v_mov_b32_e32 v24, s67
	s_nop 0
	v_cndmask_b32_e32 v21, v213, v23, vcc
	v_add_f32_e32 v23, v21, v0
	v_cndmask_b32_e64 v24, v24, v21, s[18:19]
	v_sub_f32_e32 v21, v25, v81
	v_cndmask_b32_e64 v0, v0, v23, s[18:19]
	v_mul_f32_e32 v23, 0x3fb8aa3b, v21
	v_fma_f32 v25, v21, s56, -v23
	v_rndne_f32_e32 v34, v23
	v_fmac_f32_e32 v25, 0x32a5705f, v21
	v_sub_f32_e32 v23, v23, v34
	v_add_f32_e32 v23, v23, v25
	v_exp_f32_e32 v23, v23
	v_cvt_i32_f32_e32 v25, v34
	v_cmp_ngt_f32_e32 vcc, s33, v21
	v_lshl_add_u64 v[34:35], v[98:99], 0, s[38:39]
	v_lshl_add_u64 v[38:39], v[68:69], 2, v[34:35]
	v_ldexp_f32 v23, v23, v25
	v_cndmask_b32_e32 v23, 0, v23, vcc
	v_cmp_nlt_f32_e32 vcc, s69, v21
	v_mov_b32_e32 v21, s67
	v_lshl_add_u64 v[36:37], v[66:67], 2, v[34:35]
	v_cndmask_b32_e32 v23, v213, v23, vcc
	v_cndmask_b32_e64 v47, v21, v23, s[20:21]
	v_sub_f32_e32 v21, v26, v81
	v_add_f32_e32 v25, v23, v0
	v_mul_f32_e32 v23, 0x3fb8aa3b, v21
	v_cndmask_b32_e64 v0, v0, v25, s[20:21]
	v_fma_f32 v25, v21, s56, -v23
	v_rndne_f32_e32 v26, v23
	v_fmac_f32_e32 v25, 0x32a5705f, v21
	v_sub_f32_e32 v23, v23, v26
	v_add_f32_e32 v23, v23, v25
	v_exp_f32_e32 v23, v23
	v_cvt_i32_f32_e32 v25, v26
	v_cmp_ngt_f32_e32 vcc, s33, v21
	v_mov_b32_e32 v26, s67
	v_lshl_add_u64 v[38:39], v[38:39], 0, v[52:53]
	v_ldexp_f32 v23, v23, v25
	v_cndmask_b32_e32 v23, 0, v23, vcc
	v_cmp_nlt_f32_e32 vcc, s69, v21
	v_lshl_add_u64 v[36:37], v[36:37], 0, v[52:53]
	v_cndmask_b32_e64 v42, v236, v38, s[6:7]
	v_cndmask_b32_e32 v21, v213, v23, vcc
	v_add_f32_e32 v23, v21, v0
	v_cndmask_b32_e64 v26, v26, v21, s[22:23]
	v_sub_f32_e32 v21, v27, v81
	v_cndmask_b32_e64 v0, v0, v23, s[22:23]
	v_mul_f32_e32 v23, 0x3fb8aa3b, v21
	v_fma_f32 v25, v21, s56, -v23
	v_rndne_f32_e32 v27, v23
	v_fmac_f32_e32 v25, 0x32a5705f, v21
	v_sub_f32_e32 v23, v23, v27
	v_add_f32_e32 v23, v23, v25
	v_exp_f32_e32 v23, v23
	v_cvt_i32_f32_e32 v25, v27
	v_cmp_ngt_f32_e32 vcc, s33, v21
	v_cndmask_b32_e64 v36, v236, v36, s[4:5]
	v_ldexp_f32 v23, v23, v25
	v_cndmask_b32_e32 v23, 0, v23, vcc
	v_cmp_nlt_f32_e32 vcc, s69, v21
	v_mov_b32_e32 v21, s67
	s_nop 0
	v_cndmask_b32_e32 v23, v213, v23, vcc
	v_add_f32_e32 v25, v23, v0
	v_cndmask_b32_e64 v21, v21, v23, s[24:25]
	v_sub_f32_e32 v23, v28, v81
	v_cndmask_b32_e64 v0, v0, v25, s[24:25]
	v_mul_f32_e32 v25, 0x3fb8aa3b, v23
	v_fma_f32 v27, v23, s56, -v25
	v_rndne_f32_e32 v28, v25
	v_fmac_f32_e32 v27, 0x32a5705f, v23
	v_sub_f32_e32 v25, v25, v28
	v_add_f32_e32 v25, v25, v27
	v_exp_f32_e32 v25, v25
	v_cvt_i32_f32_e32 v27, v28
	v_cmp_ngt_f32_e32 vcc, s33, v23
	v_mov_b32_e32 v28, s67
	v_ldexp_f32 v25, v25, v27
	v_cndmask_b32_e32 v25, 0, v25, vcc
	v_cmp_nlt_f32_e32 vcc, s69, v23
	s_nop 1
	v_cndmask_b32_e32 v23, v213, v25, vcc
	v_add_f32_e32 v25, v23, v0
	v_cndmask_b32_e64 v28, v28, v23, s[26:27]
	v_sub_f32_e32 v23, v29, v81
	v_cndmask_b32_e64 v0, v0, v25, s[26:27]
	v_mul_f32_e32 v25, 0x3fb8aa3b, v23
	v_fma_f32 v27, v23, s56, -v25
	v_rndne_f32_e32 v29, v25
	v_fmac_f32_e32 v27, 0x32a5705f, v23
	v_sub_f32_e32 v25, v25, v29
	v_add_f32_e32 v25, v25, v27
	v_exp_f32_e32 v25, v25
	v_cvt_i32_f32_e32 v27, v29
	v_cmp_ngt_f32_e32 vcc, s33, v23
	v_ldexp_f32 v25, v25, v27
	s_nop 0
	v_cndmask_b32_e32 v25, 0, v25, vcc
	v_cmp_nlt_f32_e32 vcc, s69, v23
	v_mov_b32_e32 v23, s67
	s_nop 0
	v_cndmask_b32_e32 v25, v213, v25, vcc
	v_cndmask_b32_e64 v48, v23, v25, s[28:29]
	v_sub_f32_e32 v23, v30, v81
	v_add_f32_e32 v27, v25, v0
	v_mul_f32_e32 v25, 0x3fb8aa3b, v23
	v_cndmask_b32_e64 v0, v0, v27, s[28:29]
	v_fma_f32 v27, v23, s56, -v25
	v_rndne_f32_e32 v29, v25
	v_fmac_f32_e32 v27, 0x32a5705f, v23
	v_sub_f32_e32 v25, v25, v29
	v_add_f32_e32 v25, v25, v27
	v_exp_f32_e32 v25, v25
	v_cvt_i32_f32_e32 v27, v29
	v_cmp_ngt_f32_e32 vcc, s33, v23
	v_mov_b32_e32 v30, s67
	v_ldexp_f32 v25, v25, v27
	v_cndmask_b32_e32 v25, 0, v25, vcc
	v_cmp_nlt_f32_e32 vcc, s69, v23
	s_nop 1
	v_cndmask_b32_e32 v23, v213, v25, vcc
	v_add_f32_e32 v25, v23, v0
	v_cndmask_b32_e64 v30, v30, v23, s[0:1]
	v_sub_f32_e32 v23, v31, v81
	v_cndmask_b32_e64 v0, v0, v25, s[0:1]
	v_mul_f32_e32 v25, 0x3fb8aa3b, v23
	v_fma_f32 v27, v23, s56, -v25
	v_rndne_f32_e32 v29, v25
	v_fmac_f32_e32 v27, 0x32a5705f, v23
	v_sub_f32_e32 v25, v25, v29
	v_add_f32_e32 v25, v25, v27
	v_exp_f32_e32 v25, v25
	v_cvt_i32_f32_e32 v27, v29
	v_cmp_ngt_f32_e32 vcc, s33, v23
	v_ldexp_f32 v25, v25, v27
	s_nop 0
	v_cndmask_b32_e32 v25, 0, v25, vcc
	v_cmp_nlt_f32_e32 vcc, s69, v23
	v_mov_b32_e32 v23, s67
	s_nop 0
	v_cndmask_b32_e32 v25, v213, v25, vcc
	v_add_f32_e32 v27, v25, v0
	v_cndmask_b32_e64 v23, v23, v25, s[30:31]
	v_sub_f32_e32 v25, v32, v81
	v_cndmask_b32_e64 v0, v0, v27, s[30:31]
	v_mul_f32_e32 v27, 0x3fb8aa3b, v25
	v_fma_f32 v29, v25, s56, -v27
	v_rndne_f32_e32 v31, v27
	v_fmac_f32_e32 v29, 0x32a5705f, v25
	v_sub_f32_e32 v27, v27, v31
	v_add_f32_e32 v27, v27, v29
	v_exp_f32_e32 v27, v27
	v_cvt_i32_f32_e32 v29, v31
	v_cmp_ngt_f32_e32 vcc, s33, v25
	v_mov_b32_e32 v32, s67
	v_ldexp_f32 v27, v27, v29
	v_cndmask_b32_e32 v27, 0, v27, vcc
	v_cmp_nlt_f32_e32 vcc, s69, v25
	s_nop 1
	v_cndmask_b32_e32 v25, v213, v27, vcc
	v_add_f32_e32 v27, v25, v0
	v_cndmask_b32_e64 v32, v32, v25, s[34:35]
	v_sub_f32_e32 v25, v33, v81
	v_cndmask_b32_e64 v0, v0, v27, s[34:35]
	v_mul_f32_e32 v27, 0x3fb8aa3b, v25
	v_fma_f32 v29, v25, s56, -v27
	v_rndne_f32_e32 v31, v27
	v_fmac_f32_e32 v29, 0x32a5705f, v25
	v_sub_f32_e32 v27, v27, v31
	v_add_f32_e32 v27, v27, v29
	v_exp_f32_e32 v27, v27
	v_cvt_i32_f32_e32 v29, v31
	v_cmp_ngt_f32_e32 vcc, s33, v25
	v_ldexp_f32 v27, v27, v29
	s_nop 0
	v_cndmask_b32_e32 v27, 0, v27, vcc
	v_cmp_nlt_f32_e32 vcc, s69, v25
	v_mov_b32_e32 v25, s67
	s_nop 0
	v_cndmask_b32_e32 v27, v213, v27, vcc
	v_add_f32_e32 v29, v27, v0
	v_cndmask_b32_e64 v82, v0, v29, s[36:37]
	v_sub_f32_e32 v0, v175, v81
	v_cndmask_b32_e64 v173, v25, v27, s[36:37]
	v_mul_f32_e32 v25, 0x3fb8aa3b, v0
	v_fma_f32 v27, v0, s56, -v25
	v_rndne_f32_e32 v29, v25
	v_fmac_f32_e32 v27, 0x32a5705f, v0
	v_sub_f32_e32 v25, v25, v29
	v_add_f32_e32 v25, v25, v27
	v_exp_f32_e32 v25, v25
	v_cvt_i32_f32_e32 v27, v29
	v_cmp_ngt_f32_e32 vcc, s33, v0
	v_ldexp_f32 v25, v25, v27
	s_nop 0
	v_cndmask_b32_e32 v25, 0, v25, vcc
	v_cmp_nlt_f32_e32 vcc, s69, v0
	s_nop 1
	v_cndmask_b32_e32 v25, v213, v25, vcc
	v_cmp_le_f32_e32 vcc, s97, v0
	s_nop 1
	v_cndmask_b32_e32 v0, 0, v25, vcc
	v_fmac_f32_e32 v82, v174, v0
	v_cvt_f16_f32_e32 v0, v0
	v_mul_u32_u24_e32 v0, 0x10001, v0
	v_pk_mul_f16 v174, v77, v0
	v_pk_mul_f16 v49, v76, v0
	;; [unrolled: 1-line block ×16, first 2 shown]
	v_mov_b32_e32 v0, s57
	v_cndmask_b32_e64 v43, v0, v39, s[6:7]
	v_lshl_add_u64 v[38:39], v[70:71], 2, v[34:35]
	v_lshl_add_u64 v[34:35], v[72:73], 2, v[34:35]
	v_cndmask_b32_e64 v37, v0, v37, s[4:5]
	v_lshl_add_u64 v[38:39], v[38:39], 0, v[52:53]
	v_lshl_add_u64 v[34:35], v[34:35], 0, v[52:53]
	v_cndmask_b32_e64 v41, v0, v39, s[8:9]
	v_cndmask_b32_e64 v40, v236, v38, s[8:9]
	;; [unrolled: 1-line block ×4, first 2 shown]
	flat_load_dwordx4 v[34:37], v[36:37]
	v_cvt_pk_f16_f32 v155, v20, v46
	v_cvt_pk_f16_f32 v154, v18, v1
	;; [unrolled: 1-line block ×6, first 2 shown]
	v_cvt_f32_f16_sdwa v23, v93 dst_sel:DWORD dst_unused:UNUSED_PAD src0_sel:WORD_1
	v_cvt_f32_f16_e32 v88, v44
	v_cvt_f32_f16_sdwa v89, v44 dst_sel:DWORD dst_unused:UNUSED_PAD src0_sel:WORD_1
	s_waitcnt vmcnt(0) lgkmcnt(0)
	ds_write_b128 v178, v[34:37]
	flat_load_dwordx4 v[34:37], v[42:43]
	s_waitcnt vmcnt(0) lgkmcnt(0)
	ds_write_b128 v233, v[34:37]
	flat_load_dwordx4 v[34:37], v[40:41]
	;; [unrolled: 3-line block ×3, first 2 shown]
	s_waitcnt vmcnt(0) lgkmcnt(0)
	ds_write_b128 v238, v[34:37]
	s_waitcnt lgkmcnt(0)
	s_barrier
	ds_read_u16 v0, v189 offset:272
	ds_read_u16 v38, v189 offset:544
	ds_read_u16 v39, v196
	ds_read_u16 v40, v196 offset:32
	v_cvt_f32_f16_e32 v34, v174
	v_cvt_f32_f16_sdwa v35, v174 dst_sel:DWORD dst_unused:UNUSED_PAD src0_sel:WORD_1
	v_cvt_f32_f16_e32 v36, v49
	s_waitcnt lgkmcnt(1)
	v_perm_b32 v39, v39, v38, s54
	ds_read_u16 v38, v189
	ds_read_u16 v41, v189 offset:32
	v_cvt_f32_f16_sdwa v37, v49 dst_sel:DWORD dst_unused:UNUSED_PAD src0_sel:WORD_1
	v_cvt_pk_f16_f32 v49, v28, v48
	v_cvt_pk_f16_f32 v48, v26, v21
	s_waitcnt lgkmcnt(1)
	v_perm_b32 v38, v0, v38, s54
	s_nop 1
	v_mfma_f32_16x16x16_f16 v[34:37], v[38:39], v[154:155], v[34:37]
	ds_read_u16 v38, v189 offset:4352
	ds_read_u16 v39, v189 offset:4624
	;; [unrolled: 1-line block ×4, first 2 shown]
	s_nop 3
	v_cvt_f16_f32_e32 v0, v34
	v_cvt_f16_f32_e32 v1, v35
	;; [unrolled: 1-line block ×4, first 2 shown]
	v_cvt_f32_f16_e32 v34, v0
	v_cvt_f32_f16_e32 v35, v1
	s_waitcnt lgkmcnt(0)
	v_perm_b32 v1, v43, v42, s54
	v_perm_b32 v0, v39, v38, s54
	v_cvt_f32_f16_e32 v36, v18
	v_cvt_f32_f16_e32 v37, v20
	ds_read_u16 v20, v189 offset:8704
	ds_read_u16 v22, v189 offset:8976
	;; [unrolled: 1-line block ×4, first 2 shown]
	v_mfma_f32_16x16x16_f16 v[34:37], v[0:1], v[152:153], v[34:37]
	s_nop 7
	v_cvt_f16_f32_e32 v0, v34
	v_cvt_f16_f32_e32 v1, v35
	;; [unrolled: 1-line block ×4, first 2 shown]
	v_cvt_f32_f16_e32 v34, v0
	v_cvt_f32_f16_e32 v35, v1
	s_waitcnt lgkmcnt(0)
	v_perm_b32 v1, v38, v24, s54
	v_perm_b32 v0, v22, v20, s54
	v_cvt_f32_f16_e32 v36, v18
	v_cvt_f32_f16_e32 v37, v19
	ds_read_u16 v22, v189 offset:13056
	ds_read_u16 v24, v189 offset:13328
	;; [unrolled: 1-line block ×4, first 2 shown]
	v_mfma_f32_16x16x16_f16 v[18:21], v[0:1], v[48:49], v[34:37]
	s_nop 2
	v_cvt_f32_f16_e32 v34, v29
	v_cvt_f32_f16_sdwa v35, v29 dst_sel:DWORD dst_unused:UNUSED_PAD src0_sel:WORD_1
	s_nop 2
	v_cvt_f16_f32_e32 v0, v18
	v_cvt_f16_f32_e32 v1, v19
	;; [unrolled: 1-line block ×4, first 2 shown]
	v_cvt_f32_f16_e32 v18, v0
	v_cvt_f32_f16_e32 v19, v1
	s_waitcnt lgkmcnt(0)
	v_perm_b32 v1, v28, v26, s54
	v_perm_b32 v0, v24, v22, s54
	v_cvt_f32_f16_e32 v20, v20
	v_cvt_f32_f16_e32 v21, v21
	;; [unrolled: 1-line block ×4, first 2 shown]
	v_mfma_f32_16x16x16_f16 v[18:21], v[0:1], v[46:47], v[18:21]
	ds_read_u16 v0, v189 offset:304
	ds_read_u16 v1, v189 offset:576
	v_cvt_f32_f16_sdwa v25, v25 dst_sel:DWORD dst_unused:UNUSED_PAD src0_sel:WORD_1
	ds_read_u16 v26, v189 offset:4384
	ds_read_u16 v28, v189 offset:4656
	;; [unrolled: 1-line block ×4, first 2 shown]
	v_cvt_f32_f16_e32 v36, v27
	s_waitcnt lgkmcnt(5)
	v_perm_b32 v0, v0, v41, s54
	s_waitcnt lgkmcnt(4)
	v_perm_b32 v1, v40, v1, s54
	v_cvt_f32_f16_sdwa v37, v27 dst_sel:DWORD dst_unused:UNUSED_PAD src0_sel:WORD_1
	s_nop 0
	v_mfma_f32_16x16x16_f16 v[22:25], v[0:1], v[154:155], v[22:25]
	s_nop 7
	v_cvt_f16_f32_e32 v0, v22
	v_cvt_f16_f32_e32 v1, v23
	;; [unrolled: 1-line block ×4, first 2 shown]
	v_cvt_f32_f16_e32 v22, v0
	v_cvt_f32_f16_e32 v23, v1
	s_waitcnt lgkmcnt(0)
	v_perm_b32 v1, v32, v30, s54
	v_perm_b32 v0, v28, v26, s54
	v_cvt_f32_f16_e32 v24, v24
	v_cvt_f32_f16_e32 v25, v25
	ds_read_u16 v26, v189 offset:8736
	ds_read_u16 v28, v189 offset:9008
	;; [unrolled: 1-line block ×4, first 2 shown]
	v_mfma_f32_16x16x16_f16 v[22:25], v[0:1], v[152:153], v[22:25]
	s_nop 7
	v_cvt_f16_f32_e32 v0, v22
	v_cvt_f16_f32_e32 v1, v23
	;; [unrolled: 1-line block ×4, first 2 shown]
	v_cvt_f32_f16_e32 v22, v0
	v_cvt_f32_f16_e32 v23, v1
	s_waitcnt lgkmcnt(0)
	v_perm_b32 v1, v32, v30, s54
	v_perm_b32 v0, v28, v26, s54
	v_cvt_f32_f16_e32 v24, v24
	v_cvt_f32_f16_e32 v25, v25
	ds_read_u16 v26, v189 offset:13088
	ds_read_u16 v28, v189 offset:13360
	;; [unrolled: 1-line block ×4, first 2 shown]
	v_mfma_f32_16x16x16_f16 v[22:25], v[0:1], v[48:49], v[22:25]
	s_nop 7
	v_cvt_f16_f32_e32 v0, v22
	v_cvt_f16_f32_e32 v1, v23
	;; [unrolled: 1-line block ×4, first 2 shown]
	v_cvt_f32_f16_e32 v22, v0
	v_cvt_f32_f16_e32 v23, v1
	s_waitcnt lgkmcnt(0)
	v_perm_b32 v1, v32, v30, s54
	v_perm_b32 v0, v28, v26, s54
	v_cvt_f32_f16_e32 v24, v24
	v_cvt_f32_f16_e32 v25, v25
	s_nop 1
	v_mfma_f32_16x16x16_f16 v[22:25], v[0:1], v[46:47], v[22:25]
	ds_read_u16 v0, v189 offset:64
	ds_read_u16 v26, v189 offset:336
	;; [unrolled: 1-line block ×4, first 2 shown]
	s_waitcnt lgkmcnt(2)
	v_perm_b32 v0, v26, v0, s54
	s_nop 1
	v_cvt_pk_f16_f32 v93, v22, v23
	s_waitcnt lgkmcnt(0)
	v_perm_b32 v1, v28, v1, s54
	v_cvt_pk_f16_f32 v92, v24, v25
	s_nop 0
	v_mfma_f32_16x16x16_f16 v[26:29], v[0:1], v[154:155], v[34:37]
	ds_read_u16 v30, v189 offset:4416
	ds_read_u16 v32, v189 offset:4688
	s_nop 0
	ds_read_u16 v34, v189 offset:4960
	ds_read_u16 v35, v196 offset:4416
	s_nop 2
	v_cvt_f16_f32_e32 v0, v26
	v_cvt_f16_f32_e32 v1, v27
	;; [unrolled: 1-line block ×4, first 2 shown]
	v_cvt_f32_f16_e32 v26, v0
	v_cvt_f32_f16_e32 v27, v1
	s_waitcnt lgkmcnt(0)
	v_perm_b32 v1, v35, v34, s54
	v_perm_b32 v0, v32, v30, s54
	v_cvt_f32_f16_e32 v28, v28
	v_cvt_f32_f16_e32 v29, v29
	ds_read_u16 v30, v189 offset:8768
	ds_read_u16 v32, v189 offset:9040
	;; [unrolled: 1-line block ×4, first 2 shown]
	v_mfma_f32_16x16x16_f16 v[26:29], v[0:1], v[152:153], v[26:29]
	s_nop 7
	v_cvt_f16_f32_e32 v0, v26
	v_cvt_f16_f32_e32 v1, v27
	;; [unrolled: 1-line block ×4, first 2 shown]
	v_cvt_f32_f16_e32 v26, v0
	v_cvt_f32_f16_e32 v27, v1
	s_waitcnt lgkmcnt(0)
	v_perm_b32 v1, v35, v34, s54
	v_perm_b32 v0, v32, v30, s54
	v_cvt_f32_f16_e32 v28, v28
	v_cvt_f32_f16_e32 v29, v29
	ds_read_u16 v30, v189 offset:13120
	ds_read_u16 v32, v189 offset:13392
	;; [unrolled: 1-line block ×4, first 2 shown]
	v_mfma_f32_16x16x16_f16 v[26:29], v[0:1], v[48:49], v[26:29]
	s_nop 7
	v_cvt_f16_f32_e32 v0, v26
	v_cvt_f16_f32_e32 v1, v27
	;; [unrolled: 1-line block ×4, first 2 shown]
	v_cvt_f32_f16_e32 v26, v0
	v_cvt_f32_f16_e32 v27, v1
	s_waitcnt lgkmcnt(0)
	v_perm_b32 v1, v35, v34, s54
	v_perm_b32 v0, v32, v30, s54
	v_cvt_f32_f16_e32 v28, v28
	v_cvt_f32_f16_e32 v29, v29
	;; [unrolled: 1-line block ×3, first 2 shown]
	v_cvt_f32_f16_sdwa v33, v33 dst_sel:DWORD dst_unused:UNUSED_PAD src0_sel:WORD_1
	v_mfma_f32_16x16x16_f16 v[26:29], v[0:1], v[46:47], v[26:29]
	ds_read_u16 v0, v189 offset:96
	ds_read_u16 v30, v189 offset:368
	;; [unrolled: 1-line block ×4, first 2 shown]
	v_cvt_f32_f16_e32 v34, v31
	v_cvt_f32_f16_sdwa v35, v31 dst_sel:DWORD dst_unused:UNUSED_PAD src0_sel:WORD_1
	s_waitcnt lgkmcnt(2)
	v_perm_b32 v0, v30, v0, s54
	v_cvt_pk_f16_f32 v91, v26, v27
	s_waitcnt lgkmcnt(0)
	v_perm_b32 v1, v36, v1, s54
	s_nop 1
	v_mfma_f32_16x16x16_f16 v[30:33], v[0:1], v[154:155], v[32:35]
	s_nop 2
	ds_read_u16 v34, v189 offset:4448
	ds_read_u16 v35, v189 offset:4720
	;; [unrolled: 1-line block ×4, first 2 shown]
	s_nop 0
	v_cvt_f16_f32_e32 v0, v30
	v_cvt_f16_f32_e32 v1, v31
	;; [unrolled: 1-line block ×4, first 2 shown]
	v_cvt_f32_f16_e32 v30, v0
	v_cvt_f32_f16_e32 v31, v1
	s_waitcnt lgkmcnt(0)
	v_perm_b32 v1, v37, v36, s54
	v_perm_b32 v0, v35, v34, s54
	v_cvt_f32_f16_e32 v32, v32
	v_cvt_f32_f16_e32 v33, v33
	ds_read_u16 v34, v189 offset:8800
	ds_read_u16 v35, v189 offset:9072
	;; [unrolled: 1-line block ×4, first 2 shown]
	v_mfma_f32_16x16x16_f16 v[30:33], v[0:1], v[152:153], v[30:33]
	s_nop 7
	v_cvt_f16_f32_e32 v0, v30
	v_cvt_f16_f32_e32 v1, v31
	;; [unrolled: 1-line block ×4, first 2 shown]
	v_cvt_f32_f16_e32 v30, v0
	v_cvt_f32_f16_e32 v31, v1
	s_waitcnt lgkmcnt(0)
	v_perm_b32 v1, v37, v36, s54
	v_perm_b32 v0, v35, v34, s54
	v_cvt_f32_f16_e32 v32, v32
	v_cvt_f32_f16_e32 v33, v33
	ds_read_u16 v34, v189 offset:13152
	ds_read_u16 v35, v189 offset:13424
	;; [unrolled: 1-line block ×4, first 2 shown]
	v_mfma_f32_16x16x16_f16 v[30:33], v[0:1], v[48:49], v[30:33]
	s_nop 7
	v_cvt_f16_f32_e32 v0, v30
	v_cvt_f16_f32_e32 v1, v31
	;; [unrolled: 1-line block ×4, first 2 shown]
	v_cvt_f32_f16_e32 v30, v0
	v_cvt_f32_f16_e32 v31, v1
	s_waitcnt lgkmcnt(0)
	v_perm_b32 v1, v37, v36, s54
	v_perm_b32 v0, v35, v34, s54
	v_cvt_f32_f16_e32 v32, v32
	v_cvt_f32_f16_e32 v33, v33
	;; [unrolled: 1-line block ×3, first 2 shown]
	v_cvt_f32_f16_sdwa v35, v87 dst_sel:DWORD dst_unused:UNUSED_PAD src0_sel:WORD_1
	v_mfma_f32_16x16x16_f16 v[30:33], v[0:1], v[46:47], v[30:33]
	ds_read_u16 v0, v189 offset:128
	ds_read_u16 v38, v189 offset:400
	ds_read_u16 v1, v189 offset:672
	ds_read_u16 v39, v196 offset:128
	v_cvt_f32_f16_e32 v36, v86
	v_cvt_f32_f16_sdwa v37, v86 dst_sel:DWORD dst_unused:UNUSED_PAD src0_sel:WORD_1
	s_waitcnt lgkmcnt(2)
	v_perm_b32 v0, v38, v0, s54
	v_cvt_f32_f16_e32 v86, v45
	s_waitcnt lgkmcnt(0)
	v_perm_b32 v1, v39, v1, s54
	ds_read_u16 v38, v189 offset:4480
	ds_read_u16 v39, v189 offset:4752
	;; [unrolled: 1-line block ×4, first 2 shown]
	v_mfma_f32_16x16x16_f16 v[34:37], v[0:1], v[154:155], v[34:37]
	v_cvt_f32_f16_sdwa v87, v45 dst_sel:DWORD dst_unused:UNUSED_PAD src0_sel:WORD_1
	s_nop 6
	v_cvt_f16_f32_e32 v0, v34
	v_cvt_f16_f32_e32 v1, v35
	;; [unrolled: 1-line block ×4, first 2 shown]
	v_cvt_f32_f16_e32 v34, v0
	v_cvt_f32_f16_e32 v35, v1
	s_waitcnt lgkmcnt(0)
	v_perm_b32 v1, v41, v40, s54
	v_perm_b32 v0, v39, v38, s54
	v_cvt_f32_f16_e32 v36, v36
	v_cvt_f32_f16_e32 v37, v37
	ds_read_u16 v38, v189 offset:8832
	ds_read_u16 v39, v189 offset:9104
	;; [unrolled: 1-line block ×4, first 2 shown]
	v_mfma_f32_16x16x16_f16 v[34:37], v[0:1], v[152:153], v[34:37]
	s_nop 7
	v_cvt_f16_f32_e32 v0, v34
	v_cvt_f16_f32_e32 v1, v35
	;; [unrolled: 1-line block ×4, first 2 shown]
	v_cvt_f32_f16_e32 v34, v0
	v_cvt_f32_f16_e32 v35, v1
	s_waitcnt lgkmcnt(0)
	v_perm_b32 v1, v41, v40, s54
	v_perm_b32 v0, v39, v38, s54
	v_cvt_f32_f16_e32 v36, v36
	v_cvt_f32_f16_e32 v37, v37
	ds_read_u16 v38, v189 offset:13184
	ds_read_u16 v39, v189 offset:13456
	;; [unrolled: 1-line block ×4, first 2 shown]
	v_mfma_f32_16x16x16_f16 v[34:37], v[0:1], v[48:49], v[34:37]
	s_nop 7
	v_cvt_f16_f32_e32 v0, v34
	v_cvt_f16_f32_e32 v1, v35
	;; [unrolled: 1-line block ×4, first 2 shown]
	v_cvt_f32_f16_e32 v34, v0
	v_cvt_f32_f16_e32 v35, v1
	s_waitcnt lgkmcnt(0)
	v_perm_b32 v1, v41, v40, s54
	v_perm_b32 v0, v39, v38, s54
	v_cvt_f32_f16_e32 v36, v36
	v_cvt_f32_f16_e32 v37, v37
	;; [unrolled: 1-line block ×3, first 2 shown]
	v_cvt_f32_f16_sdwa v39, v77 dst_sel:DWORD dst_unused:UNUSED_PAD src0_sel:WORD_1
	v_mfma_f32_16x16x16_f16 v[34:37], v[0:1], v[46:47], v[34:37]
	ds_read_u16 v0, v189 offset:160
	ds_read_u16 v42, v189 offset:432
	;; [unrolled: 1-line block ×4, first 2 shown]
	v_cvt_f32_f16_e32 v40, v76
	v_cvt_f32_f16_sdwa v41, v76 dst_sel:DWORD dst_unused:UNUSED_PAD src0_sel:WORD_1
	s_waitcnt lgkmcnt(2)
	v_perm_b32 v0, v42, v0, s54
	s_waitcnt lgkmcnt(0)
	v_perm_b32 v1, v43, v1, s54
	ds_read_u16 v42, v189 offset:4512
	ds_read_u16 v43, v189 offset:4784
	ds_read_u16 v52, v189 offset:5056
	ds_read_u16 v76, v196 offset:4512
	v_mfma_f32_16x16x16_f16 v[38:41], v[0:1], v[154:155], v[38:41]
	s_nop 7
	v_cvt_f16_f32_e32 v0, v38
	v_cvt_f16_f32_e32 v1, v39
	v_cvt_f16_f32_e32 v40, v40
	v_cvt_f16_f32_e32 v41, v41
	v_cvt_f32_f16_e32 v38, v0
	v_cvt_f32_f16_e32 v39, v1
	s_waitcnt lgkmcnt(0)
	v_perm_b32 v1, v76, v52, s54
	v_perm_b32 v0, v43, v42, s54
	v_cvt_f32_f16_e32 v40, v40
	v_cvt_f32_f16_e32 v41, v41
	ds_read_u16 v42, v189 offset:8864
	ds_read_u16 v43, v189 offset:9136
	ds_read_u16 v52, v189 offset:9408
	ds_read_u16 v76, v196 offset:8864
	v_mfma_f32_16x16x16_f16 v[38:41], v[0:1], v[152:153], v[38:41]
	s_nop 7
	v_cvt_f16_f32_e32 v0, v38
	v_cvt_f16_f32_e32 v1, v39
	v_cvt_f16_f32_e32 v40, v40
	v_cvt_f16_f32_e32 v41, v41
	v_cvt_f32_f16_e32 v38, v0
	v_cvt_f32_f16_e32 v39, v1
	s_waitcnt lgkmcnt(0)
	v_perm_b32 v1, v76, v52, s54
	v_perm_b32 v0, v43, v42, s54
	v_cvt_f32_f16_e32 v40, v40
	v_cvt_f32_f16_e32 v41, v41
	;; [unrolled: 17-line block ×3, first 2 shown]
	s_nop 1
	v_mfma_f32_16x16x16_f16 v[38:41], v[0:1], v[46:47], v[38:41]
	ds_read_u16 v0, v189 offset:192
	ds_read_u16 v42, v189 offset:464
	;; [unrolled: 1-line block ×8, first 2 shown]
	s_waitcnt lgkmcnt(6)
	v_perm_b32 v0, v42, v0, s54
	s_waitcnt lgkmcnt(4)
	v_perm_b32 v1, v43, v1, s54
	s_nop 1
	v_mfma_f32_16x16x16_f16 v[42:45], v[0:1], v[154:155], v[86:89]
	s_nop 2
	v_cvt_f32_f16_e32 v86, v101
	v_cvt_f32_f16_sdwa v87, v101 dst_sel:DWORD dst_unused:UNUSED_PAD src0_sel:WORD_1
	v_cvt_f32_f16_e32 v88, v84
	s_nop 1
	v_cvt_f16_f32_e32 v0, v42
	v_cvt_f16_f32_e32 v1, v43
	v_cvt_f16_f32_e32 v44, v44
	v_cvt_f16_f32_e32 v45, v45
	v_cvt_f32_f16_e32 v42, v0
	v_cvt_f32_f16_e32 v43, v1
	s_waitcnt lgkmcnt(0)
	v_perm_b32 v1, v85, v77, s54
	v_perm_b32 v0, v76, v52, s54
	v_cvt_f32_f16_e32 v44, v44
	v_cvt_f32_f16_e32 v45, v45
	ds_read_u16 v52, v189 offset:8896
	ds_read_u16 v76, v189 offset:9168
	;; [unrolled: 1-line block ×4, first 2 shown]
	v_mfma_f32_16x16x16_f16 v[42:45], v[0:1], v[152:153], v[42:45]
	v_cvt_f32_f16_sdwa v89, v84 dst_sel:DWORD dst_unused:UNUSED_PAD src0_sel:WORD_1
	s_nop 6
	v_cvt_f16_f32_e32 v0, v42
	v_cvt_f16_f32_e32 v1, v43
	v_cvt_f16_f32_e32 v44, v44
	v_cvt_f16_f32_e32 v45, v45
	v_cvt_f32_f16_e32 v42, v0
	v_cvt_f32_f16_e32 v43, v1
	s_waitcnt lgkmcnt(0)
	v_perm_b32 v1, v85, v77, s54
	v_perm_b32 v0, v76, v52, s54
	v_cvt_f32_f16_e32 v44, v44
	v_cvt_f32_f16_e32 v45, v45
	ds_read_u16 v52, v189 offset:13248
	ds_read_u16 v76, v189 offset:13520
	;; [unrolled: 1-line block ×4, first 2 shown]
	v_mfma_f32_16x16x16_f16 v[42:45], v[0:1], v[48:49], v[42:45]
	s_nop 7
	v_cvt_f16_f32_e32 v0, v42
	v_cvt_f16_f32_e32 v1, v43
	;; [unrolled: 1-line block ×4, first 2 shown]
	v_cvt_f32_f16_e32 v42, v0
	v_cvt_f32_f16_e32 v43, v1
	s_waitcnt lgkmcnt(0)
	v_perm_b32 v1, v85, v77, s54
	v_perm_b32 v0, v76, v52, s54
	v_cvt_f32_f16_e32 v44, v44
	v_cvt_f32_f16_e32 v45, v45
	s_nop 1
	v_mfma_f32_16x16x16_f16 v[42:45], v[0:1], v[46:47], v[42:45]
	ds_read_u16 v0, v189 offset:224
	ds_read_u16 v52, v189 offset:496
	;; [unrolled: 1-line block ×4, first 2 shown]
	s_waitcnt lgkmcnt(2)
	v_perm_b32 v0, v52, v0, s54
	s_waitcnt lgkmcnt(0)
	v_perm_b32 v1, v76, v1, s54
	s_nop 1
	v_mfma_f32_16x16x16_f16 v[84:87], v[0:1], v[154:155], v[86:89]
	ds_read_u16 v77, v189 offset:4576
	s_nop 1
	ds_read_u16 v88, v189 offset:4848
	ds_read_u16 v89, v189 offset:5120
	;; [unrolled: 1-line block ×3, first 2 shown]
	v_cvt_pk_f16_f32 v155, v38, v39
	v_cvt_pk_f16_f32 v154, v40, v41
	v_cvt_f16_f32_e32 v0, v84
	v_cvt_f16_f32_e32 v1, v85
	;; [unrolled: 1-line block ×4, first 2 shown]
	v_cvt_f32_f16_e32 v84, v0
	v_cvt_f32_f16_e32 v85, v1
	s_waitcnt lgkmcnt(0)
	v_perm_b32 v1, v90, v89, s54
	v_perm_b32 v0, v88, v77, s54
	v_cvt_f32_f16_e32 v86, v52
	v_cvt_f32_f16_e32 v87, v76
	ds_read_u16 v77, v189 offset:8928
	ds_read_u16 v88, v189 offset:9200
	;; [unrolled: 1-line block ×4, first 2 shown]
	v_mfma_f32_16x16x16_f16 v[84:87], v[0:1], v[152:153], v[84:87]
	v_cvt_pk_f16_f32 v153, v42, v43
	v_cvt_pk_f16_f32 v152, v44, v45
	s_nop 5
	v_cvt_f16_f32_e32 v0, v84
	v_cvt_f16_f32_e32 v1, v85
	;; [unrolled: 1-line block ×4, first 2 shown]
	v_cvt_f32_f16_e32 v84, v0
	v_cvt_f32_f16_e32 v85, v1
	s_waitcnt lgkmcnt(0)
	v_perm_b32 v1, v90, v89, s54
	v_perm_b32 v0, v88, v77, s54
	v_cvt_f32_f16_e32 v86, v52
	v_cvt_f32_f16_e32 v87, v76
	v_cvt_pk_f16_f32 v90, v28, v29
	s_nop 0
	v_mfma_f32_16x16x16_f16 v[84:87], v[0:1], v[48:49], v[84:87]
	s_nop 7
	v_cvt_f16_f32_e32 v49, v84
	v_cvt_f16_f32_e32 v52, v85
	ds_read_u16 v1, v189 offset:13280
	ds_read_u16 v48, v189 offset:13552
	;; [unrolled: 1-line block ×4, first 2 shown]
	v_cvt_f16_f32_e32 v76, v86
	v_cvt_f16_f32_e32 v77, v87
	v_cvt_f32_f16_e32 v86, v49
	s_waitcnt lgkmcnt(2)
	v_perm_b32 v48, v48, v1, s54
	s_waitcnt lgkmcnt(0)
	v_perm_b32 v49, v85, v84, s54
	v_cvt_f32_f16_e32 v87, v52
	v_cvt_f32_f16_e32 v88, v76
	;; [unrolled: 1-line block ×3, first 2 shown]
	v_cvt_pk_f16_f32 v77, v18, v19
	v_cvt_pk_f16_f32 v76, v20, v21
	v_mfma_f32_16x16x16_f16 v[46:49], v[48:49], v[46:47], v[86:89]
	s_barrier
	s_nop 1
	v_cvt_pk_f16_f32 v87, v34, v35
	v_cvt_pk_f16_f32 v86, v36, v37
	s_nop 2
	v_cvt_pk_f16_f32 v84, v46, v47
	v_cvt_pk_f16_f32 v85, v48, v49
	v_cvt_pk_f16_f32 v89, v30, v31
	v_cvt_pk_f16_f32 v88, v32, v33
	s_cbranch_scc0 .LBB25_169
; %bb.165:                              ;   in Loop: Header=BB25_97 Depth=2
	v_mov_b32_e32 v174, v82
	v_mov_b32_e32 v175, v81
	s_andn2_b64 vcc, exec, s[72:73]
	s_ashr_i32 s3, s2, 31
	s_cbranch_vccz .LBB25_88
	s_branch .LBB25_97
.LBB25_166:                             ;   in Loop: Header=BB25_97 Depth=2
                                        ; implicit-def: $vgpr18_vgpr19_vgpr20_vgpr21
                                        ; implicit-def: $vgpr22_vgpr23_vgpr24_vgpr25
                                        ; implicit-def: $vgpr26_vgpr27_vgpr28_vgpr29
                                        ; implicit-def: $vgpr30_vgpr31_vgpr32_vgpr33
	s_branch .LBB25_163
.LBB25_167:                             ;   in Loop: Header=BB25_13 Depth=1
	s_mov_b64 s[2:3], 0
                                        ; implicit-def: $vgpr2_vgpr3
                                        ; implicit-def: $vgpr211
	s_cbranch_execnz .LBB25_354
	s_branch .LBB25_685
.LBB25_168:                             ;   in Loop: Header=BB25_13 Depth=1
	v_mov_b32_e32 v81, 0xfeffffff
	v_mov_b32_e32 v82, 0
	;; [unrolled: 1-line block ×18, first 2 shown]
	s_branch .LBB25_170
.LBB25_169:                             ;   in Loop: Header=BB25_13 Depth=1
	v_add_u32_e32 v83, 12, v172
	v_add_u32_e32 v116, 8, v172
	;; [unrolled: 1-line block ×3, first 2 shown]
	v_mov_b32_e32 v118, v223
	v_add_u32_e32 v119, 16, v177
	v_add_u32_e32 v120, 32, v177
	;; [unrolled: 1-line block ×6, first 2 shown]
	v_or_b32_e32 v125, 1, v180
.LBB25_170:                             ;   in Loop: Header=BB25_13 Depth=1
	s_lshl_b32 s50, s50, 6
	v_readlane_b32 s2, v254, 4
	v_cmp_eq_u64_e32 vcc, 0, v[102:103]
	s_sub_i32 s38, s2, s50
	s_ashr_i32 s51, s50, 31
	v_readlane_b32 s3, v254, 5
	s_cbranch_vccnz .LBB25_188
; %bb.171:                              ;   in Loop: Header=BB25_13 Depth=1
	v_cmp_le_i32_e32 vcc, s38, v50
	s_and_saveexec_b64 s[2:3], vcc
	s_xor_b64 s[2:3], exec, s[2:3]
	s_cbranch_execz .LBB25_173
; %bb.172:                              ;   in Loop: Header=BB25_13 Depth=1
	ds_write_b16 v176, v53 offset:17408
	ds_write_b16 v242, v53 offset:17408
.LBB25_173:                             ;   in Loop: Header=BB25_13 Depth=1
	s_or_saveexec_b64 s[2:3], s[2:3]
	s_lshl_b64 s[40:41], s[50:51], 1
	v_lshl_add_u64 v[0:1], v[102:103], 0, s[40:41]
	v_lshlrev_b32_e32 v52, 1, v50
	v_lshl_add_u64 v[18:19], v[0:1], 0, v[52:53]
	v_mov_b32_e32 v1, 0
	v_mov_b32_e32 v20, 0
	s_xor_b64 exec, exec, s[2:3]
	s_cbranch_execz .LBB25_175
; %bb.174:                              ;   in Loop: Header=BB25_13 Depth=1
	v_mul_hi_u32 v0, s58, v214
	v_add_u32_e32 v0, v214, v0
	v_lshrrev_b32_e32 v0, s59, v0
	v_mul_lo_u32 v0, v0, s68
	v_sub_u32_e32 v0, v214, v0
	v_mad_i64_i32 v[0:1], s[40:41], v0, s94, 0
	v_lshl_add_u64 v[0:1], v[0:1], 1, v[18:19]
	global_load_ushort v20, v[0:1], off
	v_mul_hi_u32 v0, s58, v80
	v_add_u32_e32 v0, v80, v0
	v_lshrrev_b32_e32 v0, s59, v0
	v_mul_lo_u32 v0, v0, s68
	v_sub_u32_e32 v0, v80, v0
	v_mad_i64_i32 v[0:1], s[40:41], v0, s94, 0
	v_lshl_add_u64 v[0:1], v[0:1], 1, v[18:19]
	global_load_ushort v0, v[0:1], off
	s_waitcnt vmcnt(1)
	ds_write_b16 v176, v20 offset:17408
	s_waitcnt vmcnt(0)
	ds_write_b16 v242, v0 offset:17408
	v_mul_hi_u32 v0, s58, v212
	v_add_u32_e32 v0, v212, v0
	v_lshrrev_b32_e32 v0, s59, v0
	v_mul_lo_u32 v0, v0, s68
	v_sub_u32_e32 v0, v212, v0
	v_mad_i64_i32 v[0:1], s[40:41], v0, s94, 0
	v_lshl_add_u64 v[0:1], v[0:1], 1, v[18:19]
	global_load_ushort v1, v[0:1], off
	v_mul_hi_u32 v0, s58, v210
	v_add_u32_e32 v0, v210, v0
	v_lshrrev_b32_e32 v0, s59, v0
	v_mul_lo_u32 v0, v0, s68
	v_sub_u32_e32 v0, v210, v0
	v_mad_i64_i32 v[20:21], s[40:41], v0, s94, 0
	v_lshl_add_u64 v[20:21], v[20:21], 1, v[18:19]
	global_load_ushort v20, v[20:21], off
.LBB25_175:                             ;   in Loop: Header=BB25_13 Depth=1
	s_or_b64 exec, exec, s[2:3]
	s_waitcnt vmcnt(1)
	ds_write_b16 v243, v1 offset:17408
	s_waitcnt vmcnt(0)
	ds_write_b16 v244, v20 offset:17408
	s_and_saveexec_b64 s[2:3], vcc
	s_xor_b64 s[2:3], exec, s[2:3]
	s_cbranch_execz .LBB25_177
; %bb.176:                              ;   in Loop: Header=BB25_13 Depth=1
	ds_write_b16 v245, v53 offset:17408
	ds_write_b16 v246, v53 offset:17408
.LBB25_177:                             ;   in Loop: Header=BB25_13 Depth=1
	s_or_saveexec_b64 s[2:3], s[2:3]
	v_mov_b32_e32 v1, 0
	v_mov_b32_e32 v20, 0
	s_xor_b64 exec, exec, s[2:3]
	s_cbranch_execz .LBB25_179
; %bb.178:                              ;   in Loop: Header=BB25_13 Depth=1
	v_mul_hi_u32 v0, s58, v209
	v_add_u32_e32 v0, v209, v0
	v_lshrrev_b32_e32 v0, s59, v0
	v_mul_lo_u32 v0, v0, s68
	v_sub_u32_e32 v0, v209, v0
	v_mad_i64_i32 v[0:1], s[40:41], v0, s94, 0
	v_lshl_add_u64 v[0:1], v[0:1], 1, v[18:19]
	global_load_ushort v20, v[0:1], off
	v_mul_hi_u32 v0, s58, v208
	v_add_u32_e32 v0, v208, v0
	v_lshrrev_b32_e32 v0, s59, v0
	v_mul_lo_u32 v0, v0, s68
	v_sub_u32_e32 v0, v208, v0
	v_mad_i64_i32 v[0:1], s[40:41], v0, s94, 0
	v_lshl_add_u64 v[0:1], v[0:1], 1, v[18:19]
	global_load_ushort v0, v[0:1], off
	s_waitcnt vmcnt(1)
	ds_write_b16 v245, v20 offset:17408
	s_waitcnt vmcnt(0)
	ds_write_b16 v246, v0 offset:17408
	v_mul_hi_u32 v0, s58, v205
	v_add_u32_e32 v0, v205, v0
	v_lshrrev_b32_e32 v0, s59, v0
	v_mul_lo_u32 v0, v0, s68
	v_sub_u32_e32 v0, v205, v0
	v_mad_i64_i32 v[0:1], s[40:41], v0, s94, 0
	v_lshl_add_u64 v[0:1], v[0:1], 1, v[18:19]
	global_load_ushort v1, v[0:1], off
	v_mul_hi_u32 v0, s58, v204
	v_add_u32_e32 v0, v204, v0
	v_lshrrev_b32_e32 v0, s59, v0
	v_mul_lo_u32 v0, v0, s68
	v_sub_u32_e32 v0, v204, v0
	v_mad_i64_i32 v[20:21], s[40:41], v0, s94, 0
	v_lshl_add_u64 v[20:21], v[20:21], 1, v[18:19]
	global_load_ushort v20, v[20:21], off
.LBB25_179:                             ;   in Loop: Header=BB25_13 Depth=1
	s_or_b64 exec, exec, s[2:3]
	s_waitcnt vmcnt(1)
	ds_write_b16 v247, v1 offset:17408
	s_waitcnt vmcnt(0)
	ds_write_b16 v248, v20 offset:17408
	s_and_saveexec_b64 s[2:3], vcc
	s_xor_b64 s[2:3], exec, s[2:3]
	s_cbranch_execz .LBB25_181
; %bb.180:                              ;   in Loop: Header=BB25_13 Depth=1
	ds_write_b16 v249, v53 offset:17408
	ds_write_b16 v250, v53 offset:17408
.LBB25_181:                             ;   in Loop: Header=BB25_13 Depth=1
	s_or_saveexec_b64 s[2:3], s[2:3]
	v_mov_b32_e32 v1, 0
	v_mov_b32_e32 v20, 0
	s_xor_b64 exec, exec, s[2:3]
	s_cbranch_execz .LBB25_183
; %bb.182:                              ;   in Loop: Header=BB25_13 Depth=1
	v_mul_hi_u32 v0, s58, v203
	v_add_u32_e32 v0, v203, v0
	v_lshrrev_b32_e32 v0, s59, v0
	v_mul_lo_u32 v0, v0, s68
	v_sub_u32_e32 v0, v203, v0
	v_mad_i64_i32 v[0:1], s[40:41], v0, s94, 0
	v_lshl_add_u64 v[0:1], v[0:1], 1, v[18:19]
	global_load_ushort v20, v[0:1], off
	v_mul_hi_u32 v0, s58, v159
	v_add_u32_e32 v0, v159, v0
	v_lshrrev_b32_e32 v0, s59, v0
	v_mul_lo_u32 v0, v0, s68
	v_sub_u32_e32 v0, v159, v0
	v_mad_i64_i32 v[0:1], s[40:41], v0, s94, 0
	v_lshl_add_u64 v[0:1], v[0:1], 1, v[18:19]
	global_load_ushort v0, v[0:1], off
	s_waitcnt vmcnt(1)
	ds_write_b16 v249, v20 offset:17408
	s_waitcnt vmcnt(0)
	ds_write_b16 v250, v0 offset:17408
	v_mul_hi_u32 v0, s58, v79
	v_add_u32_e32 v0, v79, v0
	v_lshrrev_b32_e32 v0, s59, v0
	v_mul_lo_u32 v0, v0, s68
	v_sub_u32_e32 v0, v79, v0
	v_mad_i64_i32 v[0:1], s[40:41], v0, s94, 0
	v_lshl_add_u64 v[0:1], v[0:1], 1, v[18:19]
	global_load_ushort v1, v[0:1], off
	v_mul_hi_u32 v0, s58, v78
	v_add_u32_e32 v0, v78, v0
	v_lshrrev_b32_e32 v0, s59, v0
	v_mul_lo_u32 v0, v0, s68
	v_sub_u32_e32 v0, v78, v0
	v_mad_i64_i32 v[20:21], s[40:41], v0, s94, 0
	v_lshl_add_u64 v[20:21], v[20:21], 1, v[18:19]
	global_load_ushort v20, v[20:21], off
.LBB25_183:                             ;   in Loop: Header=BB25_13 Depth=1
	s_or_b64 exec, exec, s[2:3]
	s_waitcnt vmcnt(1)
	ds_write_b16 v251, v1 offset:17408
	s_waitcnt vmcnt(0)
	ds_write_b16 v252, v20 offset:17408
	s_and_saveexec_b64 s[2:3], vcc
	s_xor_b64 s[2:3], exec, s[2:3]
	s_cbranch_execz .LBB25_185
; %bb.184:                              ;   in Loop: Header=BB25_13 Depth=1
	ds_write_b16 v253, v53 offset:17408
	ds_write_b16 v234, v53 offset:17408
                                        ; implicit-def: $vgpr18_vgpr19
.LBB25_185:                             ;   in Loop: Header=BB25_13 Depth=1
	s_or_saveexec_b64 s[2:3], s[2:3]
	v_mov_b32_e32 v1, 0
	v_mov_b32_e32 v20, 0
	s_xor_b64 exec, exec, s[2:3]
	s_cbranch_execz .LBB25_187
; %bb.186:                              ;   in Loop: Header=BB25_13 Depth=1
	v_mul_hi_u32 v0, s58, v158
	v_add_u32_e32 v0, v158, v0
	v_lshrrev_b32_e32 v0, s59, v0
	v_mul_lo_u32 v0, v0, s68
	v_sub_u32_e32 v0, v158, v0
	v_mad_i64_i32 v[0:1], s[40:41], v0, s94, 0
	v_lshl_add_u64 v[0:1], v[0:1], 1, v[18:19]
	global_load_ushort v20, v[0:1], off
	v_mul_hi_u32 v0, s58, v157
	v_add_u32_e32 v0, v157, v0
	v_lshrrev_b32_e32 v0, s59, v0
	v_mul_lo_u32 v0, v0, s68
	v_sub_u32_e32 v0, v157, v0
	v_mad_i64_i32 v[0:1], s[40:41], v0, s94, 0
	v_lshl_add_u64 v[0:1], v[0:1], 1, v[18:19]
	global_load_ushort v0, v[0:1], off
	s_waitcnt vmcnt(1)
	ds_write_b16 v253, v20 offset:17408
	s_waitcnt vmcnt(0)
	ds_write_b16 v234, v0 offset:17408
	v_mul_hi_u32 v0, s58, v51
	v_add_u32_e32 v0, v51, v0
	v_lshrrev_b32_e32 v0, s59, v0
	v_mul_lo_u32 v0, v0, s68
	v_sub_u32_e32 v0, v51, v0
	v_mad_i64_i32 v[0:1], s[40:41], v0, s94, 0
	v_lshl_add_u64 v[0:1], v[0:1], 1, v[18:19]
	global_load_ushort v1, v[0:1], off
	v_mul_hi_u32 v0, s58, v211
	v_add_u32_e32 v0, v211, v0
	v_lshrrev_b32_e32 v0, s59, v0
	v_mul_lo_u32 v0, v0, s68
	v_sub_u32_e32 v0, v211, v0
	v_mad_i64_i32 v[20:21], s[40:41], v0, s94, 0
	v_lshl_add_u64 v[18:19], v[20:21], 1, v[18:19]
	global_load_ushort v20, v[18:19], off
.LBB25_187:                             ;   in Loop: Header=BB25_13 Depth=1
	s_or_b64 exec, exec, s[2:3]
	s_waitcnt vmcnt(1)
	ds_write_b16 v232, v1 offset:17408
	s_waitcnt vmcnt(0)
	ds_write_b16 v235, v20 offset:17408
.LBB25_188:                             ;   in Loop: Header=BB25_13 Depth=1
	s_mul_hi_i32 s3, s50, s98
	s_mul_i32 s2, s50, s98
	s_lshl_b64 s[2:3], s[2:3], 2
	v_lshl_add_u64 v[0:1], v[104:105], 0, s[2:3]
	v_lshlrev_b32_e32 v52, 2, v56
	v_lshl_add_u64 v[20:21], v[60:61], 2, v[0:1]
	v_lshl_add_u64 v[18:19], v[58:59], 2, v[0:1]
	v_mov_b32_e32 v26, s57
	v_cmp_gt_i32_e64 s[74:75], s38, v119
	v_lshl_add_u64 v[20:21], v[20:21], 0, v[52:53]
	v_cmp_gt_i32_e64 s[72:73], s38, v177
	v_lshl_add_u64 v[18:19], v[18:19], 0, v[52:53]
	v_cndmask_b32_e64 v23, v26, v21, s[74:75]
	v_cndmask_b32_e64 v22, v236, v20, s[74:75]
	v_lshl_add_u64 v[20:21], v[62:63], 2, v[0:1]
	v_cndmask_b32_e64 v19, v26, v19, s[72:73]
	v_cndmask_b32_e64 v18, v236, v18, s[72:73]
	v_cmp_gt_i32_e64 s[76:77], s38, v120
	v_lshl_add_u64 v[20:21], v[20:21], 0, v[52:53]
	scratch_store_dwordx4 off, v[228:231], off
	v_cndmask_b32_e64 v25, v26, v21, s[76:77]
	v_cndmask_b32_e64 v24, v236, v20, s[76:77]
	flat_load_dwordx4 v[18:21], v[18:19]
	v_lshl_add_u64 v[0:1], v[64:65], 2, v[0:1]
	v_cmp_gt_i32_e64 s[78:79], s38, v121
	v_lshl_add_u64 v[0:1], v[0:1], 0, v[52:53]
	s_waitcnt vmcnt(0) lgkmcnt(0)
	ds_write_b128 v178, v[18:21]
	flat_load_dwordx4 v[18:21], v[22:23]
	v_cndmask_b32_e64 v1, v26, v1, s[78:79]
	v_cndmask_b32_e64 v0, v236, v0, s[78:79]
	s_waitcnt vmcnt(0) lgkmcnt(0)
	ds_write_b128 v233, v[18:21]
	flat_load_dwordx4 v[18:21], v[24:25]
	s_waitcnt vmcnt(0) lgkmcnt(0)
	ds_write_b128 v227, v[18:21]
	flat_load_dwordx4 v[18:21], v[0:1]
	v_add_u32_e32 v0, 0x1000, v179
                                        ; implicit-def: $vgpr1
	s_waitcnt vmcnt(0) lgkmcnt(0)
	ds_write_b128 v238, v[18:21]
	s_waitcnt lgkmcnt(0)
	s_barrier
	ds_read2_b64 v[18:21], v179 offset1:4
	s_waitcnt lgkmcnt(0)
	v_mfma_f32_16x16x16_f16 v[22:25], v[18:19], v[14:15], 0
	v_mfma_f32_16x16x16_f16 v[18:21], v[20:21], v[16:17], v[22:25]
	s_nop 6
	ds_read2_b64 v[22:25], v179 offset0:8 offset1:12
	s_waitcnt lgkmcnt(0)
	v_mfma_f32_16x16x16_f16 v[18:21], v[22:23], v[10:11], v[18:21]
	v_mfma_f32_16x16x16_f16 v[18:21], v[24:25], v[12:13], v[18:21]
	ds_read2_b64 v[22:25], v179 offset0:16 offset1:20
	s_waitcnt lgkmcnt(0)
	v_mfma_f32_16x16x16_f16 v[18:21], v[22:23], v[6:7], v[18:21]
	v_mfma_f32_16x16x16_f16 v[18:21], v[24:25], v[8:9], v[18:21]
	;; [unrolled: 4-line block ×3, first 2 shown]
	ds_read2_b64 v[22:25], v0 offset0:32 offset1:36
	s_waitcnt lgkmcnt(0)
	v_mfma_f32_16x16x16_f16 v[26:29], v[22:23], v[14:15], 0
	s_nop 4
	v_cmp_nlt_f32_e64 s[2:3], |v18|, s71
	v_mfma_f32_16x16x16_f16 v[22:25], v[24:25], v[16:17], v[26:29]
	s_nop 2
	ds_read2_b64 v[26:29], v0 offset0:40 offset1:44
	s_waitcnt lgkmcnt(0)
	v_mfma_f32_16x16x16_f16 v[22:25], v[26:27], v[10:11], v[22:25]
	v_mfma_f32_16x16x16_f16 v[22:25], v[28:29], v[12:13], v[22:25]
	ds_read2_b64 v[26:29], v0 offset0:48 offset1:52
	s_waitcnt lgkmcnt(0)
	v_mfma_f32_16x16x16_f16 v[22:25], v[26:27], v[6:7], v[22:25]
	v_mfma_f32_16x16x16_f16 v[22:25], v[28:29], v[8:9], v[22:25]
	ds_read2_b64 v[26:29], v0 offset0:56 offset1:60
	v_add_u32_e32 v0, 0x2000, v179
	s_waitcnt lgkmcnt(0)
	v_mfma_f32_16x16x16_f16 v[22:25], v[26:27], v[2:3], v[22:25]
	v_mfma_f32_16x16x16_f16 v[22:25], v[28:29], v[4:5], v[22:25]
	ds_read2_b64 v[26:29], v0 offset0:64 offset1:68
	s_waitcnt lgkmcnt(0)
	v_mfma_f32_16x16x16_f16 v[30:33], v[26:27], v[14:15], 0
	v_mfma_f32_16x16x16_f16 v[26:29], v[28:29], v[16:17], v[30:33]
	s_nop 6
	ds_read2_b64 v[30:33], v0 offset0:72 offset1:76
	s_waitcnt lgkmcnt(0)
	v_mfma_f32_16x16x16_f16 v[26:29], v[30:31], v[10:11], v[26:29]
	v_mfma_f32_16x16x16_f16 v[26:29], v[32:33], v[12:13], v[26:29]
	ds_read2_b64 v[30:33], v0 offset0:80 offset1:84
	s_waitcnt lgkmcnt(0)
	v_mfma_f32_16x16x16_f16 v[26:29], v[30:31], v[6:7], v[26:29]
	v_mfma_f32_16x16x16_f16 v[26:29], v[32:33], v[8:9], v[26:29]
	ds_read2_b64 v[30:33], v0 offset0:88 offset1:92
	v_add_u32_e32 v0, 0x3000, v179
	s_waitcnt lgkmcnt(0)
	v_mfma_f32_16x16x16_f16 v[26:29], v[30:31], v[2:3], v[26:29]
	v_mfma_f32_16x16x16_f16 v[26:29], v[32:33], v[4:5], v[26:29]
	ds_read2_b64 v[30:33], v0 offset0:96 offset1:100
	s_waitcnt lgkmcnt(0)
	v_mfma_f32_16x16x16_f16 v[34:37], v[30:31], v[14:15], 0
	v_mfma_f32_16x16x16_f16 v[14:17], v[32:33], v[16:17], v[34:37]
	ds_read2_b64 v[30:33], v0 offset0:104 offset1:108
	s_waitcnt lgkmcnt(0)
	v_mfma_f32_16x16x16_f16 v[14:17], v[30:31], v[10:11], v[14:17]
	v_mfma_f32_16x16x16_f16 v[10:13], v[32:33], v[12:13], v[14:17]
	s_nop 6
	ds_read2_b64 v[14:17], v0 offset0:112 offset1:116
	s_waitcnt lgkmcnt(0)
	v_mfma_f32_16x16x16_f16 v[10:13], v[14:15], v[6:7], v[10:13]
	v_mfma_f32_16x16x16_f16 v[6:9], v[16:17], v[8:9], v[10:13]
	s_nop 6
	ds_read2_b64 v[10:13], v0 offset0:120 offset1:124
	s_waitcnt lgkmcnt(0)
	v_mfma_f32_16x16x16_f16 v[6:9], v[10:11], v[2:3], v[6:9]
	s_barrier
	v_mfma_f32_16x16x16_f16 v[2:5], v[12:13], v[4:5], v[6:9]
	s_and_saveexec_b64 s[40:41], s[2:3]
	s_xor_b64 s[2:3], exec, s[40:41]
	s_cbranch_execz .LBB25_190
; %bb.189:                              ;   in Loop: Header=BB25_13 Depth=1
	v_add_f32_e64 v0, |v18|, |v18|
	v_mul_f32_e32 v1, 0x3fb8aa3b, v0
	s_nop 0
	v_rndne_f32_e32 v6, v1
	v_sub_f32_e32 v7, v1, v6
	v_fma_f32 v1, v0, s56, -v1
	v_fmac_f32_e32 v1, 0x32a5705f, v0
	v_add_f32_e32 v1, v7, v1
	v_cvt_i32_f32_e32 v6, v6
	v_exp_f32_e32 v1, v1
	v_cmp_ngt_f32_e32 vcc, s33, v0
	v_ldexp_f32 v1, v1, v6
	s_nop 0
	v_cndmask_b32_e32 v1, 0, v1, vcc
	v_cmp_nlt_f32_e32 vcc, s69, v0
	s_nop 1
	v_cndmask_b32_e32 v0, v213, v1, vcc
	v_add_f32_e32 v0, 1.0, v0
	v_rcp_f32_e32 v0, v0
	s_nop 0
	v_fma_f32 v1, v0, -2.0, 1.0
.LBB25_190:                             ;   in Loop: Header=BB25_13 Depth=1
	s_andn2_saveexec_b64 s[2:3], s[2:3]
; %bb.191:                              ;   in Loop: Header=BB25_13 Depth=1
	v_mul_f32_e32 v0, v18, v18
	v_fmamk_f32 v1, v0, 0xbbbac73d, v217
	v_fmaak_f32 v1, v0, v1, 0xbd5c1c4e
	v_fmaak_f32 v1, v0, v1, 0x3e088382
	;; [unrolled: 1-line block ×3, first 2 shown]
	v_mul_f32_e64 v1, |v18|, v1
	v_fma_f32 v1, v0, v1, |v18|
; %bb.192:                              ;   in Loop: Header=BB25_13 Depth=1
	s_or_b64 exec, exec, s[2:3]
	v_cmp_nlt_f32_e64 s[2:3], |v19|, s71
                                        ; implicit-def: $vgpr6
	s_and_saveexec_b64 s[40:41], s[2:3]
	s_xor_b64 s[2:3], exec, s[40:41]
	s_cbranch_execz .LBB25_194
; %bb.193:                              ;   in Loop: Header=BB25_13 Depth=1
	v_add_f32_e64 v0, |v19|, |v19|
	v_mul_f32_e32 v6, 0x3fb8aa3b, v0
	v_rndne_f32_e32 v7, v6
	v_sub_f32_e32 v8, v6, v7
	v_fma_f32 v6, v0, s56, -v6
	v_fmac_f32_e32 v6, 0x32a5705f, v0
	v_add_f32_e32 v6, v8, v6
	v_cvt_i32_f32_e32 v7, v7
	v_exp_f32_e32 v6, v6
	v_cmp_ngt_f32_e32 vcc, s33, v0
	v_ldexp_f32 v6, v6, v7
	s_nop 0
	v_cndmask_b32_e32 v6, 0, v6, vcc
	v_cmp_nlt_f32_e32 vcc, s69, v0
	s_nop 1
	v_cndmask_b32_e32 v0, v213, v6, vcc
	v_add_f32_e32 v0, 1.0, v0
	v_rcp_f32_e32 v0, v0
	s_nop 0
	v_fma_f32 v6, v0, -2.0, 1.0
.LBB25_194:                             ;   in Loop: Header=BB25_13 Depth=1
	s_andn2_saveexec_b64 s[2:3], s[2:3]
; %bb.195:                              ;   in Loop: Header=BB25_13 Depth=1
	v_mul_f32_e32 v0, v19, v19
	v_fmamk_f32 v6, v0, 0xbbbac73d, v217
	v_fmaak_f32 v6, v0, v6, 0xbd5c1c4e
	v_fmaak_f32 v6, v0, v6, 0x3e088382
	;; [unrolled: 1-line block ×3, first 2 shown]
	v_mul_f32_e64 v6, |v19|, v6
	v_fma_f32 v6, v0, v6, |v19|
; %bb.196:                              ;   in Loop: Header=BB25_13 Depth=1
	s_or_b64 exec, exec, s[2:3]
	v_cmp_nlt_f32_e64 s[2:3], |v20|, s71
                                        ; implicit-def: $vgpr7
	s_and_saveexec_b64 s[40:41], s[2:3]
	s_xor_b64 s[2:3], exec, s[40:41]
	s_cbranch_execz .LBB25_198
; %bb.197:                              ;   in Loop: Header=BB25_13 Depth=1
	v_add_f32_e64 v0, |v20|, |v20|
	v_mul_f32_e32 v7, 0x3fb8aa3b, v0
	v_rndne_f32_e32 v8, v7
	v_sub_f32_e32 v9, v7, v8
	v_fma_f32 v7, v0, s56, -v7
	v_fmac_f32_e32 v7, 0x32a5705f, v0
	v_add_f32_e32 v7, v9, v7
	v_cvt_i32_f32_e32 v8, v8
	v_exp_f32_e32 v7, v7
	v_cmp_ngt_f32_e32 vcc, s33, v0
	v_ldexp_f32 v7, v7, v8
	s_nop 0
	v_cndmask_b32_e32 v7, 0, v7, vcc
	v_cmp_nlt_f32_e32 vcc, s69, v0
	s_nop 1
	v_cndmask_b32_e32 v0, v213, v7, vcc
	v_add_f32_e32 v0, 1.0, v0
	v_rcp_f32_e32 v0, v0
	s_nop 0
	v_fma_f32 v7, v0, -2.0, 1.0
.LBB25_198:                             ;   in Loop: Header=BB25_13 Depth=1
	s_andn2_saveexec_b64 s[2:3], s[2:3]
; %bb.199:                              ;   in Loop: Header=BB25_13 Depth=1
	v_mul_f32_e32 v0, v20, v20
	v_fmamk_f32 v7, v0, 0xbbbac73d, v217
	v_fmaak_f32 v7, v0, v7, 0xbd5c1c4e
	v_fmaak_f32 v7, v0, v7, 0x3e088382
	;; [unrolled: 1-line block ×3, first 2 shown]
	v_mul_f32_e64 v7, |v20|, v7
	v_fma_f32 v7, v0, v7, |v20|
; %bb.200:                              ;   in Loop: Header=BB25_13 Depth=1
	s_or_b64 exec, exec, s[2:3]
	v_cmp_nlt_f32_e64 s[2:3], |v21|, s71
                                        ; implicit-def: $vgpr8
	s_and_saveexec_b64 s[40:41], s[2:3]
	s_xor_b64 s[2:3], exec, s[40:41]
	s_cbranch_execz .LBB25_202
; %bb.201:                              ;   in Loop: Header=BB25_13 Depth=1
	v_add_f32_e64 v0, |v21|, |v21|
	v_mul_f32_e32 v8, 0x3fb8aa3b, v0
	v_rndne_f32_e32 v9, v8
	v_sub_f32_e32 v10, v8, v9
	v_fma_f32 v8, v0, s56, -v8
	v_fmac_f32_e32 v8, 0x32a5705f, v0
	v_add_f32_e32 v8, v10, v8
	v_cvt_i32_f32_e32 v9, v9
	v_exp_f32_e32 v8, v8
	v_cmp_ngt_f32_e32 vcc, s33, v0
	v_ldexp_f32 v8, v8, v9
	s_nop 0
	v_cndmask_b32_e32 v8, 0, v8, vcc
	v_cmp_nlt_f32_e32 vcc, s69, v0
	s_nop 1
	v_cndmask_b32_e32 v0, v213, v8, vcc
	v_add_f32_e32 v0, 1.0, v0
	v_rcp_f32_e32 v0, v0
	s_nop 0
	v_fma_f32 v8, v0, -2.0, 1.0
.LBB25_202:                             ;   in Loop: Header=BB25_13 Depth=1
	s_andn2_saveexec_b64 s[2:3], s[2:3]
; %bb.203:                              ;   in Loop: Header=BB25_13 Depth=1
	v_mul_f32_e32 v0, v21, v21
	v_fmamk_f32 v8, v0, 0xbbbac73d, v217
	v_fmaak_f32 v8, v0, v8, 0xbd5c1c4e
	v_fmaak_f32 v8, v0, v8, 0x3e088382
	;; [unrolled: 1-line block ×3, first 2 shown]
	v_mul_f32_e64 v8, |v21|, v8
	v_fma_f32 v8, v0, v8, |v21|
; %bb.204:                              ;   in Loop: Header=BB25_13 Depth=1
	s_or_b64 exec, exec, s[2:3]
	v_cmp_nlt_f32_e64 s[2:3], |v22|, s71
                                        ; implicit-def: $vgpr9
	s_and_saveexec_b64 s[40:41], s[2:3]
	s_xor_b64 s[2:3], exec, s[40:41]
	s_cbranch_execz .LBB25_206
; %bb.205:                              ;   in Loop: Header=BB25_13 Depth=1
	v_add_f32_e64 v0, |v22|, |v22|
	v_mul_f32_e32 v9, 0x3fb8aa3b, v0
	v_rndne_f32_e32 v10, v9
	v_sub_f32_e32 v11, v9, v10
	v_fma_f32 v9, v0, s56, -v9
	v_fmac_f32_e32 v9, 0x32a5705f, v0
	v_add_f32_e32 v9, v11, v9
	v_cvt_i32_f32_e32 v10, v10
	v_exp_f32_e32 v9, v9
	v_cmp_ngt_f32_e32 vcc, s33, v0
	v_ldexp_f32 v9, v9, v10
	s_nop 0
	v_cndmask_b32_e32 v9, 0, v9, vcc
	v_cmp_nlt_f32_e32 vcc, s69, v0
	s_nop 1
	v_cndmask_b32_e32 v0, v213, v9, vcc
	v_add_f32_e32 v0, 1.0, v0
	v_rcp_f32_e32 v0, v0
	s_nop 0
	v_fma_f32 v9, v0, -2.0, 1.0
.LBB25_206:                             ;   in Loop: Header=BB25_13 Depth=1
	s_andn2_saveexec_b64 s[2:3], s[2:3]
; %bb.207:                              ;   in Loop: Header=BB25_13 Depth=1
	v_mul_f32_e32 v0, v22, v22
	v_fmamk_f32 v9, v0, 0xbbbac73d, v217
	v_fmaak_f32 v9, v0, v9, 0xbd5c1c4e
	v_fmaak_f32 v9, v0, v9, 0x3e088382
	;; [unrolled: 1-line block ×3, first 2 shown]
	v_mul_f32_e64 v9, |v22|, v9
	v_fma_f32 v9, v0, v9, |v22|
; %bb.208:                              ;   in Loop: Header=BB25_13 Depth=1
	s_or_b64 exec, exec, s[2:3]
	v_cmp_nlt_f32_e64 s[2:3], |v23|, s71
                                        ; implicit-def: $vgpr10
	s_and_saveexec_b64 s[40:41], s[2:3]
	s_xor_b64 s[2:3], exec, s[40:41]
	s_cbranch_execz .LBB25_210
; %bb.209:                              ;   in Loop: Header=BB25_13 Depth=1
	v_add_f32_e64 v0, |v23|, |v23|
	v_mul_f32_e32 v10, 0x3fb8aa3b, v0
	v_rndne_f32_e32 v11, v10
	v_sub_f32_e32 v12, v10, v11
	v_fma_f32 v10, v0, s56, -v10
	v_fmac_f32_e32 v10, 0x32a5705f, v0
	v_add_f32_e32 v10, v12, v10
	v_cvt_i32_f32_e32 v11, v11
	v_exp_f32_e32 v10, v10
	v_cmp_ngt_f32_e32 vcc, s33, v0
	v_ldexp_f32 v10, v10, v11
	s_nop 0
	v_cndmask_b32_e32 v10, 0, v10, vcc
	v_cmp_nlt_f32_e32 vcc, s69, v0
	s_nop 1
	v_cndmask_b32_e32 v0, v213, v10, vcc
	v_add_f32_e32 v0, 1.0, v0
	v_rcp_f32_e32 v0, v0
	s_nop 0
	v_fma_f32 v10, v0, -2.0, 1.0
.LBB25_210:                             ;   in Loop: Header=BB25_13 Depth=1
	s_andn2_saveexec_b64 s[2:3], s[2:3]
; %bb.211:                              ;   in Loop: Header=BB25_13 Depth=1
	v_mul_f32_e32 v0, v23, v23
	v_fmamk_f32 v10, v0, 0xbbbac73d, v217
	v_fmaak_f32 v10, v0, v10, 0xbd5c1c4e
	v_fmaak_f32 v10, v0, v10, 0x3e088382
	;; [unrolled: 1-line block ×3, first 2 shown]
	v_mul_f32_e64 v10, |v23|, v10
	v_fma_f32 v10, v0, v10, |v23|
; %bb.212:                              ;   in Loop: Header=BB25_13 Depth=1
	s_or_b64 exec, exec, s[2:3]
	v_cmp_nlt_f32_e64 s[2:3], |v24|, s71
                                        ; implicit-def: $vgpr11
	s_and_saveexec_b64 s[40:41], s[2:3]
	s_xor_b64 s[2:3], exec, s[40:41]
	s_cbranch_execz .LBB25_214
; %bb.213:                              ;   in Loop: Header=BB25_13 Depth=1
	v_add_f32_e64 v0, |v24|, |v24|
	v_mul_f32_e32 v11, 0x3fb8aa3b, v0
	v_rndne_f32_e32 v12, v11
	v_sub_f32_e32 v13, v11, v12
	v_fma_f32 v11, v0, s56, -v11
	v_fmac_f32_e32 v11, 0x32a5705f, v0
	v_add_f32_e32 v11, v13, v11
	v_cvt_i32_f32_e32 v12, v12
	v_exp_f32_e32 v11, v11
	v_cmp_ngt_f32_e32 vcc, s33, v0
	v_ldexp_f32 v11, v11, v12
	s_nop 0
	v_cndmask_b32_e32 v11, 0, v11, vcc
	v_cmp_nlt_f32_e32 vcc, s69, v0
	s_nop 1
	v_cndmask_b32_e32 v0, v213, v11, vcc
	v_add_f32_e32 v0, 1.0, v0
	v_rcp_f32_e32 v0, v0
	s_nop 0
	v_fma_f32 v11, v0, -2.0, 1.0
.LBB25_214:                             ;   in Loop: Header=BB25_13 Depth=1
	s_andn2_saveexec_b64 s[2:3], s[2:3]
; %bb.215:                              ;   in Loop: Header=BB25_13 Depth=1
	v_mul_f32_e32 v0, v24, v24
	v_fmamk_f32 v11, v0, 0xbbbac73d, v217
	v_fmaak_f32 v11, v0, v11, 0xbd5c1c4e
	v_fmaak_f32 v11, v0, v11, 0x3e088382
	;; [unrolled: 1-line block ×3, first 2 shown]
	v_mul_f32_e64 v11, |v24|, v11
	v_fma_f32 v11, v0, v11, |v24|
; %bb.216:                              ;   in Loop: Header=BB25_13 Depth=1
	s_or_b64 exec, exec, s[2:3]
	v_cmp_nlt_f32_e64 s[2:3], |v25|, s71
                                        ; implicit-def: $vgpr12
	s_and_saveexec_b64 s[40:41], s[2:3]
	s_xor_b64 s[2:3], exec, s[40:41]
	s_cbranch_execz .LBB25_218
; %bb.217:                              ;   in Loop: Header=BB25_13 Depth=1
	v_add_f32_e64 v0, |v25|, |v25|
	v_mul_f32_e32 v12, 0x3fb8aa3b, v0
	v_rndne_f32_e32 v13, v12
	v_sub_f32_e32 v14, v12, v13
	v_fma_f32 v12, v0, s56, -v12
	v_fmac_f32_e32 v12, 0x32a5705f, v0
	v_add_f32_e32 v12, v14, v12
	v_cvt_i32_f32_e32 v13, v13
	v_exp_f32_e32 v12, v12
	v_cmp_ngt_f32_e32 vcc, s33, v0
	v_ldexp_f32 v12, v12, v13
	s_nop 0
	v_cndmask_b32_e32 v12, 0, v12, vcc
	v_cmp_nlt_f32_e32 vcc, s69, v0
	s_nop 1
	v_cndmask_b32_e32 v0, v213, v12, vcc
	v_add_f32_e32 v0, 1.0, v0
	v_rcp_f32_e32 v0, v0
	s_nop 0
	v_fma_f32 v12, v0, -2.0, 1.0
.LBB25_218:                             ;   in Loop: Header=BB25_13 Depth=1
	s_andn2_saveexec_b64 s[2:3], s[2:3]
; %bb.219:                              ;   in Loop: Header=BB25_13 Depth=1
	v_mul_f32_e32 v0, v25, v25
	v_fmamk_f32 v12, v0, 0xbbbac73d, v217
	v_fmaak_f32 v12, v0, v12, 0xbd5c1c4e
	v_fmaak_f32 v12, v0, v12, 0x3e088382
	;; [unrolled: 1-line block ×3, first 2 shown]
	v_mul_f32_e64 v12, |v25|, v12
	v_fma_f32 v12, v0, v12, |v25|
; %bb.220:                              ;   in Loop: Header=BB25_13 Depth=1
	s_or_b64 exec, exec, s[2:3]
	v_cmp_nlt_f32_e64 s[2:3], |v26|, s71
                                        ; implicit-def: $vgpr13
	s_and_saveexec_b64 s[40:41], s[2:3]
	s_xor_b64 s[2:3], exec, s[40:41]
	s_cbranch_execz .LBB25_222
; %bb.221:                              ;   in Loop: Header=BB25_13 Depth=1
	v_add_f32_e64 v0, |v26|, |v26|
	v_mul_f32_e32 v13, 0x3fb8aa3b, v0
	v_rndne_f32_e32 v14, v13
	v_sub_f32_e32 v15, v13, v14
	v_fma_f32 v13, v0, s56, -v13
	v_fmac_f32_e32 v13, 0x32a5705f, v0
	v_add_f32_e32 v13, v15, v13
	v_cvt_i32_f32_e32 v14, v14
	v_exp_f32_e32 v13, v13
	v_cmp_ngt_f32_e32 vcc, s33, v0
	v_ldexp_f32 v13, v13, v14
	s_nop 0
	v_cndmask_b32_e32 v13, 0, v13, vcc
	v_cmp_nlt_f32_e32 vcc, s69, v0
	s_nop 1
	v_cndmask_b32_e32 v0, v213, v13, vcc
	v_add_f32_e32 v0, 1.0, v0
	v_rcp_f32_e32 v0, v0
	s_nop 0
	v_fma_f32 v13, v0, -2.0, 1.0
.LBB25_222:                             ;   in Loop: Header=BB25_13 Depth=1
	s_andn2_saveexec_b64 s[2:3], s[2:3]
; %bb.223:                              ;   in Loop: Header=BB25_13 Depth=1
	v_mul_f32_e32 v0, v26, v26
	v_fmamk_f32 v13, v0, 0xbbbac73d, v217
	v_fmaak_f32 v13, v0, v13, 0xbd5c1c4e
	v_fmaak_f32 v13, v0, v13, 0x3e088382
	;; [unrolled: 1-line block ×3, first 2 shown]
	v_mul_f32_e64 v13, |v26|, v13
	v_fma_f32 v13, v0, v13, |v26|
; %bb.224:                              ;   in Loop: Header=BB25_13 Depth=1
	s_or_b64 exec, exec, s[2:3]
	v_cmp_nlt_f32_e64 s[2:3], |v27|, s71
                                        ; implicit-def: $vgpr14
	s_and_saveexec_b64 s[40:41], s[2:3]
	s_xor_b64 s[2:3], exec, s[40:41]
	s_cbranch_execz .LBB25_226
; %bb.225:                              ;   in Loop: Header=BB25_13 Depth=1
	v_add_f32_e64 v0, |v27|, |v27|
	v_mul_f32_e32 v14, 0x3fb8aa3b, v0
	v_rndne_f32_e32 v15, v14
	v_sub_f32_e32 v16, v14, v15
	v_fma_f32 v14, v0, s56, -v14
	v_fmac_f32_e32 v14, 0x32a5705f, v0
	v_add_f32_e32 v14, v16, v14
	v_cvt_i32_f32_e32 v15, v15
	v_exp_f32_e32 v14, v14
	v_cmp_ngt_f32_e32 vcc, s33, v0
	v_ldexp_f32 v14, v14, v15
	s_nop 0
	v_cndmask_b32_e32 v14, 0, v14, vcc
	v_cmp_nlt_f32_e32 vcc, s69, v0
	s_nop 1
	v_cndmask_b32_e32 v0, v213, v14, vcc
	v_add_f32_e32 v0, 1.0, v0
	v_rcp_f32_e32 v0, v0
	s_nop 0
	v_fma_f32 v14, v0, -2.0, 1.0
.LBB25_226:                             ;   in Loop: Header=BB25_13 Depth=1
	s_andn2_saveexec_b64 s[2:3], s[2:3]
; %bb.227:                              ;   in Loop: Header=BB25_13 Depth=1
	v_mul_f32_e32 v0, v27, v27
	v_fmamk_f32 v14, v0, 0xbbbac73d, v217
	v_fmaak_f32 v14, v0, v14, 0xbd5c1c4e
	v_fmaak_f32 v14, v0, v14, 0x3e088382
	;; [unrolled: 1-line block ×3, first 2 shown]
	v_mul_f32_e64 v14, |v27|, v14
	v_fma_f32 v14, v0, v14, |v27|
; %bb.228:                              ;   in Loop: Header=BB25_13 Depth=1
	s_or_b64 exec, exec, s[2:3]
	v_cmp_nlt_f32_e64 s[2:3], |v28|, s71
                                        ; implicit-def: $vgpr15
	s_and_saveexec_b64 s[40:41], s[2:3]
	s_xor_b64 s[2:3], exec, s[40:41]
	s_cbranch_execz .LBB25_230
; %bb.229:                              ;   in Loop: Header=BB25_13 Depth=1
	v_add_f32_e64 v0, |v28|, |v28|
	v_mul_f32_e32 v15, 0x3fb8aa3b, v0
	v_rndne_f32_e32 v16, v15
	v_sub_f32_e32 v17, v15, v16
	v_fma_f32 v15, v0, s56, -v15
	v_fmac_f32_e32 v15, 0x32a5705f, v0
	v_add_f32_e32 v15, v17, v15
	v_cvt_i32_f32_e32 v16, v16
	v_exp_f32_e32 v15, v15
	v_cmp_ngt_f32_e32 vcc, s33, v0
	v_ldexp_f32 v15, v15, v16
	s_nop 0
	v_cndmask_b32_e32 v15, 0, v15, vcc
	v_cmp_nlt_f32_e32 vcc, s69, v0
	s_nop 1
	v_cndmask_b32_e32 v0, v213, v15, vcc
	v_add_f32_e32 v0, 1.0, v0
	v_rcp_f32_e32 v0, v0
	s_nop 0
	v_fma_f32 v15, v0, -2.0, 1.0
.LBB25_230:                             ;   in Loop: Header=BB25_13 Depth=1
	s_andn2_saveexec_b64 s[2:3], s[2:3]
; %bb.231:                              ;   in Loop: Header=BB25_13 Depth=1
	v_mul_f32_e32 v0, v28, v28
	v_fmamk_f32 v15, v0, 0xbbbac73d, v217
	v_fmaak_f32 v15, v0, v15, 0xbd5c1c4e
	v_fmaak_f32 v15, v0, v15, 0x3e088382
	;; [unrolled: 1-line block ×3, first 2 shown]
	v_mul_f32_e64 v15, |v28|, v15
	v_fma_f32 v15, v0, v15, |v28|
; %bb.232:                              ;   in Loop: Header=BB25_13 Depth=1
	s_or_b64 exec, exec, s[2:3]
	v_cmp_nlt_f32_e64 s[2:3], |v29|, s71
                                        ; implicit-def: $vgpr16
	s_and_saveexec_b64 s[40:41], s[2:3]
	s_xor_b64 s[2:3], exec, s[40:41]
	s_cbranch_execz .LBB25_234
; %bb.233:                              ;   in Loop: Header=BB25_13 Depth=1
	v_add_f32_e64 v0, |v29|, |v29|
	v_mul_f32_e32 v16, 0x3fb8aa3b, v0
	v_rndne_f32_e32 v17, v16
	v_sub_f32_e32 v30, v16, v17
	v_fma_f32 v16, v0, s56, -v16
	v_fmac_f32_e32 v16, 0x32a5705f, v0
	v_add_f32_e32 v16, v30, v16
	v_cvt_i32_f32_e32 v17, v17
	v_exp_f32_e32 v16, v16
	v_cmp_ngt_f32_e32 vcc, s33, v0
	v_ldexp_f32 v16, v16, v17
	s_nop 0
	v_cndmask_b32_e32 v16, 0, v16, vcc
	v_cmp_nlt_f32_e32 vcc, s69, v0
	s_nop 1
	v_cndmask_b32_e32 v0, v213, v16, vcc
	v_add_f32_e32 v0, 1.0, v0
	v_rcp_f32_e32 v0, v0
	s_nop 0
	v_fma_f32 v16, v0, -2.0, 1.0
.LBB25_234:                             ;   in Loop: Header=BB25_13 Depth=1
	s_andn2_saveexec_b64 s[2:3], s[2:3]
; %bb.235:                              ;   in Loop: Header=BB25_13 Depth=1
	v_mul_f32_e32 v0, v29, v29
	v_fmamk_f32 v16, v0, 0xbbbac73d, v217
	v_fmaak_f32 v16, v0, v16, 0xbd5c1c4e
	v_fmaak_f32 v16, v0, v16, 0x3e088382
	;; [unrolled: 1-line block ×3, first 2 shown]
	v_mul_f32_e64 v16, |v29|, v16
	v_fma_f32 v16, v0, v16, |v29|
; %bb.236:                              ;   in Loop: Header=BB25_13 Depth=1
	s_or_b64 exec, exec, s[2:3]
	v_cmp_nlt_f32_e64 s[2:3], |v2|, s71
                                        ; implicit-def: $vgpr17
	s_and_saveexec_b64 s[40:41], s[2:3]
	s_xor_b64 s[2:3], exec, s[40:41]
	s_cbranch_execz .LBB25_238
; %bb.237:                              ;   in Loop: Header=BB25_13 Depth=1
	v_add_f32_e64 v0, |v2|, |v2|
	v_mul_f32_e32 v17, 0x3fb8aa3b, v0
	v_rndne_f32_e32 v30, v17
	v_sub_f32_e32 v31, v17, v30
	v_fma_f32 v17, v0, s56, -v17
	v_fmac_f32_e32 v17, 0x32a5705f, v0
	v_add_f32_e32 v17, v31, v17
	v_cvt_i32_f32_e32 v30, v30
	v_exp_f32_e32 v17, v17
	v_cmp_ngt_f32_e32 vcc, s33, v0
	v_ldexp_f32 v17, v17, v30
	s_nop 0
	v_cndmask_b32_e32 v17, 0, v17, vcc
	v_cmp_nlt_f32_e32 vcc, s69, v0
	s_nop 1
	v_cndmask_b32_e32 v0, v213, v17, vcc
	v_add_f32_e32 v0, 1.0, v0
	v_rcp_f32_e32 v0, v0
	s_nop 0
	v_fma_f32 v17, v0, -2.0, 1.0
.LBB25_238:                             ;   in Loop: Header=BB25_13 Depth=1
	s_andn2_saveexec_b64 s[2:3], s[2:3]
; %bb.239:                              ;   in Loop: Header=BB25_13 Depth=1
	v_mul_f32_e32 v0, v2, v2
	v_fmamk_f32 v17, v0, 0xbbbac73d, v217
	v_fmaak_f32 v17, v0, v17, 0xbd5c1c4e
	v_fmaak_f32 v17, v0, v17, 0x3e088382
	;; [unrolled: 1-line block ×3, first 2 shown]
	v_mul_f32_e64 v17, |v2|, v17
	v_fma_f32 v17, v0, v17, |v2|
; %bb.240:                              ;   in Loop: Header=BB25_13 Depth=1
	s_or_b64 exec, exec, s[2:3]
	v_cmp_nlt_f32_e64 s[2:3], |v3|, s71
                                        ; implicit-def: $vgpr31
	s_and_saveexec_b64 s[40:41], s[2:3]
	s_xor_b64 s[2:3], exec, s[40:41]
	s_cbranch_execz .LBB25_242
; %bb.241:                              ;   in Loop: Header=BB25_13 Depth=1
	v_add_f32_e64 v0, |v3|, |v3|
	v_mul_f32_e32 v30, 0x3fb8aa3b, v0
	v_rndne_f32_e32 v31, v30
	v_sub_f32_e32 v32, v30, v31
	v_fma_f32 v30, v0, s56, -v30
	v_fmac_f32_e32 v30, 0x32a5705f, v0
	v_add_f32_e32 v30, v32, v30
	v_cvt_i32_f32_e32 v31, v31
	v_exp_f32_e32 v30, v30
	v_cmp_ngt_f32_e32 vcc, s33, v0
	v_ldexp_f32 v30, v30, v31
	s_nop 0
	v_cndmask_b32_e32 v30, 0, v30, vcc
	v_cmp_nlt_f32_e32 vcc, s69, v0
	s_nop 1
	v_cndmask_b32_e32 v0, v213, v30, vcc
	v_add_f32_e32 v0, 1.0, v0
	v_rcp_f32_e32 v0, v0
	s_nop 0
	v_fma_f32 v31, v0, -2.0, 1.0
.LBB25_242:                             ;   in Loop: Header=BB25_13 Depth=1
	s_andn2_saveexec_b64 s[2:3], s[2:3]
; %bb.243:                              ;   in Loop: Header=BB25_13 Depth=1
	v_mul_f32_e32 v0, v3, v3
	v_fmamk_f32 v30, v0, 0xbbbac73d, v217
	v_fmaak_f32 v30, v0, v30, 0xbd5c1c4e
	v_fmaak_f32 v30, v0, v30, 0x3e088382
	;; [unrolled: 1-line block ×3, first 2 shown]
	v_mul_f32_e64 v30, |v3|, v30
	v_fma_f32 v31, v0, v30, |v3|
; %bb.244:                              ;   in Loop: Header=BB25_13 Depth=1
	s_or_b64 exec, exec, s[2:3]
	v_cmp_nlt_f32_e64 s[2:3], |v4|, s71
                                        ; implicit-def: $vgpr32
	s_and_saveexec_b64 s[40:41], s[2:3]
	s_xor_b64 s[2:3], exec, s[40:41]
	s_cbranch_execz .LBB25_246
; %bb.245:                              ;   in Loop: Header=BB25_13 Depth=1
	v_add_f32_e64 v0, |v4|, |v4|
	v_mul_f32_e32 v30, 0x3fb8aa3b, v0
	v_rndne_f32_e32 v32, v30
	v_sub_f32_e32 v33, v30, v32
	v_fma_f32 v30, v0, s56, -v30
	v_fmac_f32_e32 v30, 0x32a5705f, v0
	v_add_f32_e32 v30, v33, v30
	v_cvt_i32_f32_e32 v32, v32
	v_exp_f32_e32 v30, v30
	v_cmp_ngt_f32_e32 vcc, s33, v0
	v_ldexp_f32 v30, v30, v32
	s_nop 0
	v_cndmask_b32_e32 v30, 0, v30, vcc
	v_cmp_nlt_f32_e32 vcc, s69, v0
	s_nop 1
	v_cndmask_b32_e32 v0, v213, v30, vcc
	v_add_f32_e32 v0, 1.0, v0
	v_rcp_f32_e32 v0, v0
	s_nop 0
	v_fma_f32 v32, v0, -2.0, 1.0
.LBB25_246:                             ;   in Loop: Header=BB25_13 Depth=1
	s_andn2_saveexec_b64 s[2:3], s[2:3]
; %bb.247:                              ;   in Loop: Header=BB25_13 Depth=1
	v_mul_f32_e32 v0, v4, v4
	v_fmamk_f32 v30, v0, 0xbbbac73d, v217
	v_fmaak_f32 v30, v0, v30, 0xbd5c1c4e
	v_fmaak_f32 v30, v0, v30, 0x3e088382
	;; [unrolled: 1-line block ×3, first 2 shown]
	v_mul_f32_e64 v30, |v4|, v30
	v_fma_f32 v32, v0, v30, |v4|
; %bb.248:                              ;   in Loop: Header=BB25_13 Depth=1
	s_or_b64 exec, exec, s[2:3]
	v_cmp_nlt_f32_e64 s[2:3], |v5|, s71
                                        ; implicit-def: $vgpr33
	s_and_saveexec_b64 s[40:41], s[2:3]
	s_xor_b64 s[2:3], exec, s[40:41]
	s_cbranch_execz .LBB25_250
; %bb.249:                              ;   in Loop: Header=BB25_13 Depth=1
	v_add_f32_e64 v0, |v5|, |v5|
	v_mul_f32_e32 v30, 0x3fb8aa3b, v0
	v_rndne_f32_e32 v33, v30
	v_sub_f32_e32 v34, v30, v33
	v_fma_f32 v30, v0, s56, -v30
	v_fmac_f32_e32 v30, 0x32a5705f, v0
	v_add_f32_e32 v30, v34, v30
	v_cvt_i32_f32_e32 v33, v33
	v_exp_f32_e32 v30, v30
	v_cmp_ngt_f32_e32 vcc, s33, v0
	v_ldexp_f32 v30, v30, v33
	s_nop 0
	v_cndmask_b32_e32 v30, 0, v30, vcc
	v_cmp_nlt_f32_e32 vcc, s69, v0
	s_nop 1
	v_cndmask_b32_e32 v0, v213, v30, vcc
	v_add_f32_e32 v0, 1.0, v0
	v_rcp_f32_e32 v0, v0
	s_nop 0
	v_fma_f32 v33, v0, -2.0, 1.0
.LBB25_250:                             ;   in Loop: Header=BB25_13 Depth=1
	s_andn2_saveexec_b64 s[2:3], s[2:3]
; %bb.251:                              ;   in Loop: Header=BB25_13 Depth=1
	v_mul_f32_e32 v0, v5, v5
	v_fmamk_f32 v30, v0, 0xbbbac73d, v217
	v_fmaak_f32 v30, v0, v30, 0xbd5c1c4e
	v_fmaak_f32 v30, v0, v30, 0x3e088382
	;; [unrolled: 1-line block ×3, first 2 shown]
	v_mul_f32_e64 v30, |v5|, v30
	v_fma_f32 v33, v0, v30, |v5|
; %bb.252:                              ;   in Loop: Header=BB25_13 Depth=1
	s_or_b64 exec, exec, s[2:3]
	v_bfi_b32 v0, s70, v17, v2
	v_mul_f32_e32 v30, s53, v0
	v_bfi_b32 v0, s70, v31, v3
	v_mul_f32_e32 v31, s53, v0
	;; [unrolled: 2-line block ×14, first 2 shown]
	v_bfi_b32 v0, s70, v8, v21
	v_cmp_ne_u64_e32 vcc, 0, v[102:103]
	v_mul_f32_e32 v21, s53, v0
	v_bfi_b32 v0, s70, v33, v5
	v_mul_f32_e32 v33, s53, v0
	s_cbranch_vccz .LBB25_257
; %bb.253:                              ;   in Loop: Header=BB25_13 Depth=1
	v_add_u32_e32 v0, 0x4400, v184
	ds_read_b32 v2, v181 offset:17408
	v_add_u32_e32 v3, 0x4400, v186
	ds_read_b32 v4, v182 offset:17408
	ds_read2_b32 v[0:1], v0 offset1:1
	ds_read2_b32 v[10:11], v3 offset1:1
	s_waitcnt lgkmcnt(3)
	v_cvt_f32_f16_sdwa v3, v2 dst_sel:DWORD dst_unused:UNUSED_PAD src0_sel:WORD_1
	s_waitcnt lgkmcnt(1)
	v_cvt_f32_f16_e32 v6, v0
	v_cvt_f32_f16_sdwa v7, v0 dst_sel:DWORD dst_unused:UNUSED_PAD src0_sel:WORD_1
	v_add_u32_e32 v0, 0x4400, v188
	v_cvt_f32_f16_e32 v8, v1
	v_cvt_f32_f16_sdwa v9, v1 dst_sel:DWORD dst_unused:UNUSED_PAD src0_sel:WORD_1
	ds_read2_b32 v[0:1], v0 offset1:1
	v_cvt_f32_f16_e32 v2, v2
	v_cvt_f32_f16_sdwa v5, v4 dst_sel:DWORD dst_unused:UNUSED_PAD src0_sel:WORD_1
	v_cvt_f32_f16_e32 v4, v4
	s_waitcnt lgkmcnt(1)
	v_cvt_f32_f16_e32 v14, v10
	v_cvt_f32_f16_sdwa v15, v10 dst_sel:DWORD dst_unused:UNUSED_PAD src0_sel:WORD_1
	v_cvt_f32_f16_e32 v10, v11
	v_cvt_f32_f16_sdwa v11, v11 dst_sel:DWORD dst_unused:UNUSED_PAD src0_sel:WORD_1
	s_waitcnt lgkmcnt(0)
	v_cvt_f32_f16_e32 v34, v0
	v_cvt_f32_f16_e32 v16, v1
	v_cvt_f32_f16_sdwa v17, v1 dst_sel:DWORD dst_unused:UNUSED_PAD src0_sel:WORD_1
	v_cvt_f32_f16_sdwa v35, v0 dst_sel:DWORD dst_unused:UNUSED_PAD src0_sel:WORD_1
	v_pk_fma_f32 v[4:5], v[100:101], v[4:5], v[20:21] op_sel_hi:[0,1,1]
	v_pk_fma_f32 v[2:3], v[100:101], v[2:3], v[18:19] op_sel_hi:[0,1,1]
	;; [unrolled: 1-line block ×8, first 2 shown]
	s_cbranch_execnz .LBB25_255
.LBB25_254:                             ;   in Loop: Header=BB25_13 Depth=1
	v_mov_b64_e32 v[14:15], v[30:31]
	v_mov_b64_e32 v[10:11], v[26:27]
	;; [unrolled: 1-line block ×8, first 2 shown]
.LBB25_255:                             ;   in Loop: Header=BB25_13 Depth=1
	v_add_f32_e32 v0, 0x40051340, v2
	v_max_f32_e32 v1, v81, v81
	v_cmp_gt_u32_e64 s[46:47], s38, v180
	v_max_f32_e32 v0, v1, v0
	v_add_f32_e32 v1, 0x40051340, v3
	v_cndmask_b32_e64 v0, v81, v0, s[46:47]
	v_max_f32_e32 v18, v0, v0
	v_cmp_gt_u32_e32 vcc, s38, v125
	v_max_f32_e32 v1, v18, v1
	v_cmp_gt_u32_e64 s[44:45], s38, v220
	v_cndmask_b32_e32 v0, v0, v1, vcc
	v_add_f32_e32 v1, 0x40051340, v4
	v_max_f32_e32 v18, v0, v0
	v_max_f32_e32 v1, v18, v1
	v_cndmask_b32_e64 v0, v0, v1, s[44:45]
	v_add_f32_e32 v1, 0x40051340, v5
	v_max_f32_e32 v18, v0, v0
	v_cmp_gt_u32_e64 s[42:43], s38, v195
	v_max_f32_e32 v1, v18, v1
	v_cmp_gt_u32_e64 s[40:41], s38, v183
	v_cndmask_b32_e64 v0, v0, v1, s[42:43]
	v_add_f32_e32 v1, 0x40051340, v6
	v_max_f32_e32 v18, v0, v0
	v_max_f32_e32 v1, v18, v1
	v_cndmask_b32_e64 v0, v0, v1, s[40:41]
	v_add_f32_e32 v1, 0x40051340, v7
	v_max_f32_e32 v18, v0, v0
	v_cmp_gt_u32_e64 s[98:99], s38, v222
	v_max_f32_e32 v1, v18, v1
	v_cmp_gt_u32_e64 s[96:97], s38, v122
	v_cndmask_b32_e64 v0, v0, v1, s[98:99]
	;; [unrolled: 10-line block ×6, first 2 shown]
	v_add_f32_e32 v1, 0x40051340, v16
	v_max_f32_e32 v18, v0, v0
	v_max_f32_e32 v1, v18, v1
	v_cndmask_b32_e64 v0, v0, v1, s[80:81]
	v_add_f32_e32 v1, 0x40051340, v17
	v_max_f32_e32 v18, v0, v0
	v_cmp_gt_u32_e64 s[38:39], s38, v219
	v_max_f32_e32 v1, v18, v1
	v_xor_b32_e32 v18, 32, v240
	v_cndmask_b32_e64 v0, v0, v1, s[38:39]
	v_and_b32_e32 v1, 64, v240
	v_add_u32_e32 v1, 64, v1
	v_cmp_lt_i32_e64 s[2:3], v18, v1
	scratch_store_dwordx4 off, v[228:231], off
	s_nop 0
	v_cndmask_b32_e64 v18, v240, v18, s[2:3]
	v_lshlrev_b32_e32 v30, 2, v18
	ds_bpermute_b32 v18, v30, v0
	v_max_f32_e32 v0, v0, v0
	s_waitcnt lgkmcnt(0)
	v_max_f32_e32 v18, v18, v18
	v_max_f32_e32 v0, v0, v18
	v_xor_b32_e32 v18, 16, v240
	v_cmp_lt_i32_e64 s[2:3], v18, v1
	s_nop 1
	v_cndmask_b32_e64 v1, v240, v18, s[2:3]
	v_lshlrev_b32_e32 v23, 2, v1
	ds_bpermute_b32 v1, v23, v0
	s_waitcnt lgkmcnt(0)
	v_max_f32_e32 v1, v1, v1
	v_max_f32_e32 v22, v0, v1
	v_sub_f32_e32 v0, v2, v22
	v_mul_f32_e32 v1, 0x3fb8aa3b, v0
	v_fma_f32 v2, v0, s56, -v1
	v_rndne_f32_e32 v18, v1
	v_fmac_f32_e32 v2, 0x32a5705f, v0
	v_sub_f32_e32 v1, v1, v18
	v_add_f32_e32 v1, v1, v2
	v_exp_f32_e32 v1, v1
	v_cvt_i32_f32_e32 v2, v18
	v_cmp_ngt_f32_e64 s[2:3], s33, v0
	v_ldexp_f32 v1, v1, v2
	s_nop 0
	v_cndmask_b32_e64 v1, 0, v1, s[2:3]
	v_cmp_nlt_f32_e64 s[2:3], s69, v0
	s_nop 1
	v_cndmask_b32_e64 v0, v213, v1, s[2:3]
	v_cndmask_b32_e64 v2, 0, v0, s[46:47]
	v_sub_f32_e32 v0, v3, v22
	v_mul_f32_e32 v1, 0x3fb8aa3b, v0
	v_fma_f32 v3, v0, s56, -v1
	v_rndne_f32_e32 v18, v1
	v_fmac_f32_e32 v3, 0x32a5705f, v0
	v_sub_f32_e32 v1, v1, v18
	v_add_f32_e32 v1, v1, v3
	v_exp_f32_e32 v1, v1
	v_cvt_i32_f32_e32 v3, v18
	v_cmp_ngt_f32_e64 s[2:3], s33, v0
	v_ldexp_f32 v1, v1, v3
	s_nop 0
	v_cndmask_b32_e64 v1, 0, v1, s[2:3]
	v_cmp_nlt_f32_e64 s[2:3], s69, v0
	s_nop 1
	v_cndmask_b32_e64 v0, v213, v1, s[2:3]
	v_add_f32_e32 v3, v0, v2
	v_mov_b32_e32 v1, s67
	v_cndmask_b32_e32 v1, v1, v0, vcc
	v_cndmask_b32_e32 v0, v2, v3, vcc
	v_sub_f32_e32 v3, v4, v22
	v_mul_f32_e32 v4, 0x3fb8aa3b, v3
	v_fma_f32 v18, v3, s56, -v4
	v_rndne_f32_e32 v19, v4
	v_fmac_f32_e32 v18, 0x32a5705f, v3
	v_sub_f32_e32 v4, v4, v19
	v_add_f32_e32 v4, v4, v18
	v_exp_f32_e32 v4, v4
	v_cvt_i32_f32_e32 v18, v19
	v_cmp_ngt_f32_e32 vcc, s33, v3
	v_ldexp_f32 v4, v4, v18
	s_nop 0
	v_cndmask_b32_e32 v4, 0, v4, vcc
	v_cmp_nlt_f32_e32 vcc, s69, v3
	s_nop 1
	v_cndmask_b32_e32 v3, v213, v4, vcc
	v_mov_b32_e32 v4, s67
	v_add_f32_e32 v18, v0, v3
	v_cndmask_b32_e64 v4, v4, v3, s[44:45]
	v_sub_f32_e32 v3, v5, v22
	v_mul_f32_e32 v5, 0x3fb8aa3b, v3
	v_cndmask_b32_e64 v0, v0, v18, s[44:45]
	v_fma_f32 v18, v3, s56, -v5
	v_rndne_f32_e32 v19, v5
	v_fmac_f32_e32 v18, 0x32a5705f, v3
	v_sub_f32_e32 v5, v5, v19
	v_add_f32_e32 v5, v5, v18
	v_exp_f32_e32 v5, v5
	v_cvt_i32_f32_e32 v18, v19
	v_cmp_ngt_f32_e32 vcc, s33, v3
	v_ldexp_f32 v5, v5, v18
	s_nop 0
	v_cndmask_b32_e32 v5, 0, v5, vcc
	v_cmp_nlt_f32_e32 vcc, s69, v3
	v_mov_b32_e32 v3, s67
	s_nop 0
	v_cndmask_b32_e32 v5, v213, v5, vcc
	v_cndmask_b32_e64 v41, v3, v5, s[42:43]
	v_sub_f32_e32 v3, v6, v22
	v_add_f32_e32 v18, v0, v5
	v_mul_f32_e32 v5, 0x3fb8aa3b, v3
	v_cndmask_b32_e64 v0, v0, v18, s[42:43]
	v_fma_f32 v6, v3, s56, -v5
	v_rndne_f32_e32 v18, v5
	v_fmac_f32_e32 v6, 0x32a5705f, v3
	v_sub_f32_e32 v5, v5, v18
	v_add_f32_e32 v5, v5, v6
	v_exp_f32_e32 v5, v5
	v_cvt_i32_f32_e32 v6, v18
	v_cmp_ngt_f32_e32 vcc, s33, v3
	v_ldexp_f32 v5, v5, v6
	s_nop 0
	v_cndmask_b32_e32 v5, 0, v5, vcc
	v_cmp_nlt_f32_e32 vcc, s69, v3
	v_mov_b32_e32 v6, s67
	s_nop 0
	v_cndmask_b32_e32 v3, v213, v5, vcc
	v_add_f32_e32 v5, v3, v0
	v_cndmask_b32_e64 v6, v6, v3, s[40:41]
	v_sub_f32_e32 v3, v7, v22
	v_cndmask_b32_e64 v0, v0, v5, s[40:41]
	v_mul_f32_e32 v5, 0x3fb8aa3b, v3
	v_fma_f32 v7, v3, s56, -v5
	v_rndne_f32_e32 v18, v5
	v_fmac_f32_e32 v7, 0x32a5705f, v3
	v_sub_f32_e32 v5, v5, v18
	v_add_f32_e32 v5, v5, v7
	v_exp_f32_e32 v5, v5
	v_cvt_i32_f32_e32 v7, v18
	v_cmp_ngt_f32_e32 vcc, s33, v3
	v_ldexp_f32 v5, v5, v7
	s_nop 0
	v_cndmask_b32_e32 v5, 0, v5, vcc
	v_cmp_nlt_f32_e32 vcc, s69, v3
	v_mov_b32_e32 v3, s67
	s_nop 0
	v_cndmask_b32_e32 v5, v213, v5, vcc
	v_add_f32_e32 v7, v5, v0
	v_cndmask_b32_e64 v3, v3, v5, s[98:99]
	v_sub_f32_e32 v5, v8, v22
	v_cndmask_b32_e64 v0, v0, v7, s[98:99]
	v_mul_f32_e32 v7, 0x3fb8aa3b, v5
	;; [unrolled: 20-line block ×3, first 2 shown]
	v_fma_f32 v9, v5, s56, -v7
	v_rndne_f32_e32 v18, v7
	v_fmac_f32_e32 v9, 0x32a5705f, v5
	v_sub_f32_e32 v7, v7, v18
	v_add_f32_e32 v7, v7, v9
	v_exp_f32_e32 v7, v7
	v_cvt_i32_f32_e32 v9, v18
	v_cmp_ngt_f32_e32 vcc, s33, v5
	v_readlane_b32 s96, v255, 12
	s_mul_hi_i32 s3, s50, s96
	v_ldexp_f32 v7, v7, v9
	v_cndmask_b32_e32 v7, 0, v7, vcc
	v_cmp_nlt_f32_e32 vcc, s69, v5
	v_mov_b32_e32 v5, s67
	s_mul_i32 s2, s50, s96
	v_cndmask_b32_e32 v7, v213, v7, vcc
	v_cndmask_b32_e64 v42, v5, v7, s[94:95]
	v_sub_f32_e32 v5, v10, v22
	v_add_f32_e32 v9, v7, v0
	v_mul_f32_e32 v7, 0x3fb8aa3b, v5
	v_cndmask_b32_e64 v0, v0, v9, s[94:95]
	v_fma_f32 v9, v5, s56, -v7
	v_rndne_f32_e32 v10, v7
	v_fmac_f32_e32 v9, 0x32a5705f, v5
	v_sub_f32_e32 v7, v7, v10
	v_add_f32_e32 v7, v7, v9
	v_exp_f32_e32 v7, v7
	v_cvt_i32_f32_e32 v9, v10
	v_cmp_ngt_f32_e32 vcc, s33, v5
	v_mov_b32_e32 v10, s67
	s_lshl_b64 s[2:3], s[2:3], 2
	v_ldexp_f32 v7, v7, v9
	v_cndmask_b32_e32 v7, 0, v7, vcc
	v_cmp_nlt_f32_e32 vcc, s69, v5
	v_lshl_add_u64 v[18:19], v[98:99], 0, s[2:3]
	v_lshl_add_u64 v[24:25], v[68:69], 2, v[18:19]
	v_cndmask_b32_e32 v5, v213, v7, vcc
	v_add_f32_e32 v7, v5, v0
	v_cndmask_b32_e64 v10, v10, v5, s[92:93]
	v_sub_f32_e32 v5, v11, v22
	v_cndmask_b32_e64 v0, v0, v7, s[92:93]
	v_mul_f32_e32 v7, 0x3fb8aa3b, v5
	v_fma_f32 v9, v5, s56, -v7
	v_rndne_f32_e32 v11, v7
	v_fmac_f32_e32 v9, 0x32a5705f, v5
	v_sub_f32_e32 v7, v7, v11
	v_add_f32_e32 v7, v7, v9
	v_exp_f32_e32 v7, v7
	v_cvt_i32_f32_e32 v9, v11
	v_cmp_ngt_f32_e32 vcc, s33, v5
	v_lshl_add_u64 v[20:21], v[66:67], 2, v[18:19]
	v_lshl_add_u64 v[24:25], v[24:25], 0, v[52:53]
	v_ldexp_f32 v7, v7, v9
	v_cndmask_b32_e32 v7, 0, v7, vcc
	v_cmp_nlt_f32_e32 vcc, s69, v5
	v_mov_b32_e32 v5, s67
	v_lshl_add_u64 v[20:21], v[20:21], 0, v[52:53]
	v_cndmask_b32_e32 v7, v213, v7, vcc
	v_add_f32_e32 v9, v7, v0
	v_cndmask_b32_e64 v5, v5, v7, s[90:91]
	v_sub_f32_e32 v7, v12, v22
	v_cndmask_b32_e64 v0, v0, v9, s[90:91]
	v_mul_f32_e32 v9, 0x3fb8aa3b, v7
	v_fma_f32 v11, v7, s56, -v9
	v_rndne_f32_e32 v12, v9
	v_fmac_f32_e32 v11, 0x32a5705f, v7
	v_sub_f32_e32 v9, v9, v12
	v_add_f32_e32 v9, v9, v11
	v_exp_f32_e32 v9, v9
	v_cvt_i32_f32_e32 v11, v12
	v_cmp_ngt_f32_e32 vcc, s33, v7
	v_mov_b32_e32 v12, s67
	v_cndmask_b32_e64 v28, v236, v24, s[74:75]
	v_ldexp_f32 v9, v9, v11
	v_cndmask_b32_e32 v9, 0, v9, vcc
	v_cmp_nlt_f32_e32 vcc, s69, v7
	v_cndmask_b32_e64 v20, v236, v20, s[72:73]
	v_readlane_b32 s97, v255, 13
	v_cndmask_b32_e32 v7, v213, v9, vcc
	v_add_f32_e32 v9, v7, v0
	v_cndmask_b32_e64 v12, v12, v7, s[88:89]
	v_sub_f32_e32 v7, v13, v22
	v_cndmask_b32_e64 v0, v0, v9, s[88:89]
	v_mul_f32_e32 v9, 0x3fb8aa3b, v7
	v_fma_f32 v11, v7, s56, -v9
	v_rndne_f32_e32 v13, v9
	v_fmac_f32_e32 v11, 0x32a5705f, v7
	v_sub_f32_e32 v9, v9, v13
	v_add_f32_e32 v9, v9, v11
	v_exp_f32_e32 v9, v9
	v_cvt_i32_f32_e32 v11, v13
	v_cmp_ngt_f32_e32 vcc, s33, v7
	v_ldexp_f32 v9, v9, v11
	s_nop 0
	v_cndmask_b32_e32 v9, 0, v9, vcc
	v_cmp_nlt_f32_e32 vcc, s69, v7
	v_mov_b32_e32 v7, s67
	s_nop 0
	v_cndmask_b32_e32 v9, v213, v9, vcc
	v_cndmask_b32_e64 v43, v7, v9, s[86:87]
	v_sub_f32_e32 v7, v14, v22
	v_add_f32_e32 v11, v9, v0
	v_mul_f32_e32 v9, 0x3fb8aa3b, v7
	v_cndmask_b32_e64 v0, v0, v11, s[86:87]
	v_fma_f32 v11, v7, s56, -v9
	v_rndne_f32_e32 v13, v9
	v_fmac_f32_e32 v11, 0x32a5705f, v7
	v_sub_f32_e32 v9, v9, v13
	v_add_f32_e32 v9, v9, v11
	v_exp_f32_e32 v9, v9
	v_cvt_i32_f32_e32 v11, v13
	v_cmp_ngt_f32_e32 vcc, s33, v7
	v_mov_b32_e32 v14, s67
	v_ldexp_f32 v9, v9, v11
	v_cndmask_b32_e32 v9, 0, v9, vcc
	v_cmp_nlt_f32_e32 vcc, s69, v7
	s_nop 1
	v_cndmask_b32_e32 v7, v213, v9, vcc
	v_add_f32_e32 v9, v7, v0
	v_cndmask_b32_e64 v14, v14, v7, s[84:85]
	v_sub_f32_e32 v7, v15, v22
	v_cndmask_b32_e64 v0, v0, v9, s[84:85]
	v_mul_f32_e32 v9, 0x3fb8aa3b, v7
	v_fma_f32 v11, v7, s56, -v9
	v_rndne_f32_e32 v13, v9
	v_fmac_f32_e32 v11, 0x32a5705f, v7
	v_sub_f32_e32 v9, v9, v13
	v_add_f32_e32 v9, v9, v11
	v_exp_f32_e32 v9, v9
	v_cvt_i32_f32_e32 v11, v13
	v_cmp_ngt_f32_e32 vcc, s33, v7
	v_ldexp_f32 v9, v9, v11
	s_nop 0
	v_cndmask_b32_e32 v9, 0, v9, vcc
	v_cmp_nlt_f32_e32 vcc, s69, v7
	v_mov_b32_e32 v7, s67
	s_nop 0
	v_cndmask_b32_e32 v9, v213, v9, vcc
	v_add_f32_e32 v11, v9, v0
	v_cndmask_b32_e64 v7, v7, v9, s[82:83]
	v_sub_f32_e32 v9, v16, v22
	v_cndmask_b32_e64 v0, v0, v11, s[82:83]
	v_mul_f32_e32 v11, 0x3fb8aa3b, v9
	v_fma_f32 v13, v9, s56, -v11
	v_rndne_f32_e32 v15, v11
	v_fmac_f32_e32 v13, 0x32a5705f, v9
	v_sub_f32_e32 v11, v11, v15
	v_add_f32_e32 v11, v11, v13
	v_exp_f32_e32 v11, v11
	v_cvt_i32_f32_e32 v13, v15
	v_cmp_ngt_f32_e32 vcc, s33, v9
	v_mov_b32_e32 v16, s67
	v_ldexp_f32 v11, v11, v13
	v_cndmask_b32_e32 v11, 0, v11, vcc
	v_cmp_nlt_f32_e32 vcc, s69, v9
	s_nop 1
	v_cndmask_b32_e32 v9, v213, v11, vcc
	v_add_f32_e32 v11, v9, v0
	v_cndmask_b32_e64 v16, v16, v9, s[80:81]
	v_sub_f32_e32 v9, v17, v22
	v_cndmask_b32_e64 v0, v0, v11, s[80:81]
	v_mul_f32_e32 v11, 0x3fb8aa3b, v9
	v_fma_f32 v13, v9, s56, -v11
	v_rndne_f32_e32 v15, v11
	v_fmac_f32_e32 v13, 0x32a5705f, v9
	v_sub_f32_e32 v11, v11, v15
	v_add_f32_e32 v11, v11, v13
	v_exp_f32_e32 v11, v11
	v_cvt_i32_f32_e32 v13, v15
	v_cmp_ngt_f32_e32 vcc, s33, v9
	v_ldexp_f32 v11, v11, v13
	s_nop 0
	v_cndmask_b32_e32 v11, 0, v11, vcc
	v_cmp_nlt_f32_e32 vcc, s69, v9
	v_mov_b32_e32 v9, s67
	s_nop 0
	v_cndmask_b32_e32 v11, v213, v11, vcc
	v_add_f32_e32 v13, v11, v0
	v_cndmask_b32_e64 v31, v0, v13, s[38:39]
	v_sub_f32_e32 v0, v81, v22
	v_cndmask_b32_e64 v44, v9, v11, s[38:39]
	v_mul_f32_e32 v9, 0x3fb8aa3b, v0
	v_fma_f32 v11, v0, s56, -v9
	v_rndne_f32_e32 v13, v9
	v_fmac_f32_e32 v11, 0x32a5705f, v0
	v_sub_f32_e32 v9, v9, v13
	v_add_f32_e32 v9, v9, v11
	v_exp_f32_e32 v9, v9
	v_cvt_i32_f32_e32 v11, v13
	v_cmp_ngt_f32_e32 vcc, s33, v0
	s_mov_b32 s38, 0xc1a00000
	v_ldexp_f32 v9, v9, v11
	v_cndmask_b32_e32 v9, 0, v9, vcc
	v_cmp_nlt_f32_e32 vcc, s69, v0
	s_nop 1
	v_cndmask_b32_e32 v9, v213, v9, vcc
	v_cmp_le_f32_e32 vcc, s38, v0
	s_nop 1
	v_cndmask_b32_e32 v0, 0, v9, vcc
	v_fmac_f32_e32 v31, v82, v0
	v_cvt_f16_f32_e32 v0, v0
	v_cmp_eq_u64_e32 vcc, 0, v[96:97]
	s_and_b64 vcc, exec, vcc
	v_mul_u32_u24_e32 v0, 0x10001, v0
	v_pk_mul_f16 v46, v77, v0
	v_pk_mul_f16 v45, v76, v0
	;; [unrolled: 1-line block ×16, first 2 shown]
	v_mov_b32_e32 v0, s57
	v_cndmask_b32_e64 v29, v0, v25, s[74:75]
	v_lshl_add_u64 v[24:25], v[70:71], 2, v[18:19]
	v_lshl_add_u64 v[18:19], v[72:73], 2, v[18:19]
	v_cndmask_b32_e64 v21, v0, v21, s[72:73]
	v_lshl_add_u64 v[24:25], v[24:25], 0, v[52:53]
	v_lshl_add_u64 v[18:19], v[18:19], 0, v[52:53]
	v_cndmask_b32_e64 v27, v0, v25, s[76:77]
	v_cndmask_b32_e64 v26, v236, v24, s[76:77]
	;; [unrolled: 1-line block ×4, first 2 shown]
	flat_load_dwordx4 v[18:21], v[20:21]
	s_waitcnt vmcnt(0) lgkmcnt(0)
	ds_write_b128 v178, v[18:21]
	flat_load_dwordx4 v[18:21], v[28:29]
	s_waitcnt vmcnt(0) lgkmcnt(0)
	ds_write_b128 v233, v[18:21]
	flat_load_dwordx4 v[18:21], v[26:27]
	v_cvt_pk_f16_f32 v27, v4, v41
	v_cvt_pk_f16_f32 v26, v2, v1
	s_waitcnt vmcnt(0) lgkmcnt(0)
	ds_write_b128 v227, v[18:21]
	flat_load_dwordx4 v[18:21], v[24:25]
	s_waitcnt vmcnt(0) lgkmcnt(0)
	ds_write_b128 v238, v[18:21]
	s_waitcnt lgkmcnt(0)
	s_barrier
	ds_read_u16 v0, v189 offset:272
	ds_read_u16 v24, v189 offset:544
	ds_read_u16 v25, v196
	ds_read_u16 v28, v196 offset:32
	v_cvt_f32_f16_e32 v20, v45
	v_cvt_f32_f16_sdwa v21, v45 dst_sel:DWORD dst_unused:UNUSED_PAD src0_sel:WORD_1
	v_cvt_f32_f16_e32 v18, v46
	s_waitcnt lgkmcnt(1)
	v_perm_b32 v25, v25, v24, s54
	ds_read_u16 v24, v189
	ds_read_u16 v45, v189 offset:32
	v_cvt_f32_f16_sdwa v19, v46 dst_sel:DWORD dst_unused:UNUSED_PAD src0_sel:WORD_1
	s_waitcnt lgkmcnt(1)
	v_perm_b32 v24, v0, v24, s54
	s_nop 1
	v_mfma_f32_16x16x16_f16 v[18:21], v[24:25], v[26:27], v[18:21]
	ds_read_u16 v24, v189 offset:4352
	ds_read_u16 v25, v189 offset:4624
	;; [unrolled: 1-line block ×4, first 2 shown]
	s_nop 3
	v_cvt_f16_f32_e32 v0, v18
	v_cvt_f16_f32_e32 v1, v19
	;; [unrolled: 1-line block ×4, first 2 shown]
	v_cvt_f32_f16_e32 v18, v0
	v_cvt_f32_f16_e32 v19, v1
	s_waitcnt lgkmcnt(0)
	v_perm_b32 v1, v41, v29, s54
	v_perm_b32 v0, v25, v24, s54
	v_cvt_f32_f16_e32 v20, v2
	v_cvt_f32_f16_e32 v21, v4
	v_cvt_pk_f16_f32 v25, v8, v42
	v_cvt_pk_f16_f32 v24, v6, v3
	v_cvt_f32_f16_sdwa v41, v32 dst_sel:DWORD dst_unused:UNUSED_PAD src0_sel:WORD_1
	s_nop 0
	v_mfma_f32_16x16x16_f16 v[18:21], v[0:1], v[24:25], v[18:21]
	s_nop 7
	v_cvt_f16_f32_e32 v0, v18
	ds_read_u16 v4, v189 offset:8704
	ds_read_u16 v6, v189 offset:8976
	;; [unrolled: 1-line block ×4, first 2 shown]
	v_cvt_f16_f32_e32 v1, v19
	v_cvt_f16_f32_e32 v2, v20
	v_cvt_f16_f32_e32 v3, v21
	v_cvt_f32_f16_e32 v46, v0
	v_cvt_f32_f16_e32 v47, v1
	s_waitcnt lgkmcnt(0)
	v_perm_b32 v1, v18, v8, s54
	v_perm_b32 v0, v6, v4, s54
	v_cvt_f32_f16_e32 v48, v2
	v_cvt_f32_f16_e32 v49, v3
	v_cvt_pk_f16_f32 v21, v12, v43
	v_cvt_pk_f16_f32 v20, v10, v5
	ds_read_u16 v6, v189 offset:13056
	ds_read_u16 v8, v189 offset:13328
	;; [unrolled: 1-line block ×4, first 2 shown]
	v_mfma_f32_16x16x16_f16 v[2:5], v[0:1], v[20:21], v[46:49]
	v_cvt_pk_f16_f32 v19, v16, v44
	v_cvt_pk_f16_f32 v18, v14, v7
	v_cvt_f32_f16_sdwa v7, v39 dst_sel:DWORD dst_unused:UNUSED_PAD src0_sel:WORD_1
	s_nop 4
	v_cvt_f16_f32_e32 v0, v2
	v_cvt_f16_f32_e32 v1, v3
	;; [unrolled: 1-line block ×4, first 2 shown]
	v_cvt_f32_f16_e32 v2, v0
	v_cvt_f32_f16_e32 v3, v1
	s_waitcnt lgkmcnt(0)
	v_perm_b32 v1, v12, v10, s54
	v_perm_b32 v0, v8, v6, s54
	v_cvt_f32_f16_e32 v4, v4
	v_cvt_f32_f16_e32 v5, v5
	v_cvt_f32_f16_e32 v6, v39
	s_nop 0
	v_mfma_f32_16x16x16_f16 v[2:5], v[0:1], v[18:19], v[2:5]
	s_nop 7
	v_cvt_f16_f32_e32 v0, v4
	v_cvt_f16_f32_e32 v1, v5
	v_cvt_f32_f16_e32 v4, v40
	v_cvt_f32_f16_sdwa v5, v40 dst_sel:DWORD dst_unused:UNUSED_PAD src0_sel:WORD_1
	v_perm_b32 v1, v1, v0, s54
	ds_read_u16 v0, v189 offset:304
	ds_read_u16 v8, v189 offset:576
	s_waitcnt lgkmcnt(0)
	v_perm_b32 v29, v28, v8, s54
	v_perm_b32 v28, v0, v45, s54
	ds_read_u16 v8, v189 offset:4384
	ds_read_u16 v10, v189 offset:4656
	;; [unrolled: 1-line block ×4, first 2 shown]
	v_mfma_f32_16x16x16_f16 v[4:7], v[28:29], v[26:27], v[4:7]
	s_waitcnt lgkmcnt(0)
	v_perm_b32 v29, v14, v12, s54
	v_perm_b32 v28, v10, v8, s54
	ds_read_u16 v8, v189 offset:8736
	ds_read_u16 v10, v189 offset:9008
	;; [unrolled: 1-line block ×4, first 2 shown]
	s_nop 0
	v_cvt_f16_f32_e32 v0, v4
	v_cvt_f16_f32_e32 v5, v5
	v_cvt_f16_f32_e32 v6, v6
	v_cvt_f16_f32_e32 v7, v7
	v_cvt_f32_f16_e32 v4, v0
	v_cvt_f32_f16_e32 v5, v5
	;; [unrolled: 1-line block ×4, first 2 shown]
	s_nop 1
	v_mfma_f32_16x16x16_f16 v[4:7], v[28:29], v[24:25], v[4:7]
	s_waitcnt lgkmcnt(0)
	v_perm_b32 v29, v14, v12, s54
	v_perm_b32 v28, v10, v8, s54
	ds_read_u16 v8, v189 offset:13088
	ds_read_u16 v10, v189 offset:13360
	;; [unrolled: 1-line block ×4, first 2 shown]
	s_nop 0
	v_cvt_f16_f32_e32 v0, v4
	v_cvt_f16_f32_e32 v5, v5
	;; [unrolled: 1-line block ×4, first 2 shown]
	v_cvt_f32_f16_e32 v4, v0
	v_cvt_f32_f16_e32 v5, v5
	;; [unrolled: 1-line block ×4, first 2 shown]
	s_nop 1
	v_mfma_f32_16x16x16_f16 v[4:7], v[28:29], v[20:21], v[4:7]
	s_waitcnt lgkmcnt(0)
	v_perm_b32 v29, v14, v12, s54
	v_perm_b32 v28, v10, v8, s54
	v_cvt_f32_f16_e32 v8, v9
	v_cvt_f32_f16_sdwa v9, v9 dst_sel:DWORD dst_unused:UNUSED_PAD src0_sel:WORD_1
	s_nop 2
	v_cvt_f16_f32_e32 v0, v4
	v_cvt_f16_f32_e32 v5, v5
	;; [unrolled: 1-line block ×4, first 2 shown]
	v_cvt_f32_f16_e32 v4, v0
	v_cvt_f32_f16_e32 v5, v5
	;; [unrolled: 1-line block ×4, first 2 shown]
	s_nop 1
	v_mfma_f32_16x16x16_f16 v[4:7], v[28:29], v[18:19], v[4:7]
	s_nop 7
	v_cvt_f16_f32_e32 v0, v6
	v_cvt_f16_f32_e32 v6, v7
	v_cvt_f32_f16_sdwa v7, v38 dst_sel:DWORD dst_unused:UNUSED_PAD src0_sel:WORD_1
	v_perm_b32 v28, v6, v0, s54
	ds_read_u16 v0, v189 offset:64
	ds_read_u16 v10, v189 offset:336
	;; [unrolled: 1-line block ×4, first 2 shown]
	v_cvt_f32_f16_e32 v6, v38
	s_waitcnt lgkmcnt(2)
	v_perm_b32 v38, v10, v0, s54
	s_waitcnt lgkmcnt(0)
	v_perm_b32 v39, v14, v12, s54
	ds_read_u16 v10, v189 offset:4416
	ds_read_u16 v12, v189 offset:4688
	ds_read_u16 v14, v189 offset:4960
	ds_read_u16 v16, v196 offset:4416
	v_mfma_f32_16x16x16_f16 v[6:9], v[38:39], v[26:27], v[6:9]
	s_waitcnt lgkmcnt(0)
	v_perm_b32 v39, v16, v14, s54
	v_perm_b32 v38, v12, v10, s54
	ds_read_u16 v10, v189 offset:8768
	ds_read_u16 v12, v189 offset:9040
	;; [unrolled: 1-line block ×4, first 2 shown]
	s_nop 0
	v_cvt_f16_f32_e32 v0, v6
	v_cvt_f16_f32_e32 v7, v7
	v_cvt_f16_f32_e32 v8, v8
	v_cvt_f16_f32_e32 v9, v9
	v_cvt_f32_f16_e32 v6, v0
	v_cvt_f32_f16_e32 v7, v7
	;; [unrolled: 1-line block ×4, first 2 shown]
	s_nop 1
	v_mfma_f32_16x16x16_f16 v[6:9], v[38:39], v[24:25], v[6:9]
	s_waitcnt lgkmcnt(0)
	v_perm_b32 v39, v16, v14, s54
	v_perm_b32 v38, v12, v10, s54
	ds_read_u16 v10, v189 offset:13120
	ds_read_u16 v12, v189 offset:13392
	;; [unrolled: 1-line block ×4, first 2 shown]
	s_nop 0
	v_cvt_f16_f32_e32 v0, v6
	v_cvt_f16_f32_e32 v7, v7
	;; [unrolled: 1-line block ×4, first 2 shown]
	v_cvt_f32_f16_e32 v6, v0
	v_cvt_f32_f16_e32 v7, v7
	;; [unrolled: 1-line block ×4, first 2 shown]
	s_nop 1
	v_mfma_f32_16x16x16_f16 v[6:9], v[38:39], v[20:21], v[6:9]
	s_waitcnt lgkmcnt(0)
	v_perm_b32 v39, v16, v14, s54
	v_perm_b32 v38, v12, v10, s54
	v_cvt_f32_f16_e32 v10, v11
	v_cvt_f32_f16_sdwa v11, v11 dst_sel:DWORD dst_unused:UNUSED_PAD src0_sel:WORD_1
	s_nop 2
	v_cvt_f16_f32_e32 v0, v6
	v_cvt_f16_f32_e32 v7, v7
	;; [unrolled: 1-line block ×4, first 2 shown]
	v_cvt_f32_f16_e32 v6, v0
	v_cvt_f32_f16_e32 v7, v7
	;; [unrolled: 1-line block ×4, first 2 shown]
	s_nop 1
	v_mfma_f32_16x16x16_f16 v[6:9], v[38:39], v[18:19], v[6:9]
	s_nop 7
	v_cvt_f16_f32_e32 v0, v8
	v_cvt_f16_f32_e32 v8, v9
	v_cvt_f32_f16_sdwa v9, v37 dst_sel:DWORD dst_unused:UNUSED_PAD src0_sel:WORD_1
	v_perm_b32 v29, v8, v0, s54
	ds_read_u16 v0, v189 offset:96
	ds_read_u16 v12, v189 offset:368
	ds_read_u16 v14, v189 offset:640
	ds_read_u16 v16, v196 offset:96
	v_cvt_f32_f16_e32 v8, v37
	s_waitcnt lgkmcnt(2)
	v_perm_b32 v38, v12, v0, s54
	s_waitcnt lgkmcnt(0)
	v_perm_b32 v39, v16, v14, s54
	ds_read_u16 v12, v189 offset:4448
	ds_read_u16 v14, v189 offset:4720
	;; [unrolled: 1-line block ×4, first 2 shown]
	v_mfma_f32_16x16x16_f16 v[8:11], v[38:39], v[26:27], v[8:11]
	s_waitcnt lgkmcnt(0)
	v_perm_b32 v39, v37, v16, s54
	v_perm_b32 v38, v14, v12, s54
	ds_read_u16 v12, v189 offset:8800
	ds_read_u16 v14, v189 offset:9072
	;; [unrolled: 1-line block ×4, first 2 shown]
	s_nop 0
	v_cvt_f16_f32_e32 v0, v8
	v_cvt_f16_f32_e32 v9, v9
	;; [unrolled: 1-line block ×4, first 2 shown]
	v_cvt_f32_f16_e32 v8, v0
	v_cvt_f32_f16_e32 v9, v9
	;; [unrolled: 1-line block ×4, first 2 shown]
	s_nop 1
	v_mfma_f32_16x16x16_f16 v[8:11], v[38:39], v[24:25], v[8:11]
	s_waitcnt lgkmcnt(0)
	v_perm_b32 v39, v37, v16, s54
	v_perm_b32 v38, v14, v12, s54
	ds_read_u16 v12, v189 offset:13152
	ds_read_u16 v14, v189 offset:13424
	;; [unrolled: 1-line block ×4, first 2 shown]
	s_nop 0
	v_cvt_f16_f32_e32 v0, v8
	v_cvt_f16_f32_e32 v9, v9
	;; [unrolled: 1-line block ×4, first 2 shown]
	v_cvt_f32_f16_e32 v8, v0
	v_cvt_f32_f16_e32 v9, v9
	;; [unrolled: 1-line block ×4, first 2 shown]
	s_nop 1
	v_mfma_f32_16x16x16_f16 v[8:11], v[38:39], v[20:21], v[8:11]
	s_waitcnt lgkmcnt(0)
	v_perm_b32 v39, v37, v16, s54
	v_perm_b32 v38, v14, v12, s54
	v_cvt_f32_f16_e32 v12, v13
	v_cvt_f32_f16_sdwa v13, v13 dst_sel:DWORD dst_unused:UNUSED_PAD src0_sel:WORD_1
	s_nop 2
	v_cvt_f16_f32_e32 v0, v8
	v_cvt_f16_f32_e32 v9, v9
	;; [unrolled: 1-line block ×4, first 2 shown]
	v_cvt_f32_f16_e32 v8, v0
	v_cvt_f32_f16_e32 v9, v9
	;; [unrolled: 1-line block ×4, first 2 shown]
	s_nop 1
	v_mfma_f32_16x16x16_f16 v[8:11], v[38:39], v[18:19], v[8:11]
	s_nop 7
	v_cvt_f16_f32_e32 v0, v10
	v_cvt_f16_f32_e32 v10, v11
	v_cvt_f32_f16_sdwa v11, v36 dst_sel:DWORD dst_unused:UNUSED_PAD src0_sel:WORD_1
	v_perm_b32 v37, v10, v0, s54
	ds_read_u16 v0, v189 offset:128
	ds_read_u16 v14, v189 offset:400
	ds_read_u16 v16, v189 offset:672
	ds_read_u16 v38, v196 offset:128
	v_cvt_f32_f16_e32 v10, v36
	s_waitcnt lgkmcnt(0)
	v_perm_b32 v39, v38, v16, s54
	v_perm_b32 v38, v14, v0, s54
	s_nop 1
	v_mfma_f32_16x16x16_f16 v[10:13], v[38:39], v[26:27], v[10:13]
	ds_read_u16 v14, v189 offset:4480
	ds_read_u16 v16, v189 offset:4752
	ds_read_u16 v36, v189 offset:5024
	ds_read_u16 v38, v196 offset:4480
	s_nop 3
	v_cvt_f16_f32_e32 v0, v10
	v_cvt_f16_f32_e32 v11, v11
	v_cvt_f16_f32_e32 v12, v12
	v_cvt_f16_f32_e32 v13, v13
	s_waitcnt lgkmcnt(0)
	v_perm_b32 v39, v38, v36, s54
	v_perm_b32 v38, v16, v14, s54
	v_cvt_f32_f16_e32 v10, v0
	v_cvt_f32_f16_e32 v11, v11
	v_cvt_f32_f16_e32 v12, v12
	v_cvt_f32_f16_e32 v13, v13
	s_nop 1
	v_mfma_f32_16x16x16_f16 v[10:13], v[38:39], v[24:25], v[10:13]
	ds_read_u16 v14, v189 offset:8832
	ds_read_u16 v16, v189 offset:9104
	ds_read_u16 v36, v189 offset:9376
	ds_read_u16 v38, v196 offset:8832
	s_nop 3
	v_cvt_f16_f32_e32 v0, v10
	v_cvt_f16_f32_e32 v11, v11
	v_cvt_f16_f32_e32 v12, v12
	v_cvt_f16_f32_e32 v13, v13
	s_waitcnt lgkmcnt(0)
	v_perm_b32 v39, v38, v36, s54
	v_perm_b32 v38, v16, v14, s54
	v_cvt_f32_f16_e32 v10, v0
	v_cvt_f32_f16_e32 v11, v11
	v_cvt_f32_f16_e32 v12, v12
	v_cvt_f32_f16_e32 v13, v13
	;; [unrolled: 18-line block ×3, first 2 shown]
	v_cvt_f32_f16_e32 v14, v15
	v_cvt_f32_f16_sdwa v15, v15 dst_sel:DWORD dst_unused:UNUSED_PAD src0_sel:WORD_1
	v_mfma_f32_16x16x16_f16 v[10:13], v[38:39], v[18:19], v[10:13]
	s_nop 7
	v_cvt_f16_f32_e32 v0, v12
	v_cvt_f16_f32_e32 v12, v13
	v_cvt_f32_f16_sdwa v13, v35 dst_sel:DWORD dst_unused:UNUSED_PAD src0_sel:WORD_1
	v_perm_b32 v36, v12, v0, s54
	ds_read_u16 v0, v189 offset:160
	ds_read_u16 v16, v189 offset:432
	;; [unrolled: 1-line block ×4, first 2 shown]
	v_cvt_f32_f16_e32 v12, v35
	s_waitcnt lgkmcnt(0)
	v_perm_b32 v39, v39, v38, s54
	v_perm_b32 v38, v16, v0, s54
	s_nop 1
	v_mfma_f32_16x16x16_f16 v[12:15], v[38:39], v[26:27], v[12:15]
	ds_read_u16 v16, v189 offset:4512
	ds_read_u16 v35, v189 offset:4784
	ds_read_u16 v38, v189 offset:5056
	ds_read_u16 v39, v196 offset:4512
	s_nop 3
	v_cvt_f16_f32_e32 v0, v12
	v_cvt_f16_f32_e32 v13, v13
	v_cvt_f16_f32_e32 v14, v14
	v_cvt_f16_f32_e32 v15, v15
	s_waitcnt lgkmcnt(0)
	v_perm_b32 v39, v39, v38, s54
	v_perm_b32 v38, v35, v16, s54
	v_cvt_f32_f16_e32 v12, v0
	v_cvt_f32_f16_e32 v13, v13
	v_cvt_f32_f16_e32 v14, v14
	v_cvt_f32_f16_e32 v15, v15
	s_nop 1
	v_mfma_f32_16x16x16_f16 v[12:15], v[38:39], v[24:25], v[12:15]
	ds_read_u16 v16, v189 offset:8864
	ds_read_u16 v35, v189 offset:9136
	ds_read_u16 v38, v189 offset:9408
	ds_read_u16 v39, v196 offset:8864
	s_nop 3
	v_cvt_f16_f32_e32 v0, v12
	v_cvt_f16_f32_e32 v13, v13
	v_cvt_f16_f32_e32 v14, v14
	v_cvt_f16_f32_e32 v15, v15
	s_waitcnt lgkmcnt(0)
	v_perm_b32 v39, v39, v38, s54
	v_perm_b32 v38, v35, v16, s54
	v_cvt_f32_f16_e32 v12, v0
	v_cvt_f32_f16_e32 v13, v13
	v_cvt_f32_f16_e32 v14, v14
	v_cvt_f32_f16_e32 v15, v15
	;; [unrolled: 18-line block ×3, first 2 shown]
	v_cvt_f32_f16_e32 v16, v17
	v_cvt_f32_f16_sdwa v17, v17 dst_sel:DWORD dst_unused:UNUSED_PAD src0_sel:WORD_1
	v_mfma_f32_16x16x16_f16 v[12:15], v[38:39], v[18:19], v[12:15]
	s_nop 7
	v_cvt_f16_f32_e32 v0, v14
	v_cvt_f16_f32_e32 v14, v15
	v_cvt_f32_f16_sdwa v15, v34 dst_sel:DWORD dst_unused:UNUSED_PAD src0_sel:WORD_1
	v_perm_b32 v35, v14, v0, s54
	ds_read_u16 v0, v189 offset:192
	ds_read_u16 v38, v189 offset:464
	ds_read_u16 v39, v189 offset:736
	ds_read_u16 v40, v196 offset:192
	v_cvt_f32_f16_e32 v14, v34
	s_waitcnt lgkmcnt(2)
	v_perm_b32 v38, v38, v0, s54
	s_waitcnt lgkmcnt(0)
	v_perm_b32 v39, v40, v39, s54
	s_nop 1
	v_mfma_f32_16x16x16_f16 v[14:17], v[38:39], v[26:27], v[14:17]
	ds_read_u16 v34, v189 offset:4544
	ds_read_u16 v38, v189 offset:4816
	ds_read_u16 v39, v189 offset:5088
	ds_read_u16 v40, v196 offset:4544
	s_nop 3
	v_cvt_f16_f32_e32 v0, v14
	v_cvt_f16_f32_e32 v15, v15
	v_cvt_f16_f32_e32 v16, v16
	v_cvt_f16_f32_e32 v17, v17
	s_waitcnt lgkmcnt(0)
	v_perm_b32 v39, v40, v39, s54
	v_perm_b32 v38, v38, v34, s54
	v_cvt_f32_f16_e32 v14, v0
	v_cvt_f32_f16_e32 v15, v15
	v_cvt_f32_f16_e32 v16, v16
	v_cvt_f32_f16_e32 v17, v17
	s_nop 1
	v_mfma_f32_16x16x16_f16 v[14:17], v[38:39], v[24:25], v[14:17]
	ds_read_u16 v34, v189 offset:8896
	ds_read_u16 v38, v189 offset:9168
	ds_read_u16 v39, v189 offset:9440
	ds_read_u16 v40, v196 offset:8896
	s_nop 3
	v_cvt_f16_f32_e32 v0, v14
	v_cvt_f16_f32_e32 v15, v15
	v_cvt_f16_f32_e32 v16, v16
	v_cvt_f16_f32_e32 v17, v17
	s_waitcnt lgkmcnt(0)
	v_perm_b32 v39, v40, v39, s54
	v_perm_b32 v38, v38, v34, s54
	v_cvt_f32_f16_e32 v14, v0
	v_cvt_f32_f16_e32 v15, v15
	v_cvt_f32_f16_e32 v16, v16
	v_cvt_f32_f16_e32 v17, v17
	;; [unrolled: 18-line block ×3, first 2 shown]
	v_cvt_f32_f16_e32 v40, v32
	s_nop 0
	v_mfma_f32_16x16x16_f16 v[14:17], v[38:39], v[18:19], v[14:17]
	v_cvt_f32_f16_e32 v38, v33
	v_cvt_f32_f16_sdwa v39, v33 dst_sel:DWORD dst_unused:UNUSED_PAD src0_sel:WORD_1
	s_nop 5
	v_cvt_f16_f32_e32 v0, v16
	v_cvt_f16_f32_e32 v16, v17
	v_perm_b32 v34, v16, v0, s54
	ds_read_u16 v0, v189 offset:224
	ds_read_u16 v16, v189 offset:496
	;; [unrolled: 1-line block ×4, first 2 shown]
	s_waitcnt lgkmcnt(2)
	v_perm_b32 v16, v16, v0, s54
	s_waitcnt lgkmcnt(0)
	v_perm_b32 v17, v42, v17, s54
	s_nop 1
	v_mfma_f32_16x16x16_f16 v[38:41], v[16:17], v[26:27], v[38:41]
	ds_read_u16 v27, v189 offset:4576
	ds_read_u16 v32, v189 offset:4848
	;; [unrolled: 1-line block ×4, first 2 shown]
	s_nop 3
	v_cvt_f16_f32_e32 v16, v39
	v_cvt_f16_f32_e32 v17, v40
	;; [unrolled: 1-line block ×4, first 2 shown]
	v_cvt_f32_f16_e32 v39, v16
	v_cvt_f32_f16_e32 v40, v17
	s_waitcnt lgkmcnt(0)
	v_perm_b32 v17, v42, v33, s54
	v_perm_b32 v16, v32, v27, s54
	v_cvt_f32_f16_e32 v38, v0
	v_cvt_f32_f16_e32 v41, v26
	s_nop 1
	v_mfma_f32_16x16x16_f16 v[24:27], v[16:17], v[24:25], v[38:41]
	ds_read_u16 v32, v189 offset:8928
	ds_read_u16 v33, v189 offset:9200
	s_nop 0
	ds_read_u16 v38, v189 offset:9472
	ds_read_u16 v39, v196 offset:8928
	s_nop 2
	v_cvt_f16_f32_e32 v16, v25
	v_cvt_f16_f32_e32 v17, v26
	;; [unrolled: 1-line block ×4, first 2 shown]
	v_cvt_f32_f16_e32 v25, v16
	v_cvt_f32_f16_e32 v26, v17
	s_waitcnt lgkmcnt(0)
	v_perm_b32 v17, v39, v38, s54
	v_perm_b32 v16, v33, v32, s54
	v_cvt_f32_f16_e32 v24, v0
	v_cvt_f32_f16_e32 v27, v27
	s_nop 1
	v_mfma_f32_16x16x16_f16 v[24:27], v[16:17], v[20:21], v[24:27]
	s_nop 7
	v_cvt_f16_f32_e32 v20, v24
	v_cvt_f16_f32_e32 v21, v25
	;; [unrolled: 1-line block ×4, first 2 shown]
	ds_read_u16 v16, v189 offset:13280
	ds_read_u16 v17, v189 offset:13552
	;; [unrolled: 1-line block ×4, first 2 shown]
	v_cvt_f32_f16_e32 v38, v20
	v_cvt_f32_f16_e32 v39, v21
	s_waitcnt lgkmcnt(2)
	v_perm_b32 v20, v17, v16, s54
	v_cvt_f32_f16_e32 v40, v24
	s_waitcnt lgkmcnt(0)
	v_perm_b32 v21, v27, v26, s54
	v_cvt_f32_f16_e32 v41, v25
	s_barrier
	s_nop 0
	v_mfma_f32_16x16x16_f16 v[16:19], v[20:21], v[18:19], v[38:41]
	s_nop 7
	v_cvt_f16_f32_e32 v0, v18
	v_cvt_f16_f32_e32 v18, v19
	v_perm_b32 v18, v18, v0, s54
	ds_bpermute_b32 v0, v30, v31
	s_waitcnt lgkmcnt(0)
	v_add_f32_e32 v0, v31, v0
	ds_bpermute_b32 v19, v23, v0
	s_waitcnt lgkmcnt(0)
	v_add_f32_e32 v23, v0, v19
	s_cbranch_vccnz .LBB25_258
; %bb.256:                              ;   in Loop: Header=BB25_13 Depth=1
	v_cvt_pk_f16_f32 v0, v2, v3
	v_cvt_pk_f16_f32 v3, v4, v5
	;; [unrolled: 1-line block ×3, first 2 shown]
	global_load_dword v7, v[96:97], off
	v_cvt_pk_f16_f32 v5, v8, v9
	v_max_f32_e32 v8, v22, v22
	v_cvt_pk_f16_f32 v6, v10, v11
	v_cvt_pk_f16_f32 v12, v12, v13
	v_cvt_pk_f16_f32 v13, v14, v15
	v_cvt_pk_f16_f32 v14, v16, v17
	s_waitcnt vmcnt(0)
	v_max_f32_e32 v2, v7, v7
	v_max_f32_e32 v2, v8, v2
	v_sub_f32_e32 v8, v22, v2
	v_mul_f32_e32 v9, 0x3fb8aa3b, v8
	v_fma_f32 v10, v8, s56, -v9
	v_rndne_f32_e32 v11, v9
	v_fmac_f32_e32 v10, 0x32a5705f, v8
	v_sub_f32_e32 v9, v9, v11
	v_add_f32_e32 v9, v9, v10
	v_exp_f32_e32 v9, v9
	v_cvt_i32_f32_e32 v10, v11
	v_cmp_ngt_f32_e32 vcc, s33, v8
	v_sub_f32_e32 v16, v7, v2
	v_ldexp_f32 v9, v9, v10
	v_cndmask_b32_e32 v9, 0, v9, vcc
	v_cmp_nlt_f32_e32 vcc, s69, v8
	s_nop 1
	v_cndmask_b32_e32 v9, v213, v9, vcc
	v_cmp_le_f32_e32 vcc, s38, v8
	s_nop 1
	v_cndmask_b32_e32 v15, 0, v9, vcc
	v_cvt_f16_f32_e32 v7, v15
	v_cmp_ngt_f32_e32 vcc, s33, v16
	v_mul_u32_u24_e32 v17, 0x10001, v7
	v_pk_mul_f16 v11, v0, v17
	v_mul_f32_e32 v0, 0x3fb8aa3b, v16
	v_pk_mul_f16 v10, v3, v17
	v_pk_mul_f16 v7, v6, v17
	;; [unrolled: 1-line block ×3, first 2 shown]
	v_fma_f32 v3, v16, s56, -v0
	v_rndne_f32_e32 v12, v0
	v_fmac_f32_e32 v3, 0x32a5705f, v16
	v_sub_f32_e32 v0, v0, v12
	v_add_f32_e32 v0, v0, v3
	v_exp_f32_e32 v0, v0
	v_cvt_i32_f32_e32 v3, v12
	v_pk_mul_f16 v1, v1, v17
	v_pk_mul_f16 v28, v28, v17
	;; [unrolled: 1-line block ×3, first 2 shown]
	v_ldexp_f32 v0, v0, v3
	v_cndmask_b32_e32 v0, 0, v0, vcc
	v_cmp_nlt_f32_e32 vcc, s69, v16
	v_pk_mul_f16 v29, v29, v17
	v_pk_mul_f16 v8, v5, v17
	v_cndmask_b32_e32 v3, v213, v0, vcc
	v_fmac_f32_e32 v3, v23, v15
	v_pk_mul_f16 v37, v37, v17
	v_pk_mul_f16 v36, v36, v17
	;; [unrolled: 1-line block ×7, first 2 shown]
	v_mov_b64_e32 v[22:23], v[2:3]
	s_branch .LBB25_259
.LBB25_257:                             ;   in Loop: Header=BB25_13 Depth=1
                                        ; implicit-def: $vgpr2_vgpr3_vgpr4_vgpr5
                                        ; implicit-def: $vgpr6_vgpr7_vgpr8_vgpr9
                                        ; implicit-def: $vgpr10_vgpr11_vgpr12_vgpr13
                                        ; implicit-def: $vgpr14_vgpr15_vgpr16_vgpr17
	s_branch .LBB25_254
.LBB25_258:                             ;   in Loop: Header=BB25_13 Depth=1
	v_cvt_f16_f32_e32 v0, v2
	v_cvt_f16_f32_e32 v2, v3
	;; [unrolled: 1-line block ×16, first 2 shown]
	v_perm_b32 v4, v10, v4, s54
	v_perm_b32 v5, v12, v5, s54
	;; [unrolled: 1-line block ×8, first 2 shown]
.LBB25_259:                             ;   in Loop: Header=BB25_13 Depth=1
	v_readlane_b32 s98, v255, 14
	v_readlane_b32 s99, v255, 15
	;; [unrolled: 1-line block ×3, first 2 shown]
	s_mov_b32 s97, 0xc1a00000
	v_readlane_b32 s95, v255, 17
	s_barrier
	s_mov_b64 s[2:3], exec
	v_readlane_b32 s38, v255, 8
	v_readlane_b32 s39, v255, 9
	s_and_b64 s[38:39], s[2:3], s[38:39]
	s_mov_b64 exec, s[38:39]
	s_cbranch_execz .LBB25_261
; %bb.260:                              ;   in Loop: Header=BB25_13 Depth=1
	scratch_load_dwordx2 v[2:3], off, off offset:16 ; 8-byte Folded Reload
	s_waitcnt vmcnt(0)
	global_store_dwordx2 v[2:3], v[22:23], off
.LBB25_261:                             ;   in Loop: Header=BB25_13 Depth=1
	s_or_b64 exec, exec, s[2:3]
	ds_write2_b32 v194, v11, v1 offset1:1
	ds_write2_b32 v194, v10, v28 offset0:8 offset1:9
	ds_write2_b32 v194, v9, v29 offset0:16 offset1:17
	;; [unrolled: 1-line block ×7, first 2 shown]
	v_mov_b32_e32 v1, 50
	s_waitcnt lgkmcnt(0)
	s_barrier
	s_mov_b64 s[2:3], exec
	v_readlane_b32 s38, v255, 18
	v_readlane_b32 s39, v255, 19
	s_and_b64 s[38:39], s[2:3], s[38:39]
	s_mov_b64 exec, s[38:39]
	s_cbranch_execz .LBB25_263
; %bb.262:                              ;   in Loop: Header=BB25_13 Depth=1
	v_add_u32_e32 v0, v206, v226
	ds_read_b32 v1, v0
	v_readlane_b32 s38, v255, 2
	s_waitcnt lgkmcnt(0)
	v_cvt_f32_f16_e32 v0, v1
	v_cvt_f32_f16_sdwa v1, v1 dst_sel:DWORD dst_unused:UNUSED_PAD src0_sel:WORD_1
	v_mad_u64_u32 v[2:3], s[38:39], s38, v214, v[50:51]
	v_ashrrev_i32_e32 v3, 31, v2
	v_lshl_add_u64 v[2:3], v[2:3], 3, v[94:95]
	v_pk_add_f32 v[0:1], v[0:1], 0 op_sel_hi:[1,0]
	global_store_dwordx2 v[2:3], v[0:1], off
	v_mov_b32_e32 v1, 0
.LBB25_263:                             ;   in Loop: Header=BB25_13 Depth=1
	s_or_b64 exec, exec, s[2:3]
	v_cmp_gt_i32_e32 vcc, 50, v1
	s_mov_b64 s[42:43], -1
	s_and_saveexec_b64 s[2:3], vcc
; %bb.264:                              ;   in Loop: Header=BB25_13 Depth=1
	v_cmp_eq_u32_e32 vcc, 0, v1
	s_orn2_b64 s[42:43], vcc, exec
; %bb.265:                              ;   in Loop: Header=BB25_13 Depth=1
	s_or_b64 exec, exec, s[2:3]
	s_mov_b64 s[38:39], 0
	s_mov_b64 s[2:3], 0
                                        ; implicit-def: $vgpr2_vgpr3
	s_and_saveexec_b64 s[40:41], s[42:43]
	s_cbranch_execz .LBB25_353
; %bb.266:                              ;   in Loop: Header=BB25_13 Depth=1
	v_mov_b32_e32 v1, 50
	s_mov_b64 s[2:3], exec
	v_readlane_b32 s42, v255, 20
	v_readlane_b32 s43, v255, 21
	s_and_b64 s[42:43], s[2:3], s[42:43]
	s_mov_b64 exec, s[42:43]
	s_cbranch_execz .LBB25_268
; %bb.267:                              ;   in Loop: Header=BB25_13 Depth=1
	v_add_u32_e32 v0, v206, v197
	ds_read_b32 v1, v0
	v_readlane_b32 s42, v255, 2
	s_waitcnt lgkmcnt(0)
	v_cvt_f32_f16_e32 v0, v1
	v_cvt_f32_f16_sdwa v1, v1 dst_sel:DWORD dst_unused:UNUSED_PAD src0_sel:WORD_1
	v_mad_u64_u32 v[2:3], s[42:43], s42, v80, v[50:51]
	v_ashrrev_i32_e32 v3, 31, v2
	v_lshl_add_u64 v[2:3], v[2:3], 3, v[94:95]
	v_pk_add_f32 v[0:1], v[0:1], 0 op_sel_hi:[1,0]
	global_store_dwordx2 v[2:3], v[0:1], off
	v_mov_b32_e32 v1, 0
.LBB25_268:                             ;   in Loop: Header=BB25_13 Depth=1
	s_or_b64 exec, exec, s[2:3]
	v_cmp_gt_i32_e32 vcc, 50, v1
	s_mov_b64 s[44:45], -1
	s_and_saveexec_b64 s[2:3], vcc
; %bb.269:                              ;   in Loop: Header=BB25_13 Depth=1
	v_cmp_eq_u32_e32 vcc, 0, v1
	s_orn2_b64 s[44:45], vcc, exec
; %bb.270:                              ;   in Loop: Header=BB25_13 Depth=1
	s_or_b64 exec, exec, s[2:3]
	s_mov_b64 s[42:43], 0
                                        ; implicit-def: $vgpr2_vgpr3
	s_and_saveexec_b64 s[2:3], s[44:45]
	s_cbranch_execz .LBB25_352
; %bb.271:                              ;   in Loop: Header=BB25_13 Depth=1
	v_mov_b32_e32 v1, 50
	s_mov_b64 s[42:43], exec
	v_readlane_b32 s44, v255, 22
	v_readlane_b32 s45, v255, 23
	s_and_b64 s[44:45], s[42:43], s[44:45]
	s_mov_b64 exec, s[44:45]
	s_cbranch_execz .LBB25_273
; %bb.272:                              ;   in Loop: Header=BB25_13 Depth=1
	v_add_u32_e32 v0, v206, v198
	ds_read_b32 v1, v0
	v_readlane_b32 s44, v255, 2
	s_waitcnt lgkmcnt(0)
	v_cvt_f32_f16_e32 v0, v1
	v_cvt_f32_f16_sdwa v1, v1 dst_sel:DWORD dst_unused:UNUSED_PAD src0_sel:WORD_1
	v_mad_u64_u32 v[2:3], s[44:45], s44, v212, v[50:51]
	v_ashrrev_i32_e32 v3, 31, v2
	v_lshl_add_u64 v[2:3], v[2:3], 3, v[94:95]
	v_pk_add_f32 v[0:1], v[0:1], 0 op_sel_hi:[1,0]
	global_store_dwordx2 v[2:3], v[0:1], off
	v_mov_b32_e32 v1, 0
.LBB25_273:                             ;   in Loop: Header=BB25_13 Depth=1
	s_or_b64 exec, exec, s[42:43]
	v_cmp_gt_i32_e32 vcc, 50, v1
	s_mov_b64 s[46:47], -1
	s_and_saveexec_b64 s[42:43], vcc
; %bb.274:                              ;   in Loop: Header=BB25_13 Depth=1
	v_cmp_eq_u32_e32 vcc, 0, v1
	s_orn2_b64 s[46:47], vcc, exec
; %bb.275:                              ;   in Loop: Header=BB25_13 Depth=1
	s_or_b64 exec, exec, s[42:43]
	;; [unrolled: 35-line block ×3, first 2 shown]
	s_mov_b64 s[46:47], 0
                                        ; implicit-def: $vgpr2_vgpr3
	s_and_saveexec_b64 s[44:45], s[50:51]
	s_cbranch_execz .LBB25_350
; %bb.281:                              ;   in Loop: Header=BB25_13 Depth=1
	v_mov_b32_e32 v1, 50
	s_mov_b64 s[46:47], exec
	v_readlane_b32 s50, v255, 26
	v_readlane_b32 s51, v255, 27
	s_and_b64 s[50:51], s[46:47], s[50:51]
	s_mov_b64 exec, s[50:51]
	s_cbranch_execz .LBB25_283
; %bb.282:                              ;   in Loop: Header=BB25_13 Depth=1
	scratch_load_dword v0, off, off offset:112 ; 4-byte Folded Reload
	v_readlane_b32 s50, v255, 2
	s_waitcnt vmcnt(0)
	ds_read_b32 v1, v0
	v_mad_u64_u32 v[2:3], s[50:51], s50, v209, v[50:51]
	v_ashrrev_i32_e32 v3, 31, v2
	v_lshl_add_u64 v[2:3], v[2:3], 3, v[94:95]
	s_waitcnt lgkmcnt(0)
	v_cvt_f32_f16_e32 v0, v1
	v_cvt_f32_f16_sdwa v1, v1 dst_sel:DWORD dst_unused:UNUSED_PAD src0_sel:WORD_1
	v_pk_add_f32 v[0:1], v[0:1], 0 op_sel_hi:[1,0]
	global_store_dwordx2 v[2:3], v[0:1], off
	v_mov_b32_e32 v1, 0
.LBB25_283:                             ;   in Loop: Header=BB25_13 Depth=1
	s_or_b64 exec, exec, s[46:47]
	v_cmp_gt_i32_e32 vcc, 50, v1
	s_mov_b64 s[72:73], -1
	s_and_saveexec_b64 s[46:47], vcc
; %bb.284:                              ;   in Loop: Header=BB25_13 Depth=1
	v_cmp_eq_u32_e32 vcc, 0, v1
	s_orn2_b64 s[72:73], vcc, exec
; %bb.285:                              ;   in Loop: Header=BB25_13 Depth=1
	s_or_b64 exec, exec, s[46:47]
	s_mov_b64 s[50:51], 0
                                        ; implicit-def: $vgpr2_vgpr3
	s_and_saveexec_b64 s[46:47], s[72:73]
	s_cbranch_execz .LBB25_349
; %bb.286:                              ;   in Loop: Header=BB25_13 Depth=1
	v_mov_b32_e32 v1, 50
	s_mov_b64 s[50:51], exec
	v_readlane_b32 s72, v255, 28
	v_readlane_b32 s73, v255, 29
	s_and_b64 s[72:73], s[50:51], s[72:73]
	s_mov_b64 exec, s[72:73]
	s_cbranch_execz .LBB25_288
; %bb.287:                              ;   in Loop: Header=BB25_13 Depth=1
	v_add_u32_e32 v0, v206, v199
	ds_read_b32 v1, v0 offset:2176
	v_readlane_b32 s72, v255, 2
	s_waitcnt lgkmcnt(0)
	v_cvt_f32_f16_e32 v0, v1
	v_cvt_f32_f16_sdwa v1, v1 dst_sel:DWORD dst_unused:UNUSED_PAD src0_sel:WORD_1
	v_mad_u64_u32 v[2:3], s[72:73], s72, v208, v[50:51]
	v_ashrrev_i32_e32 v3, 31, v2
	v_lshl_add_u64 v[2:3], v[2:3], 3, v[94:95]
	v_pk_add_f32 v[0:1], v[0:1], 0 op_sel_hi:[1,0]
	global_store_dwordx2 v[2:3], v[0:1], off
	v_mov_b32_e32 v1, 0
.LBB25_288:                             ;   in Loop: Header=BB25_13 Depth=1
	s_or_b64 exec, exec, s[50:51]
	v_cmp_gt_i32_e32 vcc, 50, v1
	s_mov_b64 s[74:75], -1
	s_and_saveexec_b64 s[50:51], vcc
; %bb.289:                              ;   in Loop: Header=BB25_13 Depth=1
	v_cmp_eq_u32_e32 vcc, 0, v1
	s_orn2_b64 s[74:75], vcc, exec
; %bb.290:                              ;   in Loop: Header=BB25_13 Depth=1
	s_or_b64 exec, exec, s[50:51]
	s_mov_b64 s[72:73], 0
                                        ; implicit-def: $vgpr2_vgpr3
	s_and_saveexec_b64 s[50:51], s[74:75]
	s_cbranch_execz .LBB25_348
; %bb.291:                              ;   in Loop: Header=BB25_13 Depth=1
	v_mov_b32_e32 v1, 50
	s_mov_b64 s[72:73], exec
	v_readlane_b32 s74, v255, 30
	v_readlane_b32 s75, v255, 31
	s_and_b64 s[74:75], s[72:73], s[74:75]
	s_mov_b64 exec, s[74:75]
	s_cbranch_execz .LBB25_293
; %bb.292:                              ;   in Loop: Header=BB25_13 Depth=1
	v_add_u32_e32 v0, v206, v199
	ds_read_b32 v1, v0 offset:3264
	v_readlane_b32 s74, v255, 2
	s_waitcnt lgkmcnt(0)
	v_cvt_f32_f16_e32 v0, v1
	v_cvt_f32_f16_sdwa v1, v1 dst_sel:DWORD dst_unused:UNUSED_PAD src0_sel:WORD_1
	v_mad_u64_u32 v[2:3], s[74:75], s74, v205, v[50:51]
	v_ashrrev_i32_e32 v3, 31, v2
	v_lshl_add_u64 v[2:3], v[2:3], 3, v[94:95]
	v_pk_add_f32 v[0:1], v[0:1], 0 op_sel_hi:[1,0]
	global_store_dwordx2 v[2:3], v[0:1], off
	v_mov_b32_e32 v1, 0
.LBB25_293:                             ;   in Loop: Header=BB25_13 Depth=1
	;; [unrolled: 35-line block ×3, first 2 shown]
	s_or_b64 exec, exec, s[74:75]
	v_cmp_gt_i32_e32 vcc, 50, v1
	s_mov_b64 s[78:79], -1
	s_and_saveexec_b64 s[74:75], vcc
; %bb.299:                              ;   in Loop: Header=BB25_13 Depth=1
	v_cmp_eq_u32_e32 vcc, 0, v1
	s_orn2_b64 s[78:79], vcc, exec
; %bb.300:                              ;   in Loop: Header=BB25_13 Depth=1
	s_or_b64 exec, exec, s[74:75]
	s_mov_b64 s[76:77], 0
                                        ; implicit-def: $vgpr2_vgpr3
	s_and_saveexec_b64 s[74:75], s[78:79]
	s_cbranch_execz .LBB25_346
; %bb.301:                              ;   in Loop: Header=BB25_13 Depth=1
	v_mov_b32_e32 v1, 50
	s_mov_b64 s[76:77], exec
	v_readlane_b32 s78, v255, 34
	v_readlane_b32 s79, v255, 35
	s_and_b64 s[78:79], s[76:77], s[78:79]
	s_mov_b64 exec, s[78:79]
	s_cbranch_execz .LBB25_303
; %bb.302:                              ;   in Loop: Header=BB25_13 Depth=1
	scratch_load_dword v0, off, off offset:136 ; 4-byte Folded Reload
	v_readlane_b32 s78, v255, 2
	s_waitcnt vmcnt(0)
	ds_read_b32 v1, v0
	v_mad_u64_u32 v[2:3], s[78:79], s78, v203, v[50:51]
	v_ashrrev_i32_e32 v3, 31, v2
	v_lshl_add_u64 v[2:3], v[2:3], 3, v[94:95]
	s_waitcnt lgkmcnt(0)
	v_cvt_f32_f16_e32 v0, v1
	v_cvt_f32_f16_sdwa v1, v1 dst_sel:DWORD dst_unused:UNUSED_PAD src0_sel:WORD_1
	v_pk_add_f32 v[0:1], v[0:1], 0 op_sel_hi:[1,0]
	global_store_dwordx2 v[2:3], v[0:1], off
	v_mov_b32_e32 v1, 0
.LBB25_303:                             ;   in Loop: Header=BB25_13 Depth=1
	s_or_b64 exec, exec, s[76:77]
	v_cmp_gt_i32_e32 vcc, 50, v1
	s_mov_b64 s[80:81], -1
	s_and_saveexec_b64 s[76:77], vcc
; %bb.304:                              ;   in Loop: Header=BB25_13 Depth=1
	v_cmp_eq_u32_e32 vcc, 0, v1
	s_orn2_b64 s[80:81], vcc, exec
; %bb.305:                              ;   in Loop: Header=BB25_13 Depth=1
	s_or_b64 exec, exec, s[76:77]
	s_mov_b64 s[78:79], 0
                                        ; implicit-def: $vgpr2_vgpr3
	s_and_saveexec_b64 s[76:77], s[80:81]
	s_cbranch_execz .LBB25_345
; %bb.306:                              ;   in Loop: Header=BB25_13 Depth=1
	v_mov_b32_e32 v1, 50
	s_mov_b64 s[78:79], exec
	v_readlane_b32 s80, v255, 36
	v_readlane_b32 s81, v255, 37
	s_and_b64 s[80:81], s[78:79], s[80:81]
	s_mov_b64 exec, s[80:81]
	s_cbranch_execz .LBB25_308
; %bb.307:                              ;   in Loop: Header=BB25_13 Depth=1
	v_add_u32_e32 v0, v206, v199
	ds_read_b32 v1, v0 offset:6528
	v_readlane_b32 s80, v255, 2
	s_waitcnt lgkmcnt(0)
	v_cvt_f32_f16_e32 v0, v1
	v_cvt_f32_f16_sdwa v1, v1 dst_sel:DWORD dst_unused:UNUSED_PAD src0_sel:WORD_1
	v_mad_u64_u32 v[2:3], s[80:81], s80, v159, v[50:51]
	v_ashrrev_i32_e32 v3, 31, v2
	v_lshl_add_u64 v[2:3], v[2:3], 3, v[94:95]
	v_pk_add_f32 v[0:1], v[0:1], 0 op_sel_hi:[1,0]
	global_store_dwordx2 v[2:3], v[0:1], off
	v_mov_b32_e32 v1, 0
.LBB25_308:                             ;   in Loop: Header=BB25_13 Depth=1
	s_or_b64 exec, exec, s[78:79]
	v_cmp_gt_i32_e32 vcc, 50, v1
	s_mov_b64 s[82:83], -1
	s_and_saveexec_b64 s[78:79], vcc
; %bb.309:                              ;   in Loop: Header=BB25_13 Depth=1
	v_cmp_eq_u32_e32 vcc, 0, v1
	s_orn2_b64 s[82:83], vcc, exec
; %bb.310:                              ;   in Loop: Header=BB25_13 Depth=1
	s_or_b64 exec, exec, s[78:79]
	s_mov_b64 s[80:81], 0
                                        ; implicit-def: $vgpr2_vgpr3
	s_and_saveexec_b64 s[78:79], s[82:83]
	s_cbranch_execz .LBB25_344
; %bb.311:                              ;   in Loop: Header=BB25_13 Depth=1
	v_mov_b32_e32 v1, 50
	s_mov_b64 s[80:81], exec
	v_readlane_b32 s82, v255, 38
	v_readlane_b32 s83, v255, 39
	s_and_b64 s[82:83], s[80:81], s[82:83]
	s_mov_b64 exec, s[82:83]
	s_cbranch_execz .LBB25_313
; %bb.312:                              ;   in Loop: Header=BB25_13 Depth=1
	v_add_u32_e32 v0, v206, v199
	ds_read_b32 v1, v0 offset:7616
	v_readlane_b32 s82, v255, 2
	s_waitcnt lgkmcnt(0)
	v_cvt_f32_f16_e32 v0, v1
	v_cvt_f32_f16_sdwa v1, v1 dst_sel:DWORD dst_unused:UNUSED_PAD src0_sel:WORD_1
	v_mad_u64_u32 v[2:3], s[82:83], s82, v79, v[50:51]
	v_ashrrev_i32_e32 v3, 31, v2
	v_lshl_add_u64 v[2:3], v[2:3], 3, v[94:95]
	v_pk_add_f32 v[0:1], v[0:1], 0 op_sel_hi:[1,0]
	global_store_dwordx2 v[2:3], v[0:1], off
	v_mov_b32_e32 v1, 0
.LBB25_313:                             ;   in Loop: Header=BB25_13 Depth=1
	s_or_b64 exec, exec, s[80:81]
	v_cmp_gt_i32_e32 vcc, 50, v1
	s_mov_b64 s[84:85], -1
	s_and_saveexec_b64 s[80:81], vcc
; %bb.314:                              ;   in Loop: Header=BB25_13 Depth=1
	v_cmp_eq_u32_e32 vcc, 0, v1
	s_orn2_b64 s[84:85], vcc, exec
; %bb.315:                              ;   in Loop: Header=BB25_13 Depth=1
	s_or_b64 exec, exec, s[80:81]
	s_mov_b64 s[82:83], 0
                                        ; implicit-def: $vgpr2_vgpr3
	s_and_saveexec_b64 s[80:81], s[84:85]
	s_cbranch_execz .LBB25_343
; %bb.316:                              ;   in Loop: Header=BB25_13 Depth=1
	v_mov_b32_e32 v1, 50
	s_mov_b64 s[82:83], exec
	v_readlane_b32 s84, v255, 40
	v_readlane_b32 s85, v255, 41
	s_and_b64 s[84:85], s[82:83], s[84:85]
	s_mov_b64 exec, s[84:85]
	s_cbranch_execz .LBB25_318
; %bb.317:                              ;   in Loop: Header=BB25_13 Depth=1
	v_add_u32_e32 v0, v206, v199
	ds_read_b32 v1, v0 offset:8704
	v_readlane_b32 s84, v255, 2
	s_waitcnt lgkmcnt(0)
	v_cvt_f32_f16_e32 v0, v1
	v_cvt_f32_f16_sdwa v1, v1 dst_sel:DWORD dst_unused:UNUSED_PAD src0_sel:WORD_1
	v_mad_u64_u32 v[2:3], s[84:85], s84, v78, v[50:51]
	v_ashrrev_i32_e32 v3, 31, v2
	v_lshl_add_u64 v[2:3], v[2:3], 3, v[94:95]
	v_pk_add_f32 v[0:1], v[0:1], 0 op_sel_hi:[1,0]
	global_store_dwordx2 v[2:3], v[0:1], off
	v_mov_b32_e32 v1, 0
.LBB25_318:                             ;   in Loop: Header=BB25_13 Depth=1
	s_or_b64 exec, exec, s[82:83]
	v_cmp_gt_i32_e32 vcc, 50, v1
	s_mov_b64 s[86:87], -1
	s_and_saveexec_b64 s[82:83], vcc
; %bb.319:                              ;   in Loop: Header=BB25_13 Depth=1
	v_cmp_eq_u32_e32 vcc, 0, v1
	s_orn2_b64 s[86:87], vcc, exec
; %bb.320:                              ;   in Loop: Header=BB25_13 Depth=1
	s_or_b64 exec, exec, s[82:83]
	s_mov_b64 s[84:85], 0
                                        ; implicit-def: $vgpr2_vgpr3
	s_and_saveexec_b64 s[82:83], s[86:87]
	s_cbranch_execz .LBB25_342
; %bb.321:                              ;   in Loop: Header=BB25_13 Depth=1
	v_mov_b32_e32 v1, 50
	s_mov_b64 s[84:85], exec
	v_readlane_b32 s86, v255, 42
	v_readlane_b32 s87, v255, 43
	s_and_b64 s[86:87], s[84:85], s[86:87]
	s_mov_b64 exec, s[86:87]
	s_cbranch_execz .LBB25_323
; %bb.322:                              ;   in Loop: Header=BB25_13 Depth=1
	scratch_load_dword v0, off, off offset:160 ; 4-byte Folded Reload
	v_readlane_b32 s86, v255, 2
	s_waitcnt vmcnt(0)
	ds_read_b32 v1, v0
	v_mad_u64_u32 v[2:3], s[86:87], s86, v158, v[50:51]
	v_ashrrev_i32_e32 v3, 31, v2
	v_lshl_add_u64 v[2:3], v[2:3], 3, v[94:95]
	s_waitcnt lgkmcnt(0)
	v_cvt_f32_f16_e32 v0, v1
	v_cvt_f32_f16_sdwa v1, v1 dst_sel:DWORD dst_unused:UNUSED_PAD src0_sel:WORD_1
	v_pk_add_f32 v[0:1], v[0:1], 0 op_sel_hi:[1,0]
	global_store_dwordx2 v[2:3], v[0:1], off
	v_mov_b32_e32 v1, 0
.LBB25_323:                             ;   in Loop: Header=BB25_13 Depth=1
	s_or_b64 exec, exec, s[84:85]
	v_cmp_gt_i32_e32 vcc, 50, v1
	s_mov_b64 s[88:89], -1
	s_and_saveexec_b64 s[84:85], vcc
; %bb.324:                              ;   in Loop: Header=BB25_13 Depth=1
	v_cmp_eq_u32_e32 vcc, 0, v1
	s_orn2_b64 s[88:89], vcc, exec
; %bb.325:                              ;   in Loop: Header=BB25_13 Depth=1
	s_or_b64 exec, exec, s[84:85]
	s_mov_b64 s[86:87], 0
                                        ; implicit-def: $vgpr2_vgpr3
	s_and_saveexec_b64 s[84:85], s[88:89]
	s_cbranch_execz .LBB25_341
; %bb.326:                              ;   in Loop: Header=BB25_13 Depth=1
	v_mov_b32_e32 v1, 50
	s_mov_b64 s[86:87], exec
	v_readlane_b32 s88, v255, 44
	v_readlane_b32 s89, v255, 45
	s_and_b64 s[88:89], s[86:87], s[88:89]
	s_mov_b64 exec, s[88:89]
	s_cbranch_execz .LBB25_328
; %bb.327:                              ;   in Loop: Header=BB25_13 Depth=1
	v_add_u32_e32 v0, v206, v199
	ds_read_b32 v1, v0 offset:10880
	v_readlane_b32 s88, v255, 2
	s_waitcnt lgkmcnt(0)
	v_cvt_f32_f16_e32 v0, v1
	v_cvt_f32_f16_sdwa v1, v1 dst_sel:DWORD dst_unused:UNUSED_PAD src0_sel:WORD_1
	v_mad_u64_u32 v[2:3], s[88:89], s88, v157, v[50:51]
	v_ashrrev_i32_e32 v3, 31, v2
	v_lshl_add_u64 v[2:3], v[2:3], 3, v[94:95]
	v_pk_add_f32 v[0:1], v[0:1], 0 op_sel_hi:[1,0]
	global_store_dwordx2 v[2:3], v[0:1], off
	v_mov_b32_e32 v1, 0
.LBB25_328:                             ;   in Loop: Header=BB25_13 Depth=1
	s_or_b64 exec, exec, s[86:87]
	v_cmp_gt_i32_e32 vcc, 50, v1
	s_mov_b64 s[90:91], -1
	s_and_saveexec_b64 s[86:87], vcc
; %bb.329:                              ;   in Loop: Header=BB25_13 Depth=1
	v_cmp_eq_u32_e32 vcc, 0, v1
	s_orn2_b64 s[90:91], vcc, exec
; %bb.330:                              ;   in Loop: Header=BB25_13 Depth=1
	s_or_b64 exec, exec, s[86:87]
	s_mov_b64 s[88:89], 0
                                        ; implicit-def: $vgpr2_vgpr3
	s_and_saveexec_b64 s[86:87], s[90:91]
	s_cbranch_execz .LBB25_340
; %bb.331:                              ;   in Loop: Header=BB25_13 Depth=1
	v_mov_b32_e32 v1, 50
	s_mov_b64 s[88:89], exec
	v_readlane_b32 s90, v255, 46
	v_readlane_b32 s91, v255, 47
	s_and_b64 s[90:91], s[88:89], s[90:91]
	s_mov_b64 exec, s[90:91]
	s_cbranch_execz .LBB25_333
; %bb.332:                              ;   in Loop: Header=BB25_13 Depth=1
	v_add_u32_e32 v0, v206, v199
	ds_read_b32 v1, v0 offset:11968
	v_readlane_b32 s90, v255, 2
	s_waitcnt lgkmcnt(0)
	v_cvt_f32_f16_e32 v0, v1
	v_cvt_f32_f16_sdwa v1, v1 dst_sel:DWORD dst_unused:UNUSED_PAD src0_sel:WORD_1
	v_mad_u64_u32 v[2:3], s[90:91], s90, v51, v[50:51]
	v_ashrrev_i32_e32 v3, 31, v2
	v_lshl_add_u64 v[2:3], v[2:3], 3, v[94:95]
	v_pk_add_f32 v[0:1], v[0:1], 0 op_sel_hi:[1,0]
	global_store_dwordx2 v[2:3], v[0:1], off
	v_mov_b32_e32 v1, 0
.LBB25_333:                             ;   in Loop: Header=BB25_13 Depth=1
	s_or_b64 exec, exec, s[88:89]
	v_cmp_gt_i32_e32 vcc, 50, v1
	s_mov_b64 s[92:93], -1
	s_and_saveexec_b64 s[88:89], vcc
; %bb.334:                              ;   in Loop: Header=BB25_13 Depth=1
	v_cmp_eq_u32_e32 vcc, 0, v1
	s_orn2_b64 s[92:93], vcc, exec
; %bb.335:                              ;   in Loop: Header=BB25_13 Depth=1
	s_or_b64 exec, exec, s[88:89]
	s_mov_b64 s[90:91], 0
                                        ; implicit-def: $vgpr2_vgpr3
	s_and_saveexec_b64 s[88:89], s[92:93]
	s_cbranch_execz .LBB25_339
; %bb.336:                              ;   in Loop: Header=BB25_13 Depth=1
                                        ; implicit-def: $vgpr2_vgpr3
	s_mov_b64 s[92:93], exec
	v_readlane_b32 s94, v255, 48
	v_readlane_b32 s95, v255, 49
	s_and_b64 s[94:95], s[92:93], s[94:95]
	s_xor_b64 s[92:93], s[94:95], s[92:93]
	s_mov_b64 exec, s[94:95]
	s_cbranch_execz .LBB25_338
; %bb.337:                              ;   in Loop: Header=BB25_13 Depth=1
	v_add_u32_e32 v0, v206, v199
	ds_read_b32 v1, v0 offset:13056
	s_mov_b64 s[90:91], exec
	s_waitcnt lgkmcnt(0)
	v_cvt_f32_f16_e32 v0, v1
	v_cvt_f32_f16_sdwa v1, v1 dst_sel:DWORD dst_unused:UNUSED_PAD src0_sel:WORD_1
	v_pk_add_f32 v[2:3], v[0:1], 0 op_sel_hi:[1,0]
.LBB25_338:                             ;   in Loop: Header=BB25_13 Depth=1
	s_or_b64 exec, exec, s[92:93]
	s_and_b64 s[90:91], s[90:91], exec
	v_readlane_b32 s94, v255, 16
	v_readlane_b32 s95, v255, 17
.LBB25_339:                             ;   in Loop: Header=BB25_13 Depth=1
	s_or_b64 exec, exec, s[88:89]
	s_and_b64 s[88:89], s[90:91], exec
.LBB25_340:                             ;   in Loop: Header=BB25_13 Depth=1
	s_or_b64 exec, exec, s[86:87]
	s_and_b64 s[86:87], s[88:89], exec
.LBB25_341:                             ;   in Loop: Header=BB25_13 Depth=1
	s_or_b64 exec, exec, s[84:85]
	s_and_b64 s[84:85], s[86:87], exec
.LBB25_342:                             ;   in Loop: Header=BB25_13 Depth=1
	s_or_b64 exec, exec, s[82:83]
	s_and_b64 s[82:83], s[84:85], exec
.LBB25_343:                             ;   in Loop: Header=BB25_13 Depth=1
	s_or_b64 exec, exec, s[80:81]
	s_and_b64 s[80:81], s[82:83], exec
.LBB25_344:                             ;   in Loop: Header=BB25_13 Depth=1
	s_or_b64 exec, exec, s[78:79]
	s_and_b64 s[78:79], s[80:81], exec
.LBB25_345:                             ;   in Loop: Header=BB25_13 Depth=1
	s_or_b64 exec, exec, s[76:77]
	s_and_b64 s[76:77], s[78:79], exec
.LBB25_346:                             ;   in Loop: Header=BB25_13 Depth=1
	s_or_b64 exec, exec, s[74:75]
	s_and_b64 s[74:75], s[76:77], exec
.LBB25_347:                             ;   in Loop: Header=BB25_13 Depth=1
	s_or_b64 exec, exec, s[72:73]
	s_and_b64 s[72:73], s[74:75], exec
.LBB25_348:                             ;   in Loop: Header=BB25_13 Depth=1
	s_or_b64 exec, exec, s[50:51]
	s_and_b64 s[50:51], s[72:73], exec
.LBB25_349:                             ;   in Loop: Header=BB25_13 Depth=1
	s_or_b64 exec, exec, s[46:47]
	s_and_b64 s[46:47], s[50:51], exec
.LBB25_350:                             ;   in Loop: Header=BB25_13 Depth=1
	s_or_b64 exec, exec, s[44:45]
	s_and_b64 s[44:45], s[46:47], exec
.LBB25_351:                             ;   in Loop: Header=BB25_13 Depth=1
	s_or_b64 exec, exec, s[42:43]
	s_and_b64 s[42:43], s[44:45], exec
.LBB25_352:                             ;   in Loop: Header=BB25_13 Depth=1
	s_or_b64 exec, exec, s[2:3]
	s_and_b64 s[2:3], s[42:43], exec
.LBB25_353:                             ;   in Loop: Header=BB25_13 Depth=1
	s_or_b64 exec, exec, s[40:41]
	s_and_b64 vcc, exec, s[38:39]
	s_cbranch_vccz .LBB25_685
.LBB25_354:                             ;   in Loop: Header=BB25_13 Depth=1
	v_cmp_gt_i32_e64 s[38:39], s68, v214
	v_cmp_le_i32_e32 vcc, s68, v214
	s_nop 0
	v_writelane_b32 v255, s38, 18
	s_nop 1
	v_writelane_b32 v255, s39, 19
	s_and_saveexec_b64 s[38:39], vcc
	s_xor_b64 s[38:39], exec, s[38:39]
; %bb.355:                              ;   in Loop: Header=BB25_13 Depth=1
	v_add_u32_e32 v0, v206, v226
	ds_write_b32 v0, v53
; %bb.356:                              ;   in Loop: Header=BB25_13 Depth=1
	s_andn2_saveexec_b64 s[38:39], s[38:39]
	s_cbranch_execz .LBB25_358
; %bb.357:                              ;   in Loop: Header=BB25_13 Depth=1
	v_mad_u64_u32 v[2:3], s[40:41], v214, s66, v[50:51]
	v_ashrrev_i32_e32 v3, 31, v2
	v_lshl_add_u64 v[2:3], v[2:3], 3, v[114:115]
	global_load_dwordx2 v[2:3], v[2:3], off
	v_add_u32_e32 v1, v206, v226
	s_waitcnt vmcnt(0)
	v_cvt_pk_f16_f32 v0, v2, v3
	v_pk_mul_f16 v0, v0, v241
	ds_write_b32 v1, v0
.LBB25_358:                             ;   in Loop: Header=BB25_13 Depth=1
	s_or_b64 exec, exec, s[38:39]
	v_add_u32_e32 v82, v117, v156
	v_cmp_gt_i32_e64 s[38:39], s68, v82
	v_cmp_le_i32_e32 vcc, s68, v82
	s_nop 0
	v_writelane_b32 v255, s38, 20
	s_nop 1
	v_writelane_b32 v255, s39, 21
	s_and_saveexec_b64 s[38:39], vcc
	s_xor_b64 s[38:39], exec, s[38:39]
; %bb.359:                              ;   in Loop: Header=BB25_13 Depth=1
	v_add_u32_e32 v0, v206, v197
	ds_write_b32 v0, v53
; %bb.360:                              ;   in Loop: Header=BB25_13 Depth=1
	s_andn2_saveexec_b64 s[38:39], s[38:39]
	s_cbranch_execz .LBB25_362
; %bb.361:                              ;   in Loop: Header=BB25_13 Depth=1
	v_mad_u64_u32 v[2:3], s[40:41], v82, s66, v[50:51]
	v_ashrrev_i32_e32 v3, 31, v2
	v_lshl_add_u64 v[2:3], v[2:3], 3, v[114:115]
	global_load_dwordx2 v[2:3], v[2:3], off
	v_add_u32_e32 v1, v206, v197
	s_waitcnt vmcnt(0)
	v_cvt_pk_f16_f32 v0, v2, v3
	v_pk_mul_f16 v0, v0, v241
	ds_write_b32 v1, v0
.LBB25_362:                             ;   in Loop: Header=BB25_13 Depth=1
	s_or_b64 exec, exec, s[38:39]
	v_add_u32_e32 v81, v116, v156
	;; [unrolled: 27-line block ×7, first 2 shown]
	v_cmp_gt_i32_e64 s[38:39], s68, v208
	v_cmp_le_i32_e32 vcc, s68, v208
	s_nop 0
	v_writelane_b32 v255, s38, 32
	s_nop 1
	v_writelane_b32 v255, s39, 33
	s_and_saveexec_b64 s[38:39], vcc
	s_xor_b64 s[38:39], exec, s[38:39]
; %bb.383:                              ;   in Loop: Header=BB25_13 Depth=1
	v_add_u32_e32 v0, v206, v202
	ds_write_b32 v0, v53 offset:1088
; %bb.384:                              ;   in Loop: Header=BB25_13 Depth=1
	s_andn2_saveexec_b64 s[38:39], s[38:39]
	s_cbranch_execz .LBB25_386
; %bb.385:                              ;   in Loop: Header=BB25_13 Depth=1
	v_mad_u64_u32 v[2:3], s[40:41], v208, s66, v[50:51]
	v_ashrrev_i32_e32 v3, 31, v2
	v_lshl_add_u64 v[2:3], v[2:3], 3, v[114:115]
	global_load_dwordx2 v[2:3], v[2:3], off
	v_add_u32_e32 v1, v206, v202
	s_waitcnt vmcnt(0)
	v_cvt_pk_f16_f32 v0, v2, v3
	v_pk_mul_f16 v0, v0, v241
	ds_write_b32 v1, v0 offset:1088
.LBB25_386:                             ;   in Loop: Header=BB25_13 Depth=1
	s_or_b64 exec, exec, s[38:39]
	v_add_u32_e32 v210, v167, v156
	v_cmp_gt_i32_e64 s[38:39], s68, v210
	v_cmp_le_i32_e32 vcc, s68, v210
	s_nop 0
	v_writelane_b32 v255, s38, 34
	s_nop 1
	v_writelane_b32 v255, s39, 35
	s_and_saveexec_b64 s[38:39], vcc
	s_xor_b64 s[38:39], exec, s[38:39]
; %bb.387:                              ;   in Loop: Header=BB25_13 Depth=1
	v_add_u32_e32 v0, v206, v202
	ds_write_b32 v0, v53 offset:2176
; %bb.388:                              ;   in Loop: Header=BB25_13 Depth=1
	s_andn2_saveexec_b64 s[38:39], s[38:39]
	s_cbranch_execz .LBB25_390
; %bb.389:                              ;   in Loop: Header=BB25_13 Depth=1
	v_mad_u64_u32 v[2:3], s[40:41], v210, s66, v[50:51]
	v_ashrrev_i32_e32 v3, 31, v2
	v_lshl_add_u64 v[2:3], v[2:3], 3, v[114:115]
	global_load_dwordx2 v[2:3], v[2:3], off
	v_add_u32_e32 v1, v206, v202
	s_waitcnt vmcnt(0)
	v_cvt_pk_f16_f32 v0, v2, v3
	v_pk_mul_f16 v0, v0, v241
	ds_write_b32 v1, v0 offset:2176
.LBB25_390:                             ;   in Loop: Header=BB25_13 Depth=1
	s_or_b64 exec, exec, s[38:39]
	v_add_u32_e32 v51, v166, v156
	;; [unrolled: 27-line block ×8, first 2 shown]
	v_cmp_gt_i32_e64 s[38:39], s68, v211
	v_cmp_le_i32_e32 vcc, s68, v211
	s_nop 0
	v_writelane_b32 v255, s38, 48
	s_nop 1
	v_writelane_b32 v255, s39, 49
	s_and_saveexec_b64 s[38:39], vcc
	s_xor_b64 s[38:39], exec, s[38:39]
; %bb.415:                              ;   in Loop: Header=BB25_13 Depth=1
	v_add_u32_e32 v0, v206, v202
	ds_write_b32 v0, v53 offset:9792
                                        ; implicit-def: $vgpr114_vgpr115
; %bb.416:                              ;   in Loop: Header=BB25_13 Depth=1
	s_andn2_saveexec_b64 s[38:39], s[38:39]
	s_cbranch_execz .LBB25_418
; %bb.417:                              ;   in Loop: Header=BB25_13 Depth=1
	v_mad_u64_u32 v[2:3], s[40:41], v211, s66, v[50:51]
	v_ashrrev_i32_e32 v3, 31, v2
	v_lshl_add_u64 v[2:3], v[2:3], 3, v[114:115]
	global_load_dwordx2 v[2:3], v[2:3], off
	v_add_u32_e32 v1, v206, v202
	s_waitcnt vmcnt(0)
	v_cvt_pk_f16_f32 v0, v2, v3
	v_pk_mul_f16 v0, v0, v241
	ds_write_b32 v1, v0 offset:9792
.LBB25_418:                             ;   in Loop: Header=BB25_13 Depth=1
	s_or_b64 exec, exec, s[38:39]
	s_waitcnt lgkmcnt(0)
	s_barrier
	ds_read2_b64 v[14:17], v57 offset1:4
	ds_read2_b64 v[10:13], v57 offset0:8 offset1:12
	ds_read2_b64 v[6:9], v57 offset0:16 offset1:20
	;; [unrolled: 1-line block ×3, first 2 shown]
	s_cmp_lt_i32 s55, 2
	v_cmp_ne_u64_e64 s[72:73], 0, v[102:103]
	s_waitcnt lgkmcnt(0)
	s_barrier
	s_cbranch_scc1 .LBB25_499
; %bb.419:                              ;   in Loop: Header=BB25_13 Depth=1
	v_mul_hi_u32 v0, s58, v214
	v_mul_hi_u32 v1, s58, v82
	v_add_u32_e32 v0, v214, v0
	v_add_u32_e32 v1, v82, v1
	v_lshrrev_b32_e32 v0, s59, v0
	v_lshrrev_b32_e32 v1, s59, v1
	v_mul_lo_u32 v0, v0, s68
	v_mul_lo_u32 v1, v1, s68
	v_readlane_b32 s38, v255, 10
	v_sub_u32_e32 v0, v214, v0
	v_sub_u32_e32 v1, v82, v1
	v_readlane_b32 s39, v255, 11
	s_mov_b32 s42, s38
	v_mad_i64_i32 v[116:117], s[38:39], s42, v0, v[102:103]
	v_mad_i64_i32 v[118:119], s[38:39], s42, v1, v[102:103]
	scratch_load_dwordx2 v[0:1], off, off offset:32 ; 8-byte Folded Reload
	v_mul_hi_u32 v18, s58, v81
	v_mul_hi_u32 v19, s58, v80
	v_add_u32_e32 v18, v81, v18
	v_add_u32_e32 v19, v80, v19
	v_lshrrev_b32_e32 v18, s59, v18
	v_lshrrev_b32_e32 v19, s59, v19
	v_mul_lo_u32 v18, v18, s68
	v_mul_lo_u32 v19, v19, s68
	v_sub_u32_e32 v18, v81, v18
	v_sub_u32_e32 v19, v80, v19
	v_mad_i64_i32 v[120:121], s[38:39], s42, v18, v[102:103]
	v_mad_i64_i32 v[122:123], s[38:39], s42, v19, v[102:103]
	v_lshl_add_u64 v[18:19], v[106:107], 0, v[108:109]
	v_and_b32_e32 v32, 64, v240
	v_add_u32_e32 v32, 64, v32
	v_xor_b32_e32 v33, 32, v240
	v_mul_hi_u32 v20, s58, v79
	v_mul_hi_u32 v21, s58, v78
	;; [unrolled: 1-line block ×12, first 2 shown]
	v_cmp_lt_i32_e32 vcc, v33, v32
	v_add_u32_e32 v20, v79, v20
	v_add_u32_e32 v21, v78, v21
	;; [unrolled: 1-line block ×12, first 2 shown]
	v_cndmask_b32_e32 v33, v240, v33, vcc
	v_lshrrev_b32_e32 v20, s59, v20
	v_lshrrev_b32_e32 v21, s59, v21
	;; [unrolled: 1-line block ×12, first 2 shown]
	v_lshlrev_b32_e32 v52, 2, v33
	v_xor_b32_e32 v33, 16, v240
	v_mul_lo_u32 v20, v20, s68
	v_mul_lo_u32 v21, v21, s68
	;; [unrolled: 1-line block ×12, first 2 shown]
	v_cmp_lt_i32_e32 vcc, v33, v32
	s_add_i32 s40, s55, -1
	v_sub_u32_e32 v20, v79, v20
	v_sub_u32_e32 v21, v78, v21
	;; [unrolled: 1-line block ×7, first 2 shown]
	s_waitcnt vmcnt(0)
	v_lshl_add_u64 v[106:107], v[0:1], 0, v[18:19]
	scratch_load_dwordx2 v[0:1], off, off offset:40 ; 8-byte Folded Reload
	v_sub_u32_e32 v27, v209, v27
	v_sub_u32_e32 v28, v203, v28
	;; [unrolled: 1-line block ×5, first 2 shown]
	v_cndmask_b32_e32 v32, v240, v33, vcc
	v_lshlrev_b32_e32 v84, 2, v32
	v_mov_b32_e32 v114, v100
	v_mov_b32_e32 v115, v100
	v_mad_i64_i32 v[124:125], s[38:39], s42, v20, v[102:103]
	v_mad_i64_i32 v[126:127], s[38:39], s42, v21, v[102:103]
	;; [unrolled: 1-line block ×12, first 2 shown]
	v_mov_b32_e32 v85, 0
	v_mov_b32_e32 v83, 0xfeffffff
	;; [unrolled: 1-line block ×3, first 2 shown]
	s_mov_b32 s41, s40
	v_mov_b32_e32 v76, 0
	v_mov_b32_e32 v86, 0
	;; [unrolled: 1-line block ×15, first 2 shown]
	s_waitcnt vmcnt(0)
	v_lshl_add_u64 v[108:109], v[0:1], 0, v[18:19]
	scratch_load_dwordx2 v[0:1], off, off offset:48 ; 8-byte Folded Reload
	s_waitcnt vmcnt(0)
	v_lshl_add_u64 v[148:149], v[0:1], 0, v[18:19]
	scratch_load_dwordx2 v[0:1], off, off offset:56 ; 8-byte Folded Reload
	;; [unrolled: 3-line block ×3, first 2 shown]
	v_lshl_add_u64 v[18:19], v[110:111], 0, v[112:113]
	s_waitcnt vmcnt(0)
	v_lshl_add_u64 v[110:111], v[0:1], 0, v[18:19]
	scratch_load_dwordx2 v[0:1], off, off offset:72 ; 8-byte Folded Reload
	s_waitcnt vmcnt(0)
	v_lshl_add_u64 v[112:113], v[0:1], 0, v[18:19]
	scratch_load_dwordx2 v[0:1], off, off offset:80 ; 8-byte Folded Reload
	;; [unrolled: 3-line block ×3, first 2 shown]
	s_waitcnt vmcnt(0)
	v_lshl_add_u64 v[154:155], v[0:1], 0, v[18:19]
	s_andn2_b64 vcc, exec, s[72:73]
	s_cbranch_vccnz .LBB25_429
.LBB25_420:                             ;   in Loop: Header=BB25_13 Depth=1
	s_and_saveexec_b64 s[38:39], s[48:49]
	s_xor_b64 s[38:39], exec, s[38:39]
	s_cbranch_execz .LBB25_422
; %bb.421:                              ;   in Loop: Header=BB25_13 Depth=1
	ds_write_b16 v176, v53 offset:17408
	ds_write_b16 v242, v53 offset:17408
	;; [unrolled: 1-line block ×4, first 2 shown]
.LBB25_422:                             ;   in Loop: Header=BB25_13 Depth=1
	s_or_saveexec_b64 s[38:39], s[38:39]
	v_mov_b32_e32 v1, 0
	v_mov_b32_e32 v18, 0
	;; [unrolled: 1-line block ×4, first 2 shown]
	s_xor_b64 exec, exec, s[38:39]
	s_cbranch_execz .LBB25_424
; %bb.423:                              ;   in Loop: Header=BB25_13 Depth=1
	v_lshl_add_u64 v[18:19], v[116:117], 0, v[54:55]
	global_load_ushort v0, v[18:19], off
	v_lshl_add_u64 v[18:19], v[118:119], 0, v[54:55]
	global_load_ushort v1, v[18:19], off
	;; [unrolled: 2-line block ×4, first 2 shown]
	s_waitcnt vmcnt(3)
	ds_write_b16 v176, v0 offset:17408
	s_waitcnt vmcnt(2)
	ds_write_b16 v242, v1 offset:17408
	;; [unrolled: 2-line block ×4, first 2 shown]
	v_lshl_add_u64 v[18:19], v[124:125], 0, v[54:55]
	global_load_ushort v1, v[18:19], off
	v_lshl_add_u64 v[18:19], v[126:127], 0, v[54:55]
	v_lshl_add_u64 v[20:21], v[128:129], 0, v[54:55]
	global_load_ushort v18, v[18:19], off
	s_nop 0
	global_load_ushort v19, v[20:21], off
	v_lshl_add_u64 v[20:21], v[130:131], 0, v[54:55]
	global_load_ushort v20, v[20:21], off
.LBB25_424:                             ;   in Loop: Header=BB25_13 Depth=1
	s_or_b64 exec, exec, s[38:39]
	s_waitcnt vmcnt(3)
	ds_write_b16 v245, v1 offset:17408
	s_waitcnt vmcnt(2)
	ds_write_b16 v246, v18 offset:17408
	;; [unrolled: 2-line block ×4, first 2 shown]
	s_and_saveexec_b64 s[38:39], s[48:49]
	s_xor_b64 s[38:39], exec, s[38:39]
	s_cbranch_execz .LBB25_426
; %bb.425:                              ;   in Loop: Header=BB25_13 Depth=1
	ds_write_b16 v249, v53 offset:17408
	ds_write_b16 v250, v53 offset:17408
	;; [unrolled: 1-line block ×4, first 2 shown]
.LBB25_426:                             ;   in Loop: Header=BB25_13 Depth=1
	s_or_saveexec_b64 s[38:39], s[38:39]
	v_mov_b32_e32 v1, 0
	v_mov_b32_e32 v18, 0
	;; [unrolled: 1-line block ×4, first 2 shown]
	s_xor_b64 exec, exec, s[38:39]
	s_cbranch_execz .LBB25_428
; %bb.427:                              ;   in Loop: Header=BB25_13 Depth=1
	v_lshl_add_u64 v[18:19], v[132:133], 0, v[54:55]
	global_load_ushort v0, v[18:19], off
	v_lshl_add_u64 v[18:19], v[134:135], 0, v[54:55]
	global_load_ushort v1, v[18:19], off
	;; [unrolled: 2-line block ×4, first 2 shown]
	s_waitcnt vmcnt(3)
	ds_write_b16 v249, v0 offset:17408
	s_waitcnt vmcnt(2)
	ds_write_b16 v250, v1 offset:17408
	;; [unrolled: 2-line block ×4, first 2 shown]
	v_lshl_add_u64 v[18:19], v[140:141], 0, v[54:55]
	global_load_ushort v1, v[18:19], off
	v_lshl_add_u64 v[18:19], v[142:143], 0, v[54:55]
	v_lshl_add_u64 v[20:21], v[144:145], 0, v[54:55]
	global_load_ushort v18, v[18:19], off
	s_nop 0
	global_load_ushort v19, v[20:21], off
	v_lshl_add_u64 v[20:21], v[146:147], 0, v[54:55]
	global_load_ushort v20, v[20:21], off
.LBB25_428:                             ;   in Loop: Header=BB25_13 Depth=1
	s_or_b64 exec, exec, s[38:39]
	s_waitcnt vmcnt(3)
	ds_write_b16 v253, v1 offset:17408
	s_waitcnt vmcnt(2)
	ds_write_b16 v234, v18 offset:17408
	;; [unrolled: 2-line block ×4, first 2 shown]
.LBB25_429:                             ;   Parent Loop BB25_13 Depth=1
                                        ; =>  This Inner Loop Header: Depth=2
	v_mov_b32_e32 v0, s57
	v_lshl_add_u64 v[20:21], v[112:113], 0, v[74:75]
	v_lshl_add_u64 v[18:19], v[110:111], 0, v[74:75]
	v_cndmask_b32_e64 v23, v0, v21, s[6:7]
	v_cndmask_b32_e64 v22, v236, v20, s[6:7]
	v_lshl_add_u64 v[20:21], v[152:153], 0, v[74:75]
	v_cndmask_b32_e64 v19, v0, v19, s[4:5]
	v_cndmask_b32_e64 v18, v236, v18, s[4:5]
	;; [unrolled: 1-line block ×4, first 2 shown]
	v_lshl_add_u64 v[20:21], v[154:155], 0, v[74:75]
	scratch_store_dwordx4 off, v[228:231], off
	v_cndmask_b32_e64 v27, v0, v21, s[10:11]
	v_cndmask_b32_e64 v26, v236, v20, s[10:11]
	flat_load_dwordx4 v[18:21], v[18:19]
	v_add_u32_e32 v0, 0x1000, v179
                                        ; implicit-def: $vgpr1
	s_waitcnt vmcnt(0) lgkmcnt(0)
	ds_write_b128 v178, v[18:21]
	flat_load_dwordx4 v[18:21], v[22:23]
	s_waitcnt vmcnt(0) lgkmcnt(0)
	ds_write_b128 v233, v[18:21]
	flat_load_dwordx4 v[18:21], v[24:25]
	;; [unrolled: 3-line block ×3, first 2 shown]
	s_waitcnt vmcnt(0) lgkmcnt(0)
	ds_write_b128 v238, v[18:21]
	s_waitcnt lgkmcnt(0)
	s_barrier
	ds_read2_b64 v[18:21], v179 offset1:4
	s_waitcnt lgkmcnt(0)
	v_mfma_f32_16x16x16_f16 v[22:25], v[18:19], v[14:15], 0
	v_mfma_f32_16x16x16_f16 v[18:21], v[20:21], v[16:17], v[22:25]
	s_nop 6
	ds_read2_b64 v[22:25], v179 offset0:8 offset1:12
	s_waitcnt lgkmcnt(0)
	v_mfma_f32_16x16x16_f16 v[18:21], v[22:23], v[10:11], v[18:21]
	v_mfma_f32_16x16x16_f16 v[18:21], v[24:25], v[12:13], v[18:21]
	ds_read2_b64 v[22:25], v179 offset0:16 offset1:20
	s_waitcnt lgkmcnt(0)
	v_mfma_f32_16x16x16_f16 v[18:21], v[22:23], v[6:7], v[18:21]
	v_mfma_f32_16x16x16_f16 v[18:21], v[24:25], v[8:9], v[18:21]
	;; [unrolled: 4-line block ×3, first 2 shown]
	ds_read2_b64 v[22:25], v0 offset0:32 offset1:36
	s_waitcnt lgkmcnt(0)
	v_mfma_f32_16x16x16_f16 v[26:29], v[22:23], v[14:15], 0
	s_nop 4
	v_cmp_nlt_f32_e64 s[38:39], |v18|, s71
	v_mfma_f32_16x16x16_f16 v[22:25], v[24:25], v[16:17], v[26:29]
	s_nop 2
	ds_read2_b64 v[26:29], v0 offset0:40 offset1:44
	s_waitcnt lgkmcnt(0)
	v_mfma_f32_16x16x16_f16 v[22:25], v[26:27], v[10:11], v[22:25]
	v_mfma_f32_16x16x16_f16 v[22:25], v[28:29], v[12:13], v[22:25]
	ds_read2_b64 v[26:29], v0 offset0:48 offset1:52
	s_waitcnt lgkmcnt(0)
	v_mfma_f32_16x16x16_f16 v[22:25], v[26:27], v[6:7], v[22:25]
	v_mfma_f32_16x16x16_f16 v[22:25], v[28:29], v[8:9], v[22:25]
	ds_read2_b64 v[26:29], v0 offset0:56 offset1:60
	v_add_u32_e32 v0, 0x2000, v179
	s_waitcnt lgkmcnt(0)
	v_mfma_f32_16x16x16_f16 v[22:25], v[26:27], v[2:3], v[22:25]
	v_mfma_f32_16x16x16_f16 v[22:25], v[28:29], v[4:5], v[22:25]
	ds_read2_b64 v[26:29], v0 offset0:64 offset1:68
	s_waitcnt lgkmcnt(0)
	v_mfma_f32_16x16x16_f16 v[30:33], v[26:27], v[14:15], 0
	v_mfma_f32_16x16x16_f16 v[26:29], v[28:29], v[16:17], v[30:33]
	s_nop 6
	ds_read2_b64 v[30:33], v0 offset0:72 offset1:76
	s_waitcnt lgkmcnt(0)
	v_mfma_f32_16x16x16_f16 v[26:29], v[30:31], v[10:11], v[26:29]
	v_mfma_f32_16x16x16_f16 v[26:29], v[32:33], v[12:13], v[26:29]
	ds_read2_b64 v[30:33], v0 offset0:80 offset1:84
	s_waitcnt lgkmcnt(0)
	v_mfma_f32_16x16x16_f16 v[26:29], v[30:31], v[6:7], v[26:29]
	v_mfma_f32_16x16x16_f16 v[26:29], v[32:33], v[8:9], v[26:29]
	ds_read2_b64 v[30:33], v0 offset0:88 offset1:92
	v_add_u32_e32 v0, 0x3000, v179
	s_waitcnt lgkmcnt(0)
	v_mfma_f32_16x16x16_f16 v[26:29], v[30:31], v[2:3], v[26:29]
	v_mfma_f32_16x16x16_f16 v[26:29], v[32:33], v[4:5], v[26:29]
	ds_read2_b64 v[30:33], v0 offset0:96 offset1:100
	s_waitcnt lgkmcnt(0)
	v_mfma_f32_16x16x16_f16 v[34:37], v[30:31], v[14:15], 0
	v_mfma_f32_16x16x16_f16 v[30:33], v[32:33], v[16:17], v[34:37]
	s_nop 6
	ds_read2_b64 v[34:37], v0 offset0:104 offset1:108
	s_waitcnt lgkmcnt(0)
	v_mfma_f32_16x16x16_f16 v[30:33], v[34:35], v[10:11], v[30:33]
	v_mfma_f32_16x16x16_f16 v[30:33], v[36:37], v[12:13], v[30:33]
	ds_read2_b64 v[34:37], v0 offset0:112 offset1:116
	s_waitcnt lgkmcnt(0)
	v_mfma_f32_16x16x16_f16 v[30:33], v[34:35], v[6:7], v[30:33]
	v_mfma_f32_16x16x16_f16 v[30:33], v[36:37], v[8:9], v[30:33]
	ds_read2_b64 v[34:37], v0 offset0:120 offset1:124
	s_waitcnt lgkmcnt(0)
	s_barrier
	v_mfma_f32_16x16x16_f16 v[30:33], v[34:35], v[2:3], v[30:33]
	v_mfma_f32_16x16x16_f16 v[30:33], v[36:37], v[4:5], v[30:33]
	s_and_saveexec_b64 s[42:43], s[38:39]
	s_xor_b64 s[38:39], exec, s[42:43]
	s_cbranch_execz .LBB25_431
; %bb.430:                              ;   in Loop: Header=BB25_429 Depth=2
	v_add_f32_e64 v0, |v18|, |v18|
	v_mul_f32_e32 v1, 0x3fb8aa3b, v0
	v_rndne_f32_e32 v34, v1
	v_sub_f32_e32 v35, v1, v34
	v_fma_f32 v1, v0, s56, -v1
	v_fmac_f32_e32 v1, 0x32a5705f, v0
	v_add_f32_e32 v1, v35, v1
	v_cvt_i32_f32_e32 v34, v34
	v_exp_f32_e32 v1, v1
	v_cmp_ngt_f32_e32 vcc, s33, v0
	v_ldexp_f32 v1, v1, v34
	s_nop 0
	v_cndmask_b32_e32 v1, 0, v1, vcc
	v_cmp_nlt_f32_e32 vcc, s69, v0
	s_nop 1
	v_cndmask_b32_e32 v0, v213, v1, vcc
	v_add_f32_e32 v0, 1.0, v0
	v_rcp_f32_e32 v0, v0
	s_nop 0
	v_fma_f32 v1, v0, -2.0, 1.0
.LBB25_431:                             ;   in Loop: Header=BB25_429 Depth=2
	s_andn2_saveexec_b64 s[38:39], s[38:39]
; %bb.432:                              ;   in Loop: Header=BB25_429 Depth=2
	v_mul_f32_e32 v0, v18, v18
	v_fmamk_f32 v1, v0, 0xbbbac73d, v217
	v_fmaak_f32 v1, v0, v1, 0xbd5c1c4e
	v_fmaak_f32 v1, v0, v1, 0x3e088382
	;; [unrolled: 1-line block ×3, first 2 shown]
	v_mul_f32_e64 v1, |v18|, v1
	v_fma_f32 v1, v0, v1, |v18|
; %bb.433:                              ;   in Loop: Header=BB25_429 Depth=2
	s_or_b64 exec, exec, s[38:39]
	v_cmp_nlt_f32_e64 s[38:39], |v19|, s71
                                        ; implicit-def: $vgpr37
	s_and_saveexec_b64 s[42:43], s[38:39]
	s_xor_b64 s[38:39], exec, s[42:43]
	s_cbranch_execz .LBB25_435
; %bb.434:                              ;   in Loop: Header=BB25_429 Depth=2
	v_add_f32_e64 v0, |v19|, |v19|
	v_mul_f32_e32 v34, 0x3fb8aa3b, v0
	v_rndne_f32_e32 v35, v34
	v_sub_f32_e32 v36, v34, v35
	v_fma_f32 v34, v0, s56, -v34
	v_fmac_f32_e32 v34, 0x32a5705f, v0
	v_add_f32_e32 v34, v36, v34
	v_cvt_i32_f32_e32 v35, v35
	v_exp_f32_e32 v34, v34
	v_cmp_ngt_f32_e32 vcc, s33, v0
	v_ldexp_f32 v34, v34, v35
	s_nop 0
	v_cndmask_b32_e32 v34, 0, v34, vcc
	v_cmp_nlt_f32_e32 vcc, s69, v0
	s_nop 1
	v_cndmask_b32_e32 v0, v213, v34, vcc
	v_add_f32_e32 v0, 1.0, v0
	v_rcp_f32_e32 v0, v0
	s_nop 0
	v_fma_f32 v37, v0, -2.0, 1.0
.LBB25_435:                             ;   in Loop: Header=BB25_429 Depth=2
	s_andn2_saveexec_b64 s[38:39], s[38:39]
; %bb.436:                              ;   in Loop: Header=BB25_429 Depth=2
	v_mul_f32_e32 v0, v19, v19
	v_fmamk_f32 v34, v0, 0xbbbac73d, v217
	v_fmaak_f32 v34, v0, v34, 0xbd5c1c4e
	v_fmaak_f32 v34, v0, v34, 0x3e088382
	;; [unrolled: 1-line block ×3, first 2 shown]
	v_mul_f32_e64 v34, |v19|, v34
	v_fma_f32 v37, v0, v34, |v19|
; %bb.437:                              ;   in Loop: Header=BB25_429 Depth=2
	s_or_b64 exec, exec, s[38:39]
	v_cmp_nlt_f32_e64 s[38:39], |v20|, s71
                                        ; implicit-def: $vgpr48
	s_and_saveexec_b64 s[42:43], s[38:39]
	s_xor_b64 s[38:39], exec, s[42:43]
	s_cbranch_execz .LBB25_439
; %bb.438:                              ;   in Loop: Header=BB25_429 Depth=2
	v_add_f32_e64 v0, |v20|, |v20|
	v_mul_f32_e32 v34, 0x3fb8aa3b, v0
	v_rndne_f32_e32 v35, v34
	v_sub_f32_e32 v36, v34, v35
	v_fma_f32 v34, v0, s56, -v34
	v_fmac_f32_e32 v34, 0x32a5705f, v0
	v_add_f32_e32 v34, v36, v34
	v_cvt_i32_f32_e32 v35, v35
	v_exp_f32_e32 v34, v34
	v_cmp_ngt_f32_e32 vcc, s33, v0
	v_ldexp_f32 v34, v34, v35
	s_nop 0
	v_cndmask_b32_e32 v34, 0, v34, vcc
	v_cmp_nlt_f32_e32 vcc, s69, v0
	s_nop 1
	v_cndmask_b32_e32 v0, v213, v34, vcc
	v_add_f32_e32 v0, 1.0, v0
	v_rcp_f32_e32 v0, v0
	s_nop 0
	v_fma_f32 v48, v0, -2.0, 1.0
.LBB25_439:                             ;   in Loop: Header=BB25_429 Depth=2
	s_andn2_saveexec_b64 s[38:39], s[38:39]
; %bb.440:                              ;   in Loop: Header=BB25_429 Depth=2
	v_mul_f32_e32 v0, v20, v20
	v_fmamk_f32 v34, v0, 0xbbbac73d, v217
	v_fmaak_f32 v34, v0, v34, 0xbd5c1c4e
	v_fmaak_f32 v34, v0, v34, 0x3e088382
	;; [unrolled: 1-line block ×3, first 2 shown]
	v_mul_f32_e64 v34, |v20|, v34
	v_fma_f32 v48, v0, v34, |v20|
; %bb.441:                              ;   in Loop: Header=BB25_429 Depth=2
	s_or_b64 exec, exec, s[38:39]
	v_cmp_nlt_f32_e64 s[38:39], |v21|, s71
                                        ; implicit-def: $vgpr49
	s_and_saveexec_b64 s[42:43], s[38:39]
	s_xor_b64 s[38:39], exec, s[42:43]
	s_cbranch_execz .LBB25_443
; %bb.442:                              ;   in Loop: Header=BB25_429 Depth=2
	v_add_f32_e64 v0, |v21|, |v21|
	v_mul_f32_e32 v34, 0x3fb8aa3b, v0
	v_rndne_f32_e32 v35, v34
	v_sub_f32_e32 v36, v34, v35
	v_fma_f32 v34, v0, s56, -v34
	v_fmac_f32_e32 v34, 0x32a5705f, v0
	v_add_f32_e32 v34, v36, v34
	v_cvt_i32_f32_e32 v35, v35
	v_exp_f32_e32 v34, v34
	v_cmp_ngt_f32_e32 vcc, s33, v0
	v_ldexp_f32 v34, v34, v35
	s_nop 0
	v_cndmask_b32_e32 v34, 0, v34, vcc
	v_cmp_nlt_f32_e32 vcc, s69, v0
	s_nop 1
	v_cndmask_b32_e32 v0, v213, v34, vcc
	v_add_f32_e32 v0, 1.0, v0
	v_rcp_f32_e32 v0, v0
	s_nop 0
	v_fma_f32 v49, v0, -2.0, 1.0
.LBB25_443:                             ;   in Loop: Header=BB25_429 Depth=2
	s_andn2_saveexec_b64 s[38:39], s[38:39]
; %bb.444:                              ;   in Loop: Header=BB25_429 Depth=2
	v_mul_f32_e32 v0, v21, v21
	v_fmamk_f32 v34, v0, 0xbbbac73d, v217
	v_fmaak_f32 v34, v0, v34, 0xbd5c1c4e
	v_fmaak_f32 v34, v0, v34, 0x3e088382
	v_fmaak_f32 v34, v0, v34, 0xbeaaaa99
	v_mul_f32_e64 v34, |v21|, v34
	v_fma_f32 v49, v0, v34, |v21|
; %bb.445:                              ;   in Loop: Header=BB25_429 Depth=2
	s_or_b64 exec, exec, s[38:39]
	v_cmp_nlt_f32_e64 s[38:39], |v22|, s71
                                        ; implicit-def: $vgpr42
	s_and_saveexec_b64 s[42:43], s[38:39]
	s_xor_b64 s[38:39], exec, s[42:43]
	s_cbranch_execz .LBB25_447
; %bb.446:                              ;   in Loop: Header=BB25_429 Depth=2
	v_add_f32_e64 v0, |v22|, |v22|
	v_mul_f32_e32 v34, 0x3fb8aa3b, v0
	v_rndne_f32_e32 v35, v34
	v_sub_f32_e32 v36, v34, v35
	v_fma_f32 v34, v0, s56, -v34
	v_fmac_f32_e32 v34, 0x32a5705f, v0
	v_add_f32_e32 v34, v36, v34
	v_cvt_i32_f32_e32 v35, v35
	v_exp_f32_e32 v34, v34
	v_cmp_ngt_f32_e32 vcc, s33, v0
	v_ldexp_f32 v34, v34, v35
	s_nop 0
	v_cndmask_b32_e32 v34, 0, v34, vcc
	v_cmp_nlt_f32_e32 vcc, s69, v0
	s_nop 1
	v_cndmask_b32_e32 v0, v213, v34, vcc
	v_add_f32_e32 v0, 1.0, v0
	v_rcp_f32_e32 v0, v0
	s_nop 0
	v_fma_f32 v42, v0, -2.0, 1.0
.LBB25_447:                             ;   in Loop: Header=BB25_429 Depth=2
	s_andn2_saveexec_b64 s[38:39], s[38:39]
; %bb.448:                              ;   in Loop: Header=BB25_429 Depth=2
	v_mul_f32_e32 v0, v22, v22
	v_fmamk_f32 v34, v0, 0xbbbac73d, v217
	v_fmaak_f32 v34, v0, v34, 0xbd5c1c4e
	v_fmaak_f32 v34, v0, v34, 0x3e088382
	;; [unrolled: 1-line block ×3, first 2 shown]
	v_mul_f32_e64 v34, |v22|, v34
	v_fma_f32 v42, v0, v34, |v22|
; %bb.449:                              ;   in Loop: Header=BB25_429 Depth=2
	s_or_b64 exec, exec, s[38:39]
	v_cmp_nlt_f32_e64 s[38:39], |v23|, s71
                                        ; implicit-def: $vgpr43
	s_and_saveexec_b64 s[42:43], s[38:39]
	s_xor_b64 s[38:39], exec, s[42:43]
	s_cbranch_execz .LBB25_451
; %bb.450:                              ;   in Loop: Header=BB25_429 Depth=2
	v_add_f32_e64 v0, |v23|, |v23|
	v_mul_f32_e32 v34, 0x3fb8aa3b, v0
	v_rndne_f32_e32 v35, v34
	v_sub_f32_e32 v36, v34, v35
	v_fma_f32 v34, v0, s56, -v34
	v_fmac_f32_e32 v34, 0x32a5705f, v0
	v_add_f32_e32 v34, v36, v34
	v_cvt_i32_f32_e32 v35, v35
	v_exp_f32_e32 v34, v34
	v_cmp_ngt_f32_e32 vcc, s33, v0
	v_ldexp_f32 v34, v34, v35
	s_nop 0
	v_cndmask_b32_e32 v34, 0, v34, vcc
	v_cmp_nlt_f32_e32 vcc, s69, v0
	s_nop 1
	v_cndmask_b32_e32 v0, v213, v34, vcc
	v_add_f32_e32 v0, 1.0, v0
	v_rcp_f32_e32 v0, v0
	s_nop 0
	v_fma_f32 v43, v0, -2.0, 1.0
.LBB25_451:                             ;   in Loop: Header=BB25_429 Depth=2
	s_andn2_saveexec_b64 s[38:39], s[38:39]
; %bb.452:                              ;   in Loop: Header=BB25_429 Depth=2
	v_mul_f32_e32 v0, v23, v23
	v_fmamk_f32 v34, v0, 0xbbbac73d, v217
	v_fmaak_f32 v34, v0, v34, 0xbd5c1c4e
	v_fmaak_f32 v34, v0, v34, 0x3e088382
	;; [unrolled: 1-line block ×3, first 2 shown]
	v_mul_f32_e64 v34, |v23|, v34
	v_fma_f32 v43, v0, v34, |v23|
; %bb.453:                              ;   in Loop: Header=BB25_429 Depth=2
	s_or_b64 exec, exec, s[38:39]
	v_cmp_nlt_f32_e64 s[38:39], |v24|, s71
                                        ; implicit-def: $vgpr44
	s_and_saveexec_b64 s[42:43], s[38:39]
	s_xor_b64 s[38:39], exec, s[42:43]
	s_cbranch_execz .LBB25_455
; %bb.454:                              ;   in Loop: Header=BB25_429 Depth=2
	v_add_f32_e64 v0, |v24|, |v24|
	v_mul_f32_e32 v34, 0x3fb8aa3b, v0
	v_rndne_f32_e32 v35, v34
	v_sub_f32_e32 v36, v34, v35
	v_fma_f32 v34, v0, s56, -v34
	v_fmac_f32_e32 v34, 0x32a5705f, v0
	v_add_f32_e32 v34, v36, v34
	v_cvt_i32_f32_e32 v35, v35
	v_exp_f32_e32 v34, v34
	v_cmp_ngt_f32_e32 vcc, s33, v0
	v_ldexp_f32 v34, v34, v35
	s_nop 0
	v_cndmask_b32_e32 v34, 0, v34, vcc
	v_cmp_nlt_f32_e32 vcc, s69, v0
	s_nop 1
	v_cndmask_b32_e32 v0, v213, v34, vcc
	v_add_f32_e32 v0, 1.0, v0
	v_rcp_f32_e32 v0, v0
	s_nop 0
	v_fma_f32 v44, v0, -2.0, 1.0
.LBB25_455:                             ;   in Loop: Header=BB25_429 Depth=2
	s_andn2_saveexec_b64 s[38:39], s[38:39]
; %bb.456:                              ;   in Loop: Header=BB25_429 Depth=2
	v_mul_f32_e32 v0, v24, v24
	v_fmamk_f32 v34, v0, 0xbbbac73d, v217
	v_fmaak_f32 v34, v0, v34, 0xbd5c1c4e
	v_fmaak_f32 v34, v0, v34, 0x3e088382
	;; [unrolled: 1-line block ×3, first 2 shown]
	v_mul_f32_e64 v34, |v24|, v34
	v_fma_f32 v44, v0, v34, |v24|
; %bb.457:                              ;   in Loop: Header=BB25_429 Depth=2
	s_or_b64 exec, exec, s[38:39]
	v_cmp_nlt_f32_e64 s[38:39], |v25|, s71
                                        ; implicit-def: $vgpr45
	s_and_saveexec_b64 s[42:43], s[38:39]
	s_xor_b64 s[38:39], exec, s[42:43]
	s_cbranch_execz .LBB25_459
; %bb.458:                              ;   in Loop: Header=BB25_429 Depth=2
	v_add_f32_e64 v0, |v25|, |v25|
	v_mul_f32_e32 v34, 0x3fb8aa3b, v0
	v_rndne_f32_e32 v35, v34
	v_sub_f32_e32 v36, v34, v35
	v_fma_f32 v34, v0, s56, -v34
	v_fmac_f32_e32 v34, 0x32a5705f, v0
	v_add_f32_e32 v34, v36, v34
	v_cvt_i32_f32_e32 v35, v35
	v_exp_f32_e32 v34, v34
	v_cmp_ngt_f32_e32 vcc, s33, v0
	v_ldexp_f32 v34, v34, v35
	s_nop 0
	v_cndmask_b32_e32 v34, 0, v34, vcc
	v_cmp_nlt_f32_e32 vcc, s69, v0
	s_nop 1
	v_cndmask_b32_e32 v0, v213, v34, vcc
	v_add_f32_e32 v0, 1.0, v0
	v_rcp_f32_e32 v0, v0
	s_nop 0
	v_fma_f32 v45, v0, -2.0, 1.0
.LBB25_459:                             ;   in Loop: Header=BB25_429 Depth=2
	s_andn2_saveexec_b64 s[38:39], s[38:39]
; %bb.460:                              ;   in Loop: Header=BB25_429 Depth=2
	v_mul_f32_e32 v0, v25, v25
	v_fmamk_f32 v34, v0, 0xbbbac73d, v217
	v_fmaak_f32 v34, v0, v34, 0xbd5c1c4e
	v_fmaak_f32 v34, v0, v34, 0x3e088382
	;; [unrolled: 1-line block ×3, first 2 shown]
	v_mul_f32_e64 v34, |v25|, v34
	v_fma_f32 v45, v0, v34, |v25|
; %bb.461:                              ;   in Loop: Header=BB25_429 Depth=2
	s_or_b64 exec, exec, s[38:39]
	v_cmp_nlt_f32_e64 s[38:39], |v26|, s71
                                        ; implicit-def: $vgpr38
	s_and_saveexec_b64 s[42:43], s[38:39]
	s_xor_b64 s[38:39], exec, s[42:43]
	s_cbranch_execz .LBB25_463
; %bb.462:                              ;   in Loop: Header=BB25_429 Depth=2
	v_add_f32_e64 v0, |v26|, |v26|
	v_mul_f32_e32 v34, 0x3fb8aa3b, v0
	v_rndne_f32_e32 v35, v34
	v_sub_f32_e32 v36, v34, v35
	v_fma_f32 v34, v0, s56, -v34
	v_fmac_f32_e32 v34, 0x32a5705f, v0
	v_add_f32_e32 v34, v36, v34
	v_cvt_i32_f32_e32 v35, v35
	v_exp_f32_e32 v34, v34
	v_cmp_ngt_f32_e32 vcc, s33, v0
	v_ldexp_f32 v34, v34, v35
	s_nop 0
	v_cndmask_b32_e32 v34, 0, v34, vcc
	v_cmp_nlt_f32_e32 vcc, s69, v0
	s_nop 1
	v_cndmask_b32_e32 v0, v213, v34, vcc
	v_add_f32_e32 v0, 1.0, v0
	v_rcp_f32_e32 v0, v0
	s_nop 0
	v_fma_f32 v38, v0, -2.0, 1.0
.LBB25_463:                             ;   in Loop: Header=BB25_429 Depth=2
	s_andn2_saveexec_b64 s[38:39], s[38:39]
; %bb.464:                              ;   in Loop: Header=BB25_429 Depth=2
	v_mul_f32_e32 v0, v26, v26
	v_fmamk_f32 v34, v0, 0xbbbac73d, v217
	v_fmaak_f32 v34, v0, v34, 0xbd5c1c4e
	v_fmaak_f32 v34, v0, v34, 0x3e088382
	;; [unrolled: 1-line block ×3, first 2 shown]
	v_mul_f32_e64 v34, |v26|, v34
	v_fma_f32 v38, v0, v34, |v26|
; %bb.465:                              ;   in Loop: Header=BB25_429 Depth=2
	s_or_b64 exec, exec, s[38:39]
	v_cmp_nlt_f32_e64 s[38:39], |v27|, s71
                                        ; implicit-def: $vgpr39
	s_and_saveexec_b64 s[42:43], s[38:39]
	s_xor_b64 s[38:39], exec, s[42:43]
	s_cbranch_execz .LBB25_467
; %bb.466:                              ;   in Loop: Header=BB25_429 Depth=2
	v_add_f32_e64 v0, |v27|, |v27|
	v_mul_f32_e32 v34, 0x3fb8aa3b, v0
	v_rndne_f32_e32 v35, v34
	v_sub_f32_e32 v36, v34, v35
	v_fma_f32 v34, v0, s56, -v34
	v_fmac_f32_e32 v34, 0x32a5705f, v0
	v_add_f32_e32 v34, v36, v34
	v_cvt_i32_f32_e32 v35, v35
	v_exp_f32_e32 v34, v34
	v_cmp_ngt_f32_e32 vcc, s33, v0
	v_ldexp_f32 v34, v34, v35
	s_nop 0
	v_cndmask_b32_e32 v34, 0, v34, vcc
	v_cmp_nlt_f32_e32 vcc, s69, v0
	s_nop 1
	v_cndmask_b32_e32 v0, v213, v34, vcc
	v_add_f32_e32 v0, 1.0, v0
	v_rcp_f32_e32 v0, v0
	s_nop 0
	v_fma_f32 v39, v0, -2.0, 1.0
.LBB25_467:                             ;   in Loop: Header=BB25_429 Depth=2
	s_andn2_saveexec_b64 s[38:39], s[38:39]
; %bb.468:                              ;   in Loop: Header=BB25_429 Depth=2
	v_mul_f32_e32 v0, v27, v27
	v_fmamk_f32 v34, v0, 0xbbbac73d, v217
	v_fmaak_f32 v34, v0, v34, 0xbd5c1c4e
	v_fmaak_f32 v34, v0, v34, 0x3e088382
	;; [unrolled: 1-line block ×3, first 2 shown]
	v_mul_f32_e64 v34, |v27|, v34
	v_fma_f32 v39, v0, v34, |v27|
; %bb.469:                              ;   in Loop: Header=BB25_429 Depth=2
	s_or_b64 exec, exec, s[38:39]
	v_cmp_nlt_f32_e64 s[38:39], |v28|, s71
                                        ; implicit-def: $vgpr40
	s_and_saveexec_b64 s[42:43], s[38:39]
	s_xor_b64 s[38:39], exec, s[42:43]
	s_cbranch_execz .LBB25_471
; %bb.470:                              ;   in Loop: Header=BB25_429 Depth=2
	v_add_f32_e64 v0, |v28|, |v28|
	v_mul_f32_e32 v34, 0x3fb8aa3b, v0
	v_rndne_f32_e32 v35, v34
	v_sub_f32_e32 v36, v34, v35
	v_fma_f32 v34, v0, s56, -v34
	v_fmac_f32_e32 v34, 0x32a5705f, v0
	v_add_f32_e32 v34, v36, v34
	v_cvt_i32_f32_e32 v35, v35
	v_exp_f32_e32 v34, v34
	v_cmp_ngt_f32_e32 vcc, s33, v0
	v_ldexp_f32 v34, v34, v35
	s_nop 0
	v_cndmask_b32_e32 v34, 0, v34, vcc
	v_cmp_nlt_f32_e32 vcc, s69, v0
	s_nop 1
	v_cndmask_b32_e32 v0, v213, v34, vcc
	v_add_f32_e32 v0, 1.0, v0
	v_rcp_f32_e32 v0, v0
	s_nop 0
	v_fma_f32 v40, v0, -2.0, 1.0
.LBB25_471:                             ;   in Loop: Header=BB25_429 Depth=2
	s_andn2_saveexec_b64 s[38:39], s[38:39]
; %bb.472:                              ;   in Loop: Header=BB25_429 Depth=2
	v_mul_f32_e32 v0, v28, v28
	v_fmamk_f32 v34, v0, 0xbbbac73d, v217
	v_fmaak_f32 v34, v0, v34, 0xbd5c1c4e
	v_fmaak_f32 v34, v0, v34, 0x3e088382
	;; [unrolled: 1-line block ×3, first 2 shown]
	v_mul_f32_e64 v34, |v28|, v34
	v_fma_f32 v40, v0, v34, |v28|
; %bb.473:                              ;   in Loop: Header=BB25_429 Depth=2
	s_or_b64 exec, exec, s[38:39]
	v_cmp_nlt_f32_e64 s[38:39], |v29|, s71
                                        ; implicit-def: $vgpr41
	s_and_saveexec_b64 s[42:43], s[38:39]
	s_xor_b64 s[38:39], exec, s[42:43]
	s_cbranch_execz .LBB25_475
; %bb.474:                              ;   in Loop: Header=BB25_429 Depth=2
	v_add_f32_e64 v0, |v29|, |v29|
	v_mul_f32_e32 v34, 0x3fb8aa3b, v0
	v_rndne_f32_e32 v35, v34
	v_sub_f32_e32 v36, v34, v35
	v_fma_f32 v34, v0, s56, -v34
	v_fmac_f32_e32 v34, 0x32a5705f, v0
	v_add_f32_e32 v34, v36, v34
	v_cvt_i32_f32_e32 v35, v35
	v_exp_f32_e32 v34, v34
	v_cmp_ngt_f32_e32 vcc, s33, v0
	v_ldexp_f32 v34, v34, v35
	s_nop 0
	v_cndmask_b32_e32 v34, 0, v34, vcc
	v_cmp_nlt_f32_e32 vcc, s69, v0
	s_nop 1
	v_cndmask_b32_e32 v0, v213, v34, vcc
	v_add_f32_e32 v0, 1.0, v0
	v_rcp_f32_e32 v0, v0
	s_nop 0
	v_fma_f32 v41, v0, -2.0, 1.0
.LBB25_475:                             ;   in Loop: Header=BB25_429 Depth=2
	s_andn2_saveexec_b64 s[38:39], s[38:39]
; %bb.476:                              ;   in Loop: Header=BB25_429 Depth=2
	v_mul_f32_e32 v0, v29, v29
	v_fmamk_f32 v34, v0, 0xbbbac73d, v217
	v_fmaak_f32 v34, v0, v34, 0xbd5c1c4e
	v_fmaak_f32 v34, v0, v34, 0x3e088382
	;; [unrolled: 1-line block ×3, first 2 shown]
	v_mul_f32_e64 v34, |v29|, v34
	v_fma_f32 v41, v0, v34, |v29|
; %bb.477:                              ;   in Loop: Header=BB25_429 Depth=2
	s_or_b64 exec, exec, s[38:39]
	v_cmp_nlt_f32_e64 s[38:39], |v30|, s71
                                        ; implicit-def: $vgpr34
	s_and_saveexec_b64 s[42:43], s[38:39]
	s_xor_b64 s[38:39], exec, s[42:43]
	s_cbranch_execz .LBB25_479
; %bb.478:                              ;   in Loop: Header=BB25_429 Depth=2
	v_add_f32_e64 v0, |v30|, |v30|
	v_mul_f32_e32 v34, 0x3fb8aa3b, v0
	v_rndne_f32_e32 v35, v34
	v_sub_f32_e32 v36, v34, v35
	v_fma_f32 v34, v0, s56, -v34
	v_fmac_f32_e32 v34, 0x32a5705f, v0
	v_add_f32_e32 v34, v36, v34
	v_cvt_i32_f32_e32 v35, v35
	v_exp_f32_e32 v34, v34
	v_cmp_ngt_f32_e32 vcc, s33, v0
	v_ldexp_f32 v34, v34, v35
	s_nop 0
	v_cndmask_b32_e32 v34, 0, v34, vcc
	v_cmp_nlt_f32_e32 vcc, s69, v0
	s_nop 1
	v_cndmask_b32_e32 v0, v213, v34, vcc
	v_add_f32_e32 v0, 1.0, v0
	v_rcp_f32_e32 v0, v0
	s_nop 0
	v_fma_f32 v34, v0, -2.0, 1.0
.LBB25_479:                             ;   in Loop: Header=BB25_429 Depth=2
	s_andn2_saveexec_b64 s[38:39], s[38:39]
; %bb.480:                              ;   in Loop: Header=BB25_429 Depth=2
	v_mul_f32_e32 v0, v30, v30
	v_fmamk_f32 v34, v0, 0xbbbac73d, v217
	v_fmaak_f32 v34, v0, v34, 0xbd5c1c4e
	v_fmaak_f32 v34, v0, v34, 0x3e088382
	;; [unrolled: 1-line block ×3, first 2 shown]
	v_mul_f32_e64 v34, |v30|, v34
	v_fma_f32 v34, v0, v34, |v30|
; %bb.481:                              ;   in Loop: Header=BB25_429 Depth=2
	s_or_b64 exec, exec, s[38:39]
	v_cmp_nlt_f32_e64 s[38:39], |v31|, s71
                                        ; implicit-def: $vgpr35
	s_and_saveexec_b64 s[42:43], s[38:39]
	s_xor_b64 s[38:39], exec, s[42:43]
	s_cbranch_execz .LBB25_483
; %bb.482:                              ;   in Loop: Header=BB25_429 Depth=2
	v_add_f32_e64 v0, |v31|, |v31|
	v_mul_f32_e32 v35, 0x3fb8aa3b, v0
	v_rndne_f32_e32 v36, v35
	v_sub_f32_e32 v46, v35, v36
	v_fma_f32 v35, v0, s56, -v35
	v_fmac_f32_e32 v35, 0x32a5705f, v0
	v_add_f32_e32 v35, v46, v35
	v_cvt_i32_f32_e32 v36, v36
	v_exp_f32_e32 v35, v35
	v_cmp_ngt_f32_e32 vcc, s33, v0
	v_ldexp_f32 v35, v35, v36
	s_nop 0
	v_cndmask_b32_e32 v35, 0, v35, vcc
	v_cmp_nlt_f32_e32 vcc, s69, v0
	s_nop 1
	v_cndmask_b32_e32 v0, v213, v35, vcc
	v_add_f32_e32 v0, 1.0, v0
	v_rcp_f32_e32 v0, v0
	s_nop 0
	v_fma_f32 v35, v0, -2.0, 1.0
.LBB25_483:                             ;   in Loop: Header=BB25_429 Depth=2
	s_andn2_saveexec_b64 s[38:39], s[38:39]
; %bb.484:                              ;   in Loop: Header=BB25_429 Depth=2
	v_mul_f32_e32 v0, v31, v31
	v_fmamk_f32 v35, v0, 0xbbbac73d, v217
	v_fmaak_f32 v35, v0, v35, 0xbd5c1c4e
	v_fmaak_f32 v35, v0, v35, 0x3e088382
	;; [unrolled: 1-line block ×3, first 2 shown]
	v_mul_f32_e64 v35, |v31|, v35
	v_fma_f32 v35, v0, v35, |v31|
; %bb.485:                              ;   in Loop: Header=BB25_429 Depth=2
	s_or_b64 exec, exec, s[38:39]
	v_cmp_nlt_f32_e64 s[38:39], |v32|, s71
                                        ; implicit-def: $vgpr36
	s_and_saveexec_b64 s[42:43], s[38:39]
	s_xor_b64 s[38:39], exec, s[42:43]
	s_cbranch_execz .LBB25_487
; %bb.486:                              ;   in Loop: Header=BB25_429 Depth=2
	v_add_f32_e64 v0, |v32|, |v32|
	v_mul_f32_e32 v36, 0x3fb8aa3b, v0
	v_rndne_f32_e32 v46, v36
	v_sub_f32_e32 v47, v36, v46
	v_fma_f32 v36, v0, s56, -v36
	v_fmac_f32_e32 v36, 0x32a5705f, v0
	v_add_f32_e32 v36, v47, v36
	v_cvt_i32_f32_e32 v46, v46
	v_exp_f32_e32 v36, v36
	v_cmp_ngt_f32_e32 vcc, s33, v0
	v_ldexp_f32 v36, v36, v46
	s_nop 0
	v_cndmask_b32_e32 v36, 0, v36, vcc
	v_cmp_nlt_f32_e32 vcc, s69, v0
	s_nop 1
	v_cndmask_b32_e32 v0, v213, v36, vcc
	v_add_f32_e32 v0, 1.0, v0
	v_rcp_f32_e32 v0, v0
	s_nop 0
	v_fma_f32 v36, v0, -2.0, 1.0
.LBB25_487:                             ;   in Loop: Header=BB25_429 Depth=2
	s_andn2_saveexec_b64 s[38:39], s[38:39]
; %bb.488:                              ;   in Loop: Header=BB25_429 Depth=2
	v_mul_f32_e32 v0, v32, v32
	v_fmamk_f32 v36, v0, 0xbbbac73d, v217
	v_fmaak_f32 v36, v0, v36, 0xbd5c1c4e
	v_fmaak_f32 v36, v0, v36, 0x3e088382
	;; [unrolled: 1-line block ×3, first 2 shown]
	v_mul_f32_e64 v36, |v32|, v36
	v_fma_f32 v36, v0, v36, |v32|
; %bb.489:                              ;   in Loop: Header=BB25_429 Depth=2
	s_or_b64 exec, exec, s[38:39]
	v_cmp_nlt_f32_e64 s[38:39], |v33|, s71
                                        ; implicit-def: $vgpr101
	s_and_saveexec_b64 s[42:43], s[38:39]
	s_xor_b64 s[38:39], exec, s[42:43]
	s_cbranch_execz .LBB25_491
; %bb.490:                              ;   in Loop: Header=BB25_429 Depth=2
	v_add_f32_e64 v0, |v33|, |v33|
	v_mul_f32_e32 v46, 0x3fb8aa3b, v0
	v_rndne_f32_e32 v47, v46
	v_sub_f32_e32 v101, v46, v47
	v_fma_f32 v46, v0, s56, -v46
	v_fmac_f32_e32 v46, 0x32a5705f, v0
	v_add_f32_e32 v46, v101, v46
	v_cvt_i32_f32_e32 v47, v47
	v_exp_f32_e32 v46, v46
	v_cmp_ngt_f32_e32 vcc, s33, v0
	v_ldexp_f32 v46, v46, v47
	s_nop 0
	v_cndmask_b32_e32 v46, 0, v46, vcc
	v_cmp_nlt_f32_e32 vcc, s69, v0
	s_nop 1
	v_cndmask_b32_e32 v0, v213, v46, vcc
	v_add_f32_e32 v0, 1.0, v0
	v_rcp_f32_e32 v0, v0
	s_nop 0
	v_fma_f32 v101, v0, -2.0, 1.0
.LBB25_491:                             ;   in Loop: Header=BB25_429 Depth=2
	s_andn2_saveexec_b64 s[38:39], s[38:39]
; %bb.492:                              ;   in Loop: Header=BB25_429 Depth=2
	v_mul_f32_e32 v0, v33, v33
	v_fmamk_f32 v46, v0, 0xbbbac73d, v217
	v_fmaak_f32 v46, v0, v46, 0xbd5c1c4e
	v_fmaak_f32 v46, v0, v46, 0x3e088382
	;; [unrolled: 1-line block ×3, first 2 shown]
	v_mul_f32_e64 v46, |v33|, v46
	v_fma_f32 v101, v0, v46, |v33|
; %bb.493:                              ;   in Loop: Header=BB25_429 Depth=2
	s_or_b64 exec, exec, s[38:39]
	v_bfi_b32 v0, s70, v34, v30
	v_mul_f32_e32 v34, s53, v0
	v_bfi_b32 v0, s70, v35, v31
	v_mul_f32_e32 v35, s53, v0
	;; [unrolled: 2-line block ×16, first 2 shown]
	s_and_b64 vcc, exec, s[72:73]
	s_cbranch_vccz .LBB25_498
; %bb.494:                              ;   in Loop: Header=BB25_429 Depth=2
	ds_read_b32 v0, v181 offset:17408
	v_add_u32_e32 v1, 0x4400, v184
	v_add_u32_e32 v20, 0x4400, v186
	ds_read_b32 v24, v182 offset:17408
	ds_read2_b32 v[18:19], v1 offset1:1
	ds_read2_b32 v[26:27], v20 offset1:1
	v_mov_b32_e32 v101, v100
	s_waitcnt lgkmcnt(3)
	v_cvt_f32_f16_sdwa v23, v0 dst_sel:DWORD dst_unused:UNUSED_PAD src0_sel:WORD_1
	v_cvt_f32_f16_e32 v22, v0
	s_waitcnt lgkmcnt(1)
	v_cvt_f32_f16_e32 v28, v18
	v_cvt_f32_f16_sdwa v29, v18 dst_sel:DWORD dst_unused:UNUSED_PAD src0_sel:WORD_1
	v_add_u32_e32 v0, 0x4400, v188
	v_cvt_f32_f16_sdwa v21, v24 dst_sel:DWORD dst_unused:UNUSED_PAD src0_sel:WORD_1
	v_cvt_f32_f16_e32 v20, v24
	v_cvt_f32_f16_e32 v24, v19
	v_cvt_f32_f16_sdwa v25, v19 dst_sel:DWORD dst_unused:UNUSED_PAD src0_sel:WORD_1
	v_pk_fma_f32 v[18:19], v[114:115], v[22:23], v[46:47]
	v_pk_fma_f32 v[22:23], v[114:115], v[28:29], v[42:43]
	ds_read2_b32 v[28:29], v0 offset1:1
	s_waitcnt lgkmcnt(1)
	v_cvt_f32_f16_e32 v30, v26
	v_cvt_f32_f16_sdwa v31, v26 dst_sel:DWORD dst_unused:UNUSED_PAD src0_sel:WORD_1
	v_cvt_f32_f16_e32 v26, v27
	v_cvt_f32_f16_sdwa v27, v27 dst_sel:DWORD dst_unused:UNUSED_PAD src0_sel:WORD_1
	s_waitcnt lgkmcnt(0)
	v_cvt_f32_f16_e32 v0, v28
	v_cvt_f32_f16_e32 v32, v29
	v_cvt_f32_f16_sdwa v33, v29 dst_sel:DWORD dst_unused:UNUSED_PAD src0_sel:WORD_1
	v_cvt_f32_f16_sdwa v1, v28 dst_sel:DWORD dst_unused:UNUSED_PAD src0_sel:WORD_1
	v_pk_fma_f32 v[20:21], v[100:101], v[20:21], v[48:49]
	v_pk_fma_f32 v[24:25], v[100:101], v[24:25], v[44:45]
	;; [unrolled: 1-line block ×6, first 2 shown]
	s_cbranch_execnz .LBB25_496
.LBB25_495:                             ;   in Loop: Header=BB25_429 Depth=2
	v_mov_b64_e32 v[30:31], v[34:35]
	v_mov_b64_e32 v[26:27], v[38:39]
	;; [unrolled: 1-line block ×8, first 2 shown]
.LBB25_496:                             ;   in Loop: Header=BB25_429 Depth=2
	v_add_f32_e32 v0, 0x40051340, v18
	v_max_f32_e32 v1, v83, v83
	v_max_f32_e32 v0, v1, v0
	v_cndmask_b32_e64 v0, v83, v0, s[12:13]
	v_add_f32_e32 v1, 0x40051340, v19
	v_max_f32_e32 v0, v0, v0
	v_max_f32_e32 v0, v0, v1
	v_cndmask_b32_e64 v0, v83, v0, s[12:13]
	;; [unrolled: 4-line block ×16, first 2 shown]
	ds_bpermute_b32 v1, v52, v0
	v_max_f32_e32 v0, v0, v0
	v_lshl_add_u64 v[36:37], v[108:109], 0, v[74:75]
	v_cndmask_b32_e64 v42, v236, v36, s[6:7]
	scratch_store_dwordx4 off, v[228:231], off
	s_waitcnt lgkmcnt(0)
	v_max_f32_e32 v1, v1, v1
	v_max_f32_e32 v0, v0, v1
	ds_bpermute_b32 v1, v84, v0
	s_add_i32 s41, s41, -1
	v_lshl_add_u64 v[116:117], v[116:117], 0, s[60:61]
	v_lshl_add_u64 v[118:119], v[118:119], 0, s[60:61]
	;; [unrolled: 1-line block ×3, first 2 shown]
	s_waitcnt lgkmcnt(0)
	v_max_f32_e32 v1, v1, v1
	v_max_f32_e32 v215, v0, v1
	v_sub_f32_e32 v0, v18, v215
	v_mul_f32_e32 v1, 0x3fb8aa3b, v0
	v_fma_f32 v18, v0, s56, -v1
	v_rndne_f32_e32 v34, v1
	v_fmac_f32_e32 v18, 0x32a5705f, v0
	v_sub_f32_e32 v1, v1, v34
	v_add_f32_e32 v1, v1, v18
	v_exp_f32_e32 v1, v1
	v_cvt_i32_f32_e32 v18, v34
	v_cmp_ngt_f32_e32 vcc, s33, v0
	v_lshl_add_u64 v[122:123], v[122:123], 0, s[60:61]
	v_lshl_add_u64 v[124:125], v[124:125], 0, s[60:61]
	v_ldexp_f32 v1, v1, v18
	v_cndmask_b32_e32 v1, 0, v1, vcc
	v_cmp_nlt_f32_e32 vcc, s69, v0
	v_lshl_add_u64 v[126:127], v[126:127], 0, s[60:61]
	v_lshl_add_u64 v[128:129], v[128:129], 0, s[60:61]
	v_cndmask_b32_e32 v0, v213, v1, vcc
	v_sub_f32_e32 v1, v19, v215
	v_mul_f32_e32 v19, 0x3fb8aa3b, v1
	v_fma_f32 v34, v1, s56, -v19
	v_rndne_f32_e32 v35, v19
	v_fmac_f32_e32 v34, 0x32a5705f, v1
	v_sub_f32_e32 v19, v19, v35
	v_add_f32_e32 v19, v19, v34
	v_exp_f32_e32 v19, v19
	v_cvt_i32_f32_e32 v34, v35
	v_cmp_ngt_f32_e32 vcc, s33, v1
	v_cndmask_b32_e64 v18, 0, v0, s[12:13]
	v_lshl_add_u64 v[130:131], v[130:131], 0, s[60:61]
	v_ldexp_f32 v19, v19, v34
	v_cndmask_b32_e32 v19, 0, v19, vcc
	v_cmp_nlt_f32_e32 vcc, s69, v1
	v_mov_b32_e32 v1, s67
	v_lshl_add_u64 v[132:133], v[132:133], 0, s[60:61]
	v_cndmask_b32_e32 v19, v213, v19, vcc
	v_add_f32_e32 v0, v0, v19
	v_cndmask_b32_e64 v1, v1, v19, s[12:13]
	v_sub_f32_e32 v19, v20, v215
	v_mul_f32_e32 v20, 0x3fb8aa3b, v19
	v_fma_f32 v34, v19, s56, -v20
	v_rndne_f32_e32 v35, v20
	v_fmac_f32_e32 v34, 0x32a5705f, v19
	v_sub_f32_e32 v20, v20, v35
	v_add_f32_e32 v20, v20, v34
	v_exp_f32_e32 v20, v20
	v_cvt_i32_f32_e32 v34, v35
	v_cmp_ngt_f32_e32 vcc, s33, v19
	v_lshl_add_u64 v[134:135], v[134:135], 0, s[60:61]
	v_lshl_add_u64 v[136:137], v[136:137], 0, s[60:61]
	v_ldexp_f32 v20, v20, v34
	v_cndmask_b32_e32 v20, 0, v20, vcc
	v_cmp_nlt_f32_e32 vcc, s69, v19
	v_lshl_add_u64 v[138:139], v[138:139], 0, s[60:61]
	v_lshl_add_u64 v[140:141], v[140:141], 0, s[60:61]
	v_cndmask_b32_e32 v19, v213, v20, vcc
	v_mov_b32_e32 v20, s67
	v_add_f32_e32 v0, v0, v19
	v_cndmask_b32_e64 v20, v20, v19, s[12:13]
	v_sub_f32_e32 v19, v21, v215
	v_mul_f32_e32 v21, 0x3fb8aa3b, v19
	v_fma_f32 v34, v19, s56, -v21
	v_rndne_f32_e32 v35, v21
	v_fmac_f32_e32 v34, 0x32a5705f, v19
	v_sub_f32_e32 v21, v21, v35
	v_add_f32_e32 v21, v21, v34
	v_exp_f32_e32 v21, v21
	v_cvt_i32_f32_e32 v34, v35
	v_cmp_ngt_f32_e32 vcc, s33, v19
	v_lshl_add_u64 v[142:143], v[142:143], 0, s[60:61]
	v_lshl_add_u64 v[144:145], v[144:145], 0, s[60:61]
	v_ldexp_f32 v21, v21, v34
	v_cndmask_b32_e32 v21, 0, v21, vcc
	v_cmp_nlt_f32_e32 vcc, s69, v19
	v_mov_b32_e32 v19, s67
	v_lshl_add_u64 v[146:147], v[146:147], 0, s[60:61]
	v_cndmask_b32_e32 v21, v213, v21, vcc
	v_cndmask_b32_e64 v46, v19, v21, s[12:13]
	v_sub_f32_e32 v19, v22, v215
	v_add_f32_e32 v0, v0, v21
	v_mul_f32_e32 v21, 0x3fb8aa3b, v19
	v_fma_f32 v22, v19, s56, -v21
	v_rndne_f32_e32 v34, v21
	v_fmac_f32_e32 v22, 0x32a5705f, v19
	v_sub_f32_e32 v21, v21, v34
	v_add_f32_e32 v21, v21, v22
	v_exp_f32_e32 v21, v21
	v_cvt_i32_f32_e32 v22, v34
	v_cmp_ngt_f32_e32 vcc, s33, v19
	v_cndmask_b32_e64 v0, 0, v0, s[12:13]
	v_lshl_add_u64 v[108:109], v[108:109], 0, s[64:65]
	v_ldexp_f32 v21, v21, v22
	v_cndmask_b32_e32 v21, 0, v21, vcc
	v_cmp_nlt_f32_e32 vcc, s69, v19
	v_mov_b32_e32 v22, s67
	v_lshl_add_u64 v[110:111], v[110:111], 0, s[62:63]
	v_cndmask_b32_e32 v19, v213, v21, vcc
	v_add_f32_e32 v21, v19, v0
	v_cndmask_b32_e64 v22, v22, v19, s[14:15]
	v_sub_f32_e32 v19, v23, v215
	v_cndmask_b32_e64 v0, v0, v21, s[14:15]
	v_mul_f32_e32 v21, 0x3fb8aa3b, v19
	v_fma_f32 v23, v19, s56, -v21
	v_rndne_f32_e32 v34, v21
	v_fmac_f32_e32 v23, 0x32a5705f, v19
	v_sub_f32_e32 v21, v21, v34
	v_add_f32_e32 v21, v21, v23
	v_exp_f32_e32 v21, v21
	v_cvt_i32_f32_e32 v23, v34
	v_cmp_ngt_f32_e32 vcc, s33, v19
	v_lshl_add_u64 v[112:113], v[112:113], 0, s[62:63]
	v_lshl_add_u64 v[152:153], v[152:153], 0, s[62:63]
	v_ldexp_f32 v21, v21, v23
	v_cndmask_b32_e32 v21, 0, v21, vcc
	v_cmp_nlt_f32_e32 vcc, s69, v19
	v_mov_b32_e32 v19, s67
	v_lshl_add_u64 v[154:155], v[154:155], 0, s[62:63]
	v_cndmask_b32_e32 v21, v213, v21, vcc
	v_add_f32_e32 v23, v21, v0
	v_cndmask_b32_e64 v19, v19, v21, s[16:17]
	v_sub_f32_e32 v21, v24, v215
	v_cndmask_b32_e64 v0, v0, v23, s[16:17]
	v_mul_f32_e32 v23, 0x3fb8aa3b, v21
	v_fma_f32 v24, v21, s56, -v23
	v_rndne_f32_e32 v34, v23
	v_fmac_f32_e32 v24, 0x32a5705f, v21
	v_sub_f32_e32 v23, v23, v34
	v_add_f32_e32 v23, v23, v24
	v_exp_f32_e32 v23, v23
	v_cvt_i32_f32_e32 v24, v34
	v_cmp_ngt_f32_e32 vcc, s33, v21
	s_cmp_lg_u32 s41, 0
	v_ldexp_f32 v23, v23, v24
	v_cndmask_b32_e32 v23, 0, v23, vcc
	v_cmp_nlt_f32_e32 vcc, s69, v21
	v_mov_b32_e32 v24, s67
	s_nop 0
	v_cndmask_b32_e32 v21, v213, v23, vcc
	v_add_f32_e32 v23, v21, v0
	v_cndmask_b32_e64 v24, v24, v21, s[18:19]
	v_sub_f32_e32 v21, v25, v215
	v_cndmask_b32_e64 v0, v0, v23, s[18:19]
	v_mul_f32_e32 v23, 0x3fb8aa3b, v21
	v_fma_f32 v25, v21, s56, -v23
	v_rndne_f32_e32 v34, v23
	v_fmac_f32_e32 v25, 0x32a5705f, v21
	v_sub_f32_e32 v23, v23, v34
	v_add_f32_e32 v23, v23, v25
	v_exp_f32_e32 v23, v23
	v_cvt_i32_f32_e32 v25, v34
	v_cmp_ngt_f32_e32 vcc, s33, v21
	v_lshl_add_u64 v[34:35], v[106:107], 0, v[74:75]
	v_cndmask_b32_e64 v34, v236, v34, s[4:5]
	v_ldexp_f32 v23, v23, v25
	v_cndmask_b32_e32 v23, 0, v23, vcc
	v_cmp_nlt_f32_e32 vcc, s69, v21
	v_mov_b32_e32 v21, s67
	v_lshl_add_u64 v[106:107], v[106:107], 0, s[64:65]
	v_cndmask_b32_e32 v23, v213, v23, vcc
	v_cndmask_b32_e64 v47, v21, v23, s[20:21]
	v_sub_f32_e32 v21, v26, v215
	v_add_f32_e32 v25, v23, v0
	v_mul_f32_e32 v23, 0x3fb8aa3b, v21
	v_cndmask_b32_e64 v0, v0, v25, s[20:21]
	v_fma_f32 v25, v21, s56, -v23
	v_rndne_f32_e32 v26, v23
	v_fmac_f32_e32 v25, 0x32a5705f, v21
	v_sub_f32_e32 v23, v23, v26
	v_add_f32_e32 v23, v23, v25
	v_exp_f32_e32 v23, v23
	v_cvt_i32_f32_e32 v25, v26
	v_cmp_ngt_f32_e32 vcc, s33, v21
	v_mov_b32_e32 v26, s67
	v_ldexp_f32 v23, v23, v25
	v_cndmask_b32_e32 v23, 0, v23, vcc
	v_cmp_nlt_f32_e32 vcc, s69, v21
	s_nop 1
	v_cndmask_b32_e32 v21, v213, v23, vcc
	v_add_f32_e32 v23, v21, v0
	v_cndmask_b32_e64 v26, v26, v21, s[22:23]
	v_sub_f32_e32 v21, v27, v215
	v_cndmask_b32_e64 v0, v0, v23, s[22:23]
	v_mul_f32_e32 v23, 0x3fb8aa3b, v21
	v_fma_f32 v25, v21, s56, -v23
	v_rndne_f32_e32 v27, v23
	v_fmac_f32_e32 v25, 0x32a5705f, v21
	v_sub_f32_e32 v23, v23, v27
	v_add_f32_e32 v23, v23, v25
	v_exp_f32_e32 v23, v23
	v_cvt_i32_f32_e32 v25, v27
	v_cmp_ngt_f32_e32 vcc, s33, v21
	v_ldexp_f32 v23, v23, v25
	s_nop 0
	v_cndmask_b32_e32 v23, 0, v23, vcc
	v_cmp_nlt_f32_e32 vcc, s69, v21
	v_mov_b32_e32 v21, s67
	s_nop 0
	v_cndmask_b32_e32 v23, v213, v23, vcc
	v_add_f32_e32 v25, v23, v0
	v_cndmask_b32_e64 v21, v21, v23, s[24:25]
	v_sub_f32_e32 v23, v28, v215
	v_cndmask_b32_e64 v0, v0, v25, s[24:25]
	v_mul_f32_e32 v25, 0x3fb8aa3b, v23
	v_fma_f32 v27, v23, s56, -v25
	v_rndne_f32_e32 v28, v25
	v_fmac_f32_e32 v27, 0x32a5705f, v23
	v_sub_f32_e32 v25, v25, v28
	v_add_f32_e32 v25, v25, v27
	v_exp_f32_e32 v25, v25
	v_cvt_i32_f32_e32 v27, v28
	v_cmp_ngt_f32_e32 vcc, s33, v23
	v_mov_b32_e32 v28, s67
	v_ldexp_f32 v25, v25, v27
	v_cndmask_b32_e32 v25, 0, v25, vcc
	v_cmp_nlt_f32_e32 vcc, s69, v23
	s_nop 1
	v_cndmask_b32_e32 v23, v213, v25, vcc
	v_add_f32_e32 v25, v23, v0
	v_cndmask_b32_e64 v28, v28, v23, s[26:27]
	v_sub_f32_e32 v23, v29, v215
	v_cndmask_b32_e64 v0, v0, v25, s[26:27]
	v_mul_f32_e32 v25, 0x3fb8aa3b, v23
	v_fma_f32 v27, v23, s56, -v25
	v_rndne_f32_e32 v29, v25
	v_fmac_f32_e32 v27, 0x32a5705f, v23
	v_sub_f32_e32 v25, v25, v29
	v_add_f32_e32 v25, v25, v27
	v_exp_f32_e32 v25, v25
	v_cvt_i32_f32_e32 v27, v29
	v_cmp_ngt_f32_e32 vcc, s33, v23
	v_ldexp_f32 v25, v25, v27
	s_nop 0
	v_cndmask_b32_e32 v25, 0, v25, vcc
	v_cmp_nlt_f32_e32 vcc, s69, v23
	v_mov_b32_e32 v23, s67
	s_nop 0
	v_cndmask_b32_e32 v25, v213, v25, vcc
	v_cndmask_b32_e64 v48, v23, v25, s[28:29]
	v_sub_f32_e32 v23, v30, v215
	v_add_f32_e32 v27, v25, v0
	v_mul_f32_e32 v25, 0x3fb8aa3b, v23
	v_cndmask_b32_e64 v0, v0, v27, s[28:29]
	v_fma_f32 v27, v23, s56, -v25
	v_rndne_f32_e32 v29, v25
	v_fmac_f32_e32 v27, 0x32a5705f, v23
	v_sub_f32_e32 v25, v25, v29
	v_add_f32_e32 v25, v25, v27
	v_exp_f32_e32 v25, v25
	v_cvt_i32_f32_e32 v27, v29
	v_cmp_ngt_f32_e32 vcc, s33, v23
	v_mov_b32_e32 v30, s67
	v_ldexp_f32 v25, v25, v27
	v_cndmask_b32_e32 v25, 0, v25, vcc
	v_cmp_nlt_f32_e32 vcc, s69, v23
	s_nop 1
	v_cndmask_b32_e32 v23, v213, v25, vcc
	v_add_f32_e32 v25, v23, v0
	v_cndmask_b32_e64 v30, v30, v23, s[0:1]
	v_sub_f32_e32 v23, v31, v215
	v_cndmask_b32_e64 v0, v0, v25, s[0:1]
	v_mul_f32_e32 v25, 0x3fb8aa3b, v23
	v_fma_f32 v27, v23, s56, -v25
	v_rndne_f32_e32 v29, v25
	v_fmac_f32_e32 v27, 0x32a5705f, v23
	v_sub_f32_e32 v25, v25, v29
	v_add_f32_e32 v25, v25, v27
	v_exp_f32_e32 v25, v25
	v_cvt_i32_f32_e32 v27, v29
	v_cmp_ngt_f32_e32 vcc, s33, v23
	v_ldexp_f32 v25, v25, v27
	s_nop 0
	v_cndmask_b32_e32 v25, 0, v25, vcc
	v_cmp_nlt_f32_e32 vcc, s69, v23
	v_mov_b32_e32 v23, s67
	s_nop 0
	v_cndmask_b32_e32 v25, v213, v25, vcc
	v_add_f32_e32 v27, v25, v0
	v_cndmask_b32_e64 v23, v23, v25, s[30:31]
	v_sub_f32_e32 v25, v32, v215
	v_cndmask_b32_e64 v0, v0, v27, s[30:31]
	v_mul_f32_e32 v27, 0x3fb8aa3b, v25
	v_fma_f32 v29, v25, s56, -v27
	v_rndne_f32_e32 v31, v27
	v_fmac_f32_e32 v29, 0x32a5705f, v25
	v_sub_f32_e32 v27, v27, v31
	v_add_f32_e32 v27, v27, v29
	v_exp_f32_e32 v27, v27
	v_cvt_i32_f32_e32 v29, v31
	v_cmp_ngt_f32_e32 vcc, s33, v25
	v_mov_b32_e32 v32, s67
	v_ldexp_f32 v27, v27, v29
	v_cndmask_b32_e32 v27, 0, v27, vcc
	v_cmp_nlt_f32_e32 vcc, s69, v25
	s_nop 1
	v_cndmask_b32_e32 v25, v213, v27, vcc
	v_add_f32_e32 v27, v25, v0
	v_cndmask_b32_e64 v32, v32, v25, s[34:35]
	v_sub_f32_e32 v25, v33, v215
	v_cndmask_b32_e64 v0, v0, v27, s[34:35]
	v_mul_f32_e32 v27, 0x3fb8aa3b, v25
	v_fma_f32 v29, v25, s56, -v27
	v_rndne_f32_e32 v31, v27
	v_fmac_f32_e32 v29, 0x32a5705f, v25
	v_sub_f32_e32 v27, v27, v31
	v_add_f32_e32 v27, v27, v29
	v_exp_f32_e32 v27, v27
	v_cvt_i32_f32_e32 v29, v31
	v_cmp_ngt_f32_e32 vcc, s33, v25
	v_ldexp_f32 v27, v27, v29
	s_nop 0
	v_cndmask_b32_e32 v27, 0, v27, vcc
	v_cmp_nlt_f32_e32 vcc, s69, v25
	v_mov_b32_e32 v25, s67
	s_nop 0
	v_cndmask_b32_e32 v27, v213, v27, vcc
	v_add_f32_e32 v29, v27, v0
	v_cndmask_b32_e64 v101, v0, v29, s[36:37]
	v_sub_f32_e32 v0, v83, v215
	v_cndmask_b32_e64 v174, v25, v27, s[36:37]
	v_mul_f32_e32 v25, 0x3fb8aa3b, v0
	v_fma_f32 v27, v0, s56, -v25
	v_rndne_f32_e32 v29, v25
	v_fmac_f32_e32 v27, 0x32a5705f, v0
	v_sub_f32_e32 v25, v25, v29
	v_add_f32_e32 v25, v25, v27
	v_exp_f32_e32 v25, v25
	v_cvt_i32_f32_e32 v27, v29
	v_cmp_ngt_f32_e32 vcc, s33, v0
	v_ldexp_f32 v25, v25, v27
	s_nop 0
	v_cndmask_b32_e32 v25, 0, v25, vcc
	v_cmp_nlt_f32_e32 vcc, s69, v0
	s_nop 1
	v_cndmask_b32_e32 v25, v213, v25, vcc
	v_cmp_le_f32_e32 vcc, s97, v0
	s_nop 1
	v_cndmask_b32_e32 v0, 0, v25, vcc
	v_fmac_f32_e32 v101, v175, v0
	v_cvt_f16_f32_e32 v0, v0
	v_mul_u32_u24_e32 v0, 0x10001, v0
	v_pk_mul_f16 v175, v173, v0
	v_pk_mul_f16 v49, v159, v0
	;; [unrolled: 1-line block ×16, first 2 shown]
	v_mov_b32_e32 v0, s57
	v_cndmask_b32_e64 v43, v0, v37, s[6:7]
	v_lshl_add_u64 v[36:37], v[148:149], 0, v[74:75]
	v_cndmask_b32_e64 v35, v0, v35, s[4:5]
	v_cndmask_b32_e64 v41, v0, v37, s[8:9]
	;; [unrolled: 1-line block ×3, first 2 shown]
	v_lshl_add_u64 v[36:37], v[150:151], 0, v[74:75]
	v_cndmask_b32_e64 v39, v0, v37, s[10:11]
	v_cndmask_b32_e64 v38, v236, v36, s[10:11]
	flat_load_dwordx4 v[34:37], v[34:35]
	v_cvt_pk_f16_f32 v159, v20, v46
	v_cvt_pk_f16_f32 v158, v18, v1
	;; [unrolled: 1-line block ×6, first 2 shown]
	v_cvt_f32_f16_sdwa v23, v173 dst_sel:DWORD dst_unused:UNUSED_PAD src0_sel:WORD_1
	v_cvt_f32_f16_sdwa v91, v44 dst_sel:DWORD dst_unused:UNUSED_PAD src0_sel:WORD_1
	v_lshl_add_u64 v[148:149], v[148:149], 0, s[64:65]
	v_lshl_add_u64 v[150:151], v[150:151], 0, s[64:65]
	s_waitcnt vmcnt(0) lgkmcnt(0)
	ds_write_b128 v178, v[34:37]
	flat_load_dwordx4 v[34:37], v[42:43]
	s_waitcnt vmcnt(0) lgkmcnt(0)
	ds_write_b128 v233, v[34:37]
	flat_load_dwordx4 v[34:37], v[40:41]
	s_waitcnt vmcnt(0) lgkmcnt(0)
	ds_write_b128 v227, v[34:37]
	flat_load_dwordx4 v[34:37], v[38:39]
	s_waitcnt vmcnt(0) lgkmcnt(0)
	ds_write_b128 v238, v[34:37]
	s_waitcnt lgkmcnt(0)
	s_barrier
	ds_read_u16 v0, v189 offset:272
	ds_read_u16 v38, v189 offset:544
	ds_read_u16 v39, v196
	ds_read_u16 v40, v196 offset:32
	v_cvt_f32_f16_e32 v34, v175
	v_cvt_f32_f16_sdwa v35, v175 dst_sel:DWORD dst_unused:UNUSED_PAD src0_sel:WORD_1
	v_cvt_f32_f16_e32 v36, v49
	s_waitcnt lgkmcnt(1)
	v_perm_b32 v39, v39, v38, s54
	ds_read_u16 v38, v189
	ds_read_u16 v41, v189 offset:32
	v_cvt_f32_f16_sdwa v37, v49 dst_sel:DWORD dst_unused:UNUSED_PAD src0_sel:WORD_1
	v_cvt_pk_f16_f32 v49, v28, v48
	v_cvt_pk_f16_f32 v48, v26, v21
	s_waitcnt lgkmcnt(1)
	v_perm_b32 v38, v0, v38, s54
	s_nop 1
	v_mfma_f32_16x16x16_f16 v[34:37], v[38:39], v[158:159], v[34:37]
	ds_read_u16 v38, v189 offset:4352
	ds_read_u16 v39, v189 offset:4624
	;; [unrolled: 1-line block ×4, first 2 shown]
	s_nop 3
	v_cvt_f16_f32_e32 v0, v34
	v_cvt_f16_f32_e32 v1, v35
	;; [unrolled: 1-line block ×4, first 2 shown]
	v_cvt_f32_f16_e32 v34, v0
	v_cvt_f32_f16_e32 v35, v1
	s_waitcnt lgkmcnt(0)
	v_perm_b32 v1, v43, v42, s54
	v_perm_b32 v0, v39, v38, s54
	v_cvt_f32_f16_e32 v36, v18
	v_cvt_f32_f16_e32 v37, v20
	ds_read_u16 v20, v189 offset:8704
	ds_read_u16 v22, v189 offset:8976
	;; [unrolled: 1-line block ×4, first 2 shown]
	v_mfma_f32_16x16x16_f16 v[34:37], v[0:1], v[156:157], v[34:37]
	s_nop 7
	v_cvt_f16_f32_e32 v0, v34
	v_cvt_f16_f32_e32 v1, v35
	;; [unrolled: 1-line block ×4, first 2 shown]
	v_cvt_f32_f16_e32 v34, v0
	v_cvt_f32_f16_e32 v35, v1
	s_waitcnt lgkmcnt(0)
	v_perm_b32 v1, v38, v24, s54
	v_perm_b32 v0, v22, v20, s54
	v_cvt_f32_f16_e32 v36, v18
	v_cvt_f32_f16_e32 v37, v19
	ds_read_u16 v22, v189 offset:13056
	ds_read_u16 v24, v189 offset:13328
	;; [unrolled: 1-line block ×4, first 2 shown]
	v_mfma_f32_16x16x16_f16 v[18:21], v[0:1], v[48:49], v[34:37]
	s_nop 2
	v_cvt_f32_f16_e32 v34, v29
	v_cvt_f32_f16_sdwa v35, v29 dst_sel:DWORD dst_unused:UNUSED_PAD src0_sel:WORD_1
	s_nop 2
	v_cvt_f16_f32_e32 v0, v18
	v_cvt_f16_f32_e32 v1, v19
	;; [unrolled: 1-line block ×4, first 2 shown]
	v_cvt_f32_f16_e32 v18, v0
	v_cvt_f32_f16_e32 v19, v1
	s_waitcnt lgkmcnt(0)
	v_perm_b32 v1, v28, v26, s54
	v_perm_b32 v0, v24, v22, s54
	v_cvt_f32_f16_e32 v20, v20
	v_cvt_f32_f16_e32 v21, v21
	;; [unrolled: 1-line block ×4, first 2 shown]
	v_mfma_f32_16x16x16_f16 v[18:21], v[0:1], v[46:47], v[18:21]
	ds_read_u16 v0, v189 offset:304
	ds_read_u16 v1, v189 offset:576
	v_cvt_f32_f16_sdwa v25, v25 dst_sel:DWORD dst_unused:UNUSED_PAD src0_sel:WORD_1
	ds_read_u16 v26, v189 offset:4384
	ds_read_u16 v28, v189 offset:4656
	ds_read_u16 v30, v189 offset:4928
	ds_read_u16 v32, v196 offset:4384
	v_cvt_f32_f16_e32 v36, v27
	s_waitcnt lgkmcnt(5)
	v_perm_b32 v0, v0, v41, s54
	s_waitcnt lgkmcnt(4)
	v_perm_b32 v1, v40, v1, s54
	v_cvt_f32_f16_sdwa v37, v27 dst_sel:DWORD dst_unused:UNUSED_PAD src0_sel:WORD_1
	v_cvt_pk_f16_f32 v173, v18, v19
	v_mfma_f32_16x16x16_f16 v[22:25], v[0:1], v[158:159], v[22:25]
	s_nop 7
	v_cvt_f16_f32_e32 v0, v22
	v_cvt_f16_f32_e32 v1, v23
	;; [unrolled: 1-line block ×4, first 2 shown]
	v_cvt_f32_f16_e32 v22, v0
	v_cvt_f32_f16_e32 v23, v1
	s_waitcnt lgkmcnt(0)
	v_perm_b32 v1, v32, v30, s54
	v_perm_b32 v0, v28, v26, s54
	v_cvt_f32_f16_e32 v24, v24
	v_cvt_f32_f16_e32 v25, v25
	ds_read_u16 v26, v189 offset:8736
	ds_read_u16 v28, v189 offset:9008
	;; [unrolled: 1-line block ×4, first 2 shown]
	v_mfma_f32_16x16x16_f16 v[22:25], v[0:1], v[156:157], v[22:25]
	s_nop 7
	v_cvt_f16_f32_e32 v0, v22
	v_cvt_f16_f32_e32 v1, v23
	;; [unrolled: 1-line block ×4, first 2 shown]
	v_cvt_f32_f16_e32 v22, v0
	v_cvt_f32_f16_e32 v23, v1
	s_waitcnt lgkmcnt(0)
	v_perm_b32 v1, v32, v30, s54
	v_perm_b32 v0, v28, v26, s54
	v_cvt_f32_f16_e32 v24, v24
	v_cvt_f32_f16_e32 v25, v25
	ds_read_u16 v26, v189 offset:13088
	ds_read_u16 v28, v189 offset:13360
	;; [unrolled: 1-line block ×4, first 2 shown]
	v_mfma_f32_16x16x16_f16 v[22:25], v[0:1], v[48:49], v[22:25]
	s_nop 7
	v_cvt_f16_f32_e32 v0, v22
	v_cvt_f16_f32_e32 v1, v23
	v_cvt_f16_f32_e32 v24, v24
	v_cvt_f16_f32_e32 v25, v25
	v_cvt_f32_f16_e32 v22, v0
	v_cvt_f32_f16_e32 v23, v1
	s_waitcnt lgkmcnt(0)
	v_perm_b32 v1, v32, v30, s54
	v_perm_b32 v0, v28, v26, s54
	v_cvt_f32_f16_e32 v24, v24
	v_cvt_f32_f16_e32 v25, v25
	s_nop 1
	v_mfma_f32_16x16x16_f16 v[22:25], v[0:1], v[46:47], v[22:25]
	ds_read_u16 v0, v189 offset:64
	ds_read_u16 v26, v189 offset:336
	;; [unrolled: 1-line block ×4, first 2 shown]
	s_waitcnt lgkmcnt(2)
	v_perm_b32 v0, v26, v0, s54
	s_waitcnt lgkmcnt(0)
	v_perm_b32 v1, v28, v1, s54
	s_nop 1
	v_mfma_f32_16x16x16_f16 v[26:29], v[0:1], v[158:159], v[34:37]
	ds_read_u16 v30, v189 offset:4416
	ds_read_u16 v32, v189 offset:4688
	s_nop 0
	ds_read_u16 v34, v189 offset:4960
	ds_read_u16 v35, v196 offset:4416
	s_nop 2
	v_cvt_f16_f32_e32 v0, v26
	v_cvt_f16_f32_e32 v1, v27
	;; [unrolled: 1-line block ×4, first 2 shown]
	v_cvt_f32_f16_e32 v26, v0
	v_cvt_f32_f16_e32 v27, v1
	s_waitcnt lgkmcnt(0)
	v_perm_b32 v1, v35, v34, s54
	v_perm_b32 v0, v32, v30, s54
	v_cvt_f32_f16_e32 v28, v28
	v_cvt_f32_f16_e32 v29, v29
	ds_read_u16 v30, v189 offset:8768
	ds_read_u16 v32, v189 offset:9040
	;; [unrolled: 1-line block ×4, first 2 shown]
	v_mfma_f32_16x16x16_f16 v[26:29], v[0:1], v[156:157], v[26:29]
	s_nop 7
	v_cvt_f16_f32_e32 v0, v26
	v_cvt_f16_f32_e32 v1, v27
	;; [unrolled: 1-line block ×4, first 2 shown]
	v_cvt_f32_f16_e32 v26, v0
	v_cvt_f32_f16_e32 v27, v1
	s_waitcnt lgkmcnt(0)
	v_perm_b32 v1, v35, v34, s54
	v_perm_b32 v0, v32, v30, s54
	v_cvt_f32_f16_e32 v28, v28
	v_cvt_f32_f16_e32 v29, v29
	ds_read_u16 v30, v189 offset:13120
	ds_read_u16 v32, v189 offset:13392
	;; [unrolled: 1-line block ×4, first 2 shown]
	v_mfma_f32_16x16x16_f16 v[26:29], v[0:1], v[48:49], v[26:29]
	s_nop 7
	v_cvt_f16_f32_e32 v0, v26
	v_cvt_f16_f32_e32 v1, v27
	;; [unrolled: 1-line block ×4, first 2 shown]
	v_cvt_f32_f16_e32 v26, v0
	v_cvt_f32_f16_e32 v27, v1
	s_waitcnt lgkmcnt(0)
	v_perm_b32 v1, v35, v34, s54
	v_perm_b32 v0, v32, v30, s54
	v_cvt_f32_f16_e32 v28, v28
	v_cvt_f32_f16_e32 v29, v29
	;; [unrolled: 1-line block ×3, first 2 shown]
	v_cvt_f32_f16_sdwa v33, v33 dst_sel:DWORD dst_unused:UNUSED_PAD src0_sel:WORD_1
	v_mfma_f32_16x16x16_f16 v[26:29], v[0:1], v[46:47], v[26:29]
	ds_read_u16 v0, v189 offset:96
	ds_read_u16 v30, v189 offset:368
	;; [unrolled: 1-line block ×4, first 2 shown]
	v_cvt_f32_f16_e32 v34, v31
	v_cvt_f32_f16_sdwa v35, v31 dst_sel:DWORD dst_unused:UNUSED_PAD src0_sel:WORD_1
	s_waitcnt lgkmcnt(2)
	v_perm_b32 v0, v30, v0, s54
	v_cvt_pk_f16_f32 v93, v28, v29
	s_waitcnt lgkmcnt(0)
	v_perm_b32 v1, v36, v1, s54
	s_nop 1
	v_mfma_f32_16x16x16_f16 v[30:33], v[0:1], v[158:159], v[32:35]
	s_nop 2
	ds_read_u16 v34, v189 offset:4448
	ds_read_u16 v35, v189 offset:4720
	;; [unrolled: 1-line block ×4, first 2 shown]
	s_nop 0
	v_cvt_f16_f32_e32 v0, v30
	v_cvt_f16_f32_e32 v1, v31
	v_cvt_f16_f32_e32 v32, v32
	v_cvt_f16_f32_e32 v33, v33
	v_cvt_f32_f16_e32 v30, v0
	v_cvt_f32_f16_e32 v31, v1
	s_waitcnt lgkmcnt(0)
	v_perm_b32 v1, v37, v36, s54
	v_perm_b32 v0, v35, v34, s54
	v_cvt_f32_f16_e32 v32, v32
	v_cvt_f32_f16_e32 v33, v33
	ds_read_u16 v34, v189 offset:8800
	ds_read_u16 v35, v189 offset:9072
	;; [unrolled: 1-line block ×4, first 2 shown]
	v_mfma_f32_16x16x16_f16 v[30:33], v[0:1], v[156:157], v[30:33]
	s_nop 7
	v_cvt_f16_f32_e32 v0, v30
	v_cvt_f16_f32_e32 v1, v31
	;; [unrolled: 1-line block ×4, first 2 shown]
	v_cvt_f32_f16_e32 v30, v0
	v_cvt_f32_f16_e32 v31, v1
	s_waitcnt lgkmcnt(0)
	v_perm_b32 v1, v37, v36, s54
	v_perm_b32 v0, v35, v34, s54
	v_cvt_f32_f16_e32 v32, v32
	v_cvt_f32_f16_e32 v33, v33
	ds_read_u16 v34, v189 offset:13152
	ds_read_u16 v35, v189 offset:13424
	;; [unrolled: 1-line block ×4, first 2 shown]
	v_mfma_f32_16x16x16_f16 v[30:33], v[0:1], v[48:49], v[30:33]
	s_nop 7
	v_cvt_f16_f32_e32 v0, v30
	v_cvt_f16_f32_e32 v1, v31
	;; [unrolled: 1-line block ×4, first 2 shown]
	v_cvt_f32_f16_e32 v30, v0
	v_cvt_f32_f16_e32 v31, v1
	s_waitcnt lgkmcnt(0)
	v_perm_b32 v1, v37, v36, s54
	v_perm_b32 v0, v35, v34, s54
	v_cvt_f32_f16_e32 v32, v32
	v_cvt_f32_f16_e32 v33, v33
	;; [unrolled: 1-line block ×3, first 2 shown]
	v_cvt_f32_f16_sdwa v35, v90 dst_sel:DWORD dst_unused:UNUSED_PAD src0_sel:WORD_1
	v_mfma_f32_16x16x16_f16 v[30:33], v[0:1], v[46:47], v[30:33]
	ds_read_u16 v0, v189 offset:128
	ds_read_u16 v38, v189 offset:400
	;; [unrolled: 1-line block ×4, first 2 shown]
	v_cvt_f32_f16_e32 v36, v89
	v_cvt_f32_f16_sdwa v37, v89 dst_sel:DWORD dst_unused:UNUSED_PAD src0_sel:WORD_1
	s_waitcnt lgkmcnt(2)
	v_perm_b32 v0, v38, v0, s54
	v_cvt_f32_f16_sdwa v89, v45 dst_sel:DWORD dst_unused:UNUSED_PAD src0_sel:WORD_1
	s_waitcnt lgkmcnt(0)
	v_perm_b32 v1, v39, v1, s54
	ds_read_u16 v38, v189 offset:4480
	ds_read_u16 v39, v189 offset:4752
	;; [unrolled: 1-line block ×4, first 2 shown]
	v_mfma_f32_16x16x16_f16 v[34:37], v[0:1], v[158:159], v[34:37]
	v_cvt_f32_f16_e32 v90, v44
	v_cvt_pk_f16_f32 v92, v30, v31
	s_nop 5
	v_cvt_f16_f32_e32 v0, v34
	v_cvt_f16_f32_e32 v1, v35
	;; [unrolled: 1-line block ×4, first 2 shown]
	v_cvt_f32_f16_e32 v34, v0
	v_cvt_f32_f16_e32 v35, v1
	s_waitcnt lgkmcnt(0)
	v_perm_b32 v1, v41, v40, s54
	v_perm_b32 v0, v39, v38, s54
	v_cvt_f32_f16_e32 v36, v36
	v_cvt_f32_f16_e32 v37, v37
	ds_read_u16 v38, v189 offset:8832
	ds_read_u16 v39, v189 offset:9104
	;; [unrolled: 1-line block ×4, first 2 shown]
	v_mfma_f32_16x16x16_f16 v[34:37], v[0:1], v[156:157], v[34:37]
	s_nop 7
	v_cvt_f16_f32_e32 v0, v34
	v_cvt_f16_f32_e32 v1, v35
	;; [unrolled: 1-line block ×4, first 2 shown]
	v_cvt_f32_f16_e32 v34, v0
	v_cvt_f32_f16_e32 v35, v1
	s_waitcnt lgkmcnt(0)
	v_perm_b32 v1, v41, v40, s54
	v_perm_b32 v0, v39, v38, s54
	v_cvt_f32_f16_e32 v36, v36
	v_cvt_f32_f16_e32 v37, v37
	ds_read_u16 v38, v189 offset:13184
	ds_read_u16 v39, v189 offset:13456
	;; [unrolled: 1-line block ×4, first 2 shown]
	v_mfma_f32_16x16x16_f16 v[34:37], v[0:1], v[48:49], v[34:37]
	s_nop 7
	v_cvt_f16_f32_e32 v0, v34
	v_cvt_f16_f32_e32 v1, v35
	;; [unrolled: 1-line block ×4, first 2 shown]
	v_cvt_f32_f16_e32 v34, v0
	v_cvt_f32_f16_e32 v35, v1
	s_waitcnt lgkmcnt(0)
	v_perm_b32 v1, v41, v40, s54
	v_perm_b32 v0, v39, v38, s54
	v_cvt_f32_f16_e32 v36, v36
	v_cvt_f32_f16_e32 v37, v37
	;; [unrolled: 1-line block ×3, first 2 shown]
	v_cvt_f32_f16_sdwa v39, v88 dst_sel:DWORD dst_unused:UNUSED_PAD src0_sel:WORD_1
	v_mfma_f32_16x16x16_f16 v[34:37], v[0:1], v[46:47], v[34:37]
	ds_read_u16 v0, v189 offset:160
	ds_read_u16 v42, v189 offset:432
	;; [unrolled: 1-line block ×4, first 2 shown]
	v_cvt_f32_f16_e32 v40, v87
	v_cvt_f32_f16_sdwa v41, v87 dst_sel:DWORD dst_unused:UNUSED_PAD src0_sel:WORD_1
	s_waitcnt lgkmcnt(2)
	v_perm_b32 v0, v42, v0, s54
	v_cvt_f32_f16_e32 v88, v45
	s_waitcnt lgkmcnt(0)
	v_perm_b32 v1, v43, v1, s54
	ds_read_u16 v42, v189 offset:4512
	ds_read_u16 v43, v189 offset:4784
	ds_read_u16 v76, v189 offset:5056
	ds_read_u16 v77, v196 offset:4512
	v_mfma_f32_16x16x16_f16 v[38:41], v[0:1], v[158:159], v[38:41]
	s_nop 7
	v_cvt_f16_f32_e32 v0, v38
	v_cvt_f16_f32_e32 v1, v39
	v_cvt_f16_f32_e32 v40, v40
	v_cvt_f16_f32_e32 v41, v41
	v_cvt_f32_f16_e32 v38, v0
	v_cvt_f32_f16_e32 v39, v1
	s_waitcnt lgkmcnt(0)
	v_perm_b32 v1, v77, v76, s54
	v_perm_b32 v0, v43, v42, s54
	v_cvt_f32_f16_e32 v40, v40
	v_cvt_f32_f16_e32 v41, v41
	ds_read_u16 v42, v189 offset:8864
	ds_read_u16 v43, v189 offset:9136
	ds_read_u16 v76, v189 offset:9408
	ds_read_u16 v77, v196 offset:8864
	v_mfma_f32_16x16x16_f16 v[38:41], v[0:1], v[156:157], v[38:41]
	s_nop 7
	v_cvt_f16_f32_e32 v0, v38
	v_cvt_f16_f32_e32 v1, v39
	v_cvt_f16_f32_e32 v40, v40
	v_cvt_f16_f32_e32 v41, v41
	v_cvt_f32_f16_e32 v38, v0
	v_cvt_f32_f16_e32 v39, v1
	s_waitcnt lgkmcnt(0)
	v_perm_b32 v1, v77, v76, s54
	v_perm_b32 v0, v43, v42, s54
	v_cvt_f32_f16_e32 v40, v40
	v_cvt_f32_f16_e32 v41, v41
	;; [unrolled: 17-line block ×3, first 2 shown]
	s_nop 1
	v_mfma_f32_16x16x16_f16 v[38:41], v[0:1], v[46:47], v[38:41]
	ds_read_u16 v0, v189 offset:192
	ds_read_u16 v42, v189 offset:464
	;; [unrolled: 1-line block ×8, first 2 shown]
	s_waitcnt lgkmcnt(6)
	v_perm_b32 v0, v42, v0, s54
	s_waitcnt lgkmcnt(4)
	v_perm_b32 v1, v43, v1, s54
	s_nop 1
	v_mfma_f32_16x16x16_f16 v[42:45], v[0:1], v[158:159], v[88:91]
	s_nop 2
	v_cvt_f32_f16_e32 v88, v86
	v_cvt_f32_f16_sdwa v89, v86 dst_sel:DWORD dst_unused:UNUSED_PAD src0_sel:WORD_1
	v_cvt_f32_f16_e32 v90, v85
	s_nop 1
	v_cvt_f16_f32_e32 v0, v42
	v_cvt_f16_f32_e32 v1, v43
	v_cvt_f16_f32_e32 v44, v44
	v_cvt_f16_f32_e32 v45, v45
	v_cvt_f32_f16_e32 v42, v0
	v_cvt_f32_f16_e32 v43, v1
	s_waitcnt lgkmcnt(0)
	v_perm_b32 v1, v87, v83, s54
	v_perm_b32 v0, v77, v76, s54
	v_cvt_f32_f16_e32 v44, v44
	v_cvt_f32_f16_e32 v45, v45
	ds_read_u16 v76, v189 offset:8896
	ds_read_u16 v77, v189 offset:9168
	ds_read_u16 v83, v189 offset:9440
	ds_read_u16 v87, v196 offset:8896
	v_mfma_f32_16x16x16_f16 v[42:45], v[0:1], v[156:157], v[42:45]
	v_cvt_f32_f16_sdwa v91, v85 dst_sel:DWORD dst_unused:UNUSED_PAD src0_sel:WORD_1
	s_nop 6
	v_cvt_f16_f32_e32 v0, v42
	v_cvt_f16_f32_e32 v1, v43
	;; [unrolled: 1-line block ×4, first 2 shown]
	v_cvt_f32_f16_e32 v42, v0
	v_cvt_f32_f16_e32 v43, v1
	s_waitcnt lgkmcnt(0)
	v_perm_b32 v1, v87, v83, s54
	v_perm_b32 v0, v77, v76, s54
	v_cvt_f32_f16_e32 v44, v44
	v_cvt_f32_f16_e32 v45, v45
	ds_read_u16 v76, v189 offset:13248
	ds_read_u16 v77, v189 offset:13520
	;; [unrolled: 1-line block ×4, first 2 shown]
	v_mfma_f32_16x16x16_f16 v[42:45], v[0:1], v[48:49], v[42:45]
	s_nop 7
	v_cvt_f16_f32_e32 v0, v42
	v_cvt_f16_f32_e32 v1, v43
	;; [unrolled: 1-line block ×4, first 2 shown]
	v_cvt_f32_f16_e32 v42, v0
	v_cvt_f32_f16_e32 v43, v1
	s_waitcnt lgkmcnt(0)
	v_perm_b32 v1, v87, v83, s54
	v_perm_b32 v0, v77, v76, s54
	v_cvt_f32_f16_e32 v44, v44
	v_cvt_f32_f16_e32 v45, v45
	s_nop 1
	v_mfma_f32_16x16x16_f16 v[42:45], v[0:1], v[46:47], v[42:45]
	ds_read_u16 v0, v189 offset:224
	ds_read_u16 v76, v189 offset:496
	;; [unrolled: 1-line block ×4, first 2 shown]
	s_waitcnt lgkmcnt(2)
	v_perm_b32 v0, v76, v0, s54
	s_waitcnt lgkmcnt(0)
	v_perm_b32 v1, v77, v1, s54
	s_nop 1
	v_mfma_f32_16x16x16_f16 v[86:89], v[0:1], v[158:159], v[88:91]
	ds_read_u16 v83, v189 offset:4576
	ds_read_u16 v85, v189 offset:4848
	s_nop 0
	ds_read_u16 v90, v189 offset:5120
	ds_read_u16 v91, v196 offset:4576
	v_cvt_pk_f16_f32 v158, v22, v23
	v_cvt_pk_f16_f32 v159, v20, v21
	s_nop 0
	v_cvt_f16_f32_e32 v0, v86
	v_cvt_f16_f32_e32 v1, v87
	;; [unrolled: 1-line block ×4, first 2 shown]
	v_cvt_f32_f16_e32 v86, v0
	v_cvt_f32_f16_e32 v87, v1
	s_waitcnt lgkmcnt(0)
	v_perm_b32 v1, v91, v90, s54
	v_perm_b32 v0, v85, v83, s54
	v_cvt_f32_f16_e32 v88, v76
	v_cvt_f32_f16_e32 v89, v77
	ds_read_u16 v83, v189 offset:8928
	ds_read_u16 v85, v189 offset:9200
	;; [unrolled: 1-line block ×4, first 2 shown]
	v_mfma_f32_16x16x16_f16 v[86:89], v[0:1], v[156:157], v[86:89]
	v_cvt_pk_f16_f32 v156, v26, v27
	v_cvt_pk_f16_f32 v157, v24, v25
	s_nop 5
	v_cvt_f16_f32_e32 v0, v86
	v_cvt_f16_f32_e32 v1, v87
	;; [unrolled: 1-line block ×4, first 2 shown]
	v_cvt_f32_f16_e32 v86, v0
	v_cvt_f32_f16_e32 v87, v1
	s_waitcnt lgkmcnt(0)
	v_perm_b32 v1, v91, v90, s54
	v_perm_b32 v0, v85, v83, s54
	v_cvt_f32_f16_e32 v88, v76
	v_cvt_f32_f16_e32 v89, v77
	s_nop 1
	v_mfma_f32_16x16x16_f16 v[86:89], v[0:1], v[48:49], v[86:89]
	s_nop 7
	v_cvt_f16_f32_e32 v49, v86
	ds_read_u16 v1, v189 offset:13280
	ds_read_u16 v48, v189 offset:13552
	;; [unrolled: 1-line block ×4, first 2 shown]
	v_cvt_f16_f32_e32 v76, v87
	v_cvt_f16_f32_e32 v77, v88
	;; [unrolled: 1-line block ×3, first 2 shown]
	v_cvt_f32_f16_e32 v88, v49
	s_waitcnt lgkmcnt(0)
	v_perm_b32 v49, v86, v85, s54
	v_perm_b32 v48, v48, v1, s54
	v_cvt_f32_f16_e32 v89, v76
	v_cvt_f32_f16_e32 v90, v77
	;; [unrolled: 1-line block ×3, first 2 shown]
	v_cvt_pk_f16_f32 v86, v42, v43
	v_cvt_pk_f16_f32 v77, v44, v45
	v_mfma_f32_16x16x16_f16 v[46:49], v[48:49], v[46:47], v[88:91]
	v_cvt_pk_f16_f32 v87, v40, v41
	s_nop 1
	v_cvt_pk_f16_f32 v88, v38, v39
	v_cvt_pk_f16_f32 v90, v34, v35
	s_nop 2
	v_cvt_pk_f16_f32 v85, v46, v47
	v_cvt_pk_f16_f32 v76, v48, v49
	;; [unrolled: 1-line block ×4, first 2 shown]
	s_barrier
	s_cbranch_scc0 .LBB25_500
; %bb.497:                              ;   in Loop: Header=BB25_429 Depth=2
	v_mov_b32_e32 v175, v101
	v_mov_b32_e32 v83, v215
	s_andn2_b64 vcc, exec, s[72:73]
	s_cbranch_vccz .LBB25_420
	s_branch .LBB25_429
.LBB25_498:                             ;   in Loop: Header=BB25_429 Depth=2
                                        ; implicit-def: $vgpr18_vgpr19_vgpr20_vgpr21
                                        ; implicit-def: $vgpr22_vgpr23_vgpr24_vgpr25
                                        ; implicit-def: $vgpr26_vgpr27_vgpr28_vgpr29
                                        ; implicit-def: $vgpr30_vgpr31_vgpr32_vgpr33
	s_branch .LBB25_495
.LBB25_499:                             ;   in Loop: Header=BB25_13 Depth=1
	v_mov_b32_e32 v215, 0xfeffffff
	s_mov_b32 s66, 0
	v_mov_b32_e32 v101, 0
	v_mov_b32_e32 v159, 0
	;; [unrolled: 1-line block ×17, first 2 shown]
	s_branch .LBB25_501
.LBB25_500:                             ;   in Loop: Header=BB25_13 Depth=1
	s_lshl_b32 s66, s40, 6
	v_add_u32_e32 v83, 12, v172
	v_add_u32_e32 v116, 8, v172
	;; [unrolled: 1-line block ×3, first 2 shown]
	v_mov_b32_e32 v118, v223
	v_add_u32_e32 v119, 16, v177
	v_add_u32_e32 v120, 32, v177
	;; [unrolled: 1-line block ×6, first 2 shown]
	v_or_b32_e32 v125, 1, v180
.LBB25_501:                             ;   in Loop: Header=BB25_13 Depth=1
	v_cmp_eq_u64_e32 vcc, 0, v[102:103]
	v_readlane_b32 s38, v254, 4
	s_sub_i32 s40, s38, s66
	v_readlane_b32 s39, v254, 5
	s_cbranch_vccnz .LBB25_519
; %bb.502:                              ;   in Loop: Header=BB25_13 Depth=1
	v_cmp_le_i32_e32 vcc, s40, v50
	s_and_saveexec_b64 s[38:39], vcc
	s_xor_b64 s[38:39], exec, s[38:39]
	s_cbranch_execz .LBB25_504
; %bb.503:                              ;   in Loop: Header=BB25_13 Depth=1
	ds_write_b16 v176, v53 offset:17408
	ds_write_b16 v242, v53 offset:17408
.LBB25_504:                             ;   in Loop: Header=BB25_13 Depth=1
	s_or_saveexec_b64 s[38:39], s[38:39]
	s_lshl_b64 s[42:43], s[66:67], 1
	v_lshl_add_u64 v[0:1], v[102:103], 0, s[42:43]
	v_lshlrev_b32_e32 v52, 1, v50
	v_lshl_add_u64 v[18:19], v[0:1], 0, v[52:53]
	v_mov_b32_e32 v1, 0
	v_mov_b32_e32 v20, 0
	s_xor_b64 exec, exec, s[38:39]
	s_cbranch_execz .LBB25_506
; %bb.505:                              ;   in Loop: Header=BB25_13 Depth=1
	v_mul_hi_u32 v0, s58, v214
	v_add_u32_e32 v0, v214, v0
	v_lshrrev_b32_e32 v0, s59, v0
	v_mul_lo_u32 v0, v0, s68
	v_sub_u32_e32 v0, v214, v0
	v_mad_i64_i32 v[0:1], s[42:43], v0, s94, 0
	v_lshl_add_u64 v[0:1], v[0:1], 1, v[18:19]
	global_load_ushort v20, v[0:1], off
	v_mul_hi_u32 v0, s58, v82
	v_add_u32_e32 v0, v82, v0
	v_lshrrev_b32_e32 v0, s59, v0
	v_mul_lo_u32 v0, v0, s68
	v_sub_u32_e32 v0, v82, v0
	v_mad_i64_i32 v[0:1], s[42:43], v0, s94, 0
	v_lshl_add_u64 v[0:1], v[0:1], 1, v[18:19]
	global_load_ushort v0, v[0:1], off
	s_waitcnt vmcnt(1)
	ds_write_b16 v176, v20 offset:17408
	s_waitcnt vmcnt(0)
	ds_write_b16 v242, v0 offset:17408
	v_mul_hi_u32 v0, s58, v81
	v_add_u32_e32 v0, v81, v0
	v_lshrrev_b32_e32 v0, s59, v0
	v_mul_lo_u32 v0, v0, s68
	v_sub_u32_e32 v0, v81, v0
	v_mad_i64_i32 v[0:1], s[42:43], v0, s94, 0
	v_lshl_add_u64 v[0:1], v[0:1], 1, v[18:19]
	global_load_ushort v1, v[0:1], off
	v_mul_hi_u32 v0, s58, v80
	v_add_u32_e32 v0, v80, v0
	v_lshrrev_b32_e32 v0, s59, v0
	v_mul_lo_u32 v0, v0, s68
	v_sub_u32_e32 v0, v80, v0
	v_mad_i64_i32 v[20:21], s[42:43], v0, s94, 0
	v_lshl_add_u64 v[20:21], v[20:21], 1, v[18:19]
	global_load_ushort v20, v[20:21], off
.LBB25_506:                             ;   in Loop: Header=BB25_13 Depth=1
	s_or_b64 exec, exec, s[38:39]
	s_waitcnt vmcnt(1)
	ds_write_b16 v243, v1 offset:17408
	s_waitcnt vmcnt(0)
	ds_write_b16 v244, v20 offset:17408
	s_and_saveexec_b64 s[38:39], vcc
	s_xor_b64 s[38:39], exec, s[38:39]
	s_cbranch_execz .LBB25_508
; %bb.507:                              ;   in Loop: Header=BB25_13 Depth=1
	ds_write_b16 v245, v53 offset:17408
	ds_write_b16 v246, v53 offset:17408
.LBB25_508:                             ;   in Loop: Header=BB25_13 Depth=1
	s_or_saveexec_b64 s[38:39], s[38:39]
	v_mov_b32_e32 v1, 0
	v_mov_b32_e32 v20, 0
	s_xor_b64 exec, exec, s[38:39]
	s_cbranch_execz .LBB25_510
; %bb.509:                              ;   in Loop: Header=BB25_13 Depth=1
	v_mul_hi_u32 v0, s58, v79
	v_add_u32_e32 v0, v79, v0
	v_lshrrev_b32_e32 v0, s59, v0
	v_mul_lo_u32 v0, v0, s68
	v_sub_u32_e32 v0, v79, v0
	v_mad_i64_i32 v[0:1], s[42:43], v0, s94, 0
	v_lshl_add_u64 v[0:1], v[0:1], 1, v[18:19]
	global_load_ushort v20, v[0:1], off
	v_mul_hi_u32 v0, s58, v78
	v_add_u32_e32 v0, v78, v0
	v_lshrrev_b32_e32 v0, s59, v0
	v_mul_lo_u32 v0, v0, s68
	v_sub_u32_e32 v0, v78, v0
	v_mad_i64_i32 v[0:1], s[42:43], v0, s94, 0
	v_lshl_add_u64 v[0:1], v[0:1], 1, v[18:19]
	global_load_ushort v0, v[0:1], off
	s_waitcnt vmcnt(1)
	ds_write_b16 v245, v20 offset:17408
	s_waitcnt vmcnt(0)
	ds_write_b16 v246, v0 offset:17408
	v_mul_hi_u32 v0, s58, v239
	v_add_u32_e32 v0, v239, v0
	v_lshrrev_b32_e32 v0, s59, v0
	v_mul_lo_u32 v0, v0, s68
	v_sub_u32_e32 v0, v239, v0
	v_mad_i64_i32 v[0:1], s[42:43], v0, s94, 0
	v_lshl_add_u64 v[0:1], v[0:1], 1, v[18:19]
	global_load_ushort v1, v[0:1], off
	v_mul_hi_u32 v0, s58, v208
	v_add_u32_e32 v0, v208, v0
	v_lshrrev_b32_e32 v0, s59, v0
	v_mul_lo_u32 v0, v0, s68
	v_sub_u32_e32 v0, v208, v0
	v_mad_i64_i32 v[20:21], s[42:43], v0, s94, 0
	v_lshl_add_u64 v[20:21], v[20:21], 1, v[18:19]
	global_load_ushort v20, v[20:21], off
.LBB25_510:                             ;   in Loop: Header=BB25_13 Depth=1
	s_or_b64 exec, exec, s[38:39]
	s_waitcnt vmcnt(1)
	ds_write_b16 v247, v1 offset:17408
	s_waitcnt vmcnt(0)
	ds_write_b16 v248, v20 offset:17408
	s_and_saveexec_b64 s[38:39], vcc
	s_xor_b64 s[38:39], exec, s[38:39]
	s_cbranch_execz .LBB25_512
; %bb.511:                              ;   in Loop: Header=BB25_13 Depth=1
	ds_write_b16 v249, v53 offset:17408
	ds_write_b16 v250, v53 offset:17408
.LBB25_512:                             ;   in Loop: Header=BB25_13 Depth=1
	s_or_saveexec_b64 s[38:39], s[38:39]
	v_mov_b32_e32 v1, 0
	v_mov_b32_e32 v20, 0
	s_xor_b64 exec, exec, s[38:39]
	s_cbranch_execz .LBB25_514
; %bb.513:                              ;   in Loop: Header=BB25_13 Depth=1
	v_mul_hi_u32 v0, s58, v210
	v_add_u32_e32 v0, v210, v0
	v_lshrrev_b32_e32 v0, s59, v0
	v_mul_lo_u32 v0, v0, s68
	v_sub_u32_e32 v0, v210, v0
	v_mad_i64_i32 v[0:1], s[42:43], v0, s94, 0
	v_lshl_add_u64 v[0:1], v[0:1], 1, v[18:19]
	global_load_ushort v20, v[0:1], off
	v_mul_hi_u32 v0, s58, v51
	v_add_u32_e32 v0, v51, v0
	v_lshrrev_b32_e32 v0, s59, v0
	v_mul_lo_u32 v0, v0, s68
	v_sub_u32_e32 v0, v51, v0
	v_mad_i64_i32 v[0:1], s[42:43], v0, s94, 0
	v_lshl_add_u64 v[0:1], v[0:1], 1, v[18:19]
	global_load_ushort v0, v[0:1], off
	s_waitcnt vmcnt(1)
	ds_write_b16 v249, v20 offset:17408
	s_waitcnt vmcnt(0)
	ds_write_b16 v250, v0 offset:17408
	v_mul_hi_u32 v0, s58, v212
	v_add_u32_e32 v0, v212, v0
	v_lshrrev_b32_e32 v0, s59, v0
	v_mul_lo_u32 v0, v0, s68
	v_sub_u32_e32 v0, v212, v0
	v_mad_i64_i32 v[0:1], s[42:43], v0, s94, 0
	v_lshl_add_u64 v[0:1], v[0:1], 1, v[18:19]
	global_load_ushort v1, v[0:1], off
	v_mul_hi_u32 v0, s58, v209
	v_add_u32_e32 v0, v209, v0
	v_lshrrev_b32_e32 v0, s59, v0
	v_mul_lo_u32 v0, v0, s68
	v_sub_u32_e32 v0, v209, v0
	v_mad_i64_i32 v[20:21], s[42:43], v0, s94, 0
	v_lshl_add_u64 v[20:21], v[20:21], 1, v[18:19]
	global_load_ushort v20, v[20:21], off
.LBB25_514:                             ;   in Loop: Header=BB25_13 Depth=1
	s_or_b64 exec, exec, s[38:39]
	s_waitcnt vmcnt(1)
	ds_write_b16 v251, v1 offset:17408
	s_waitcnt vmcnt(0)
	ds_write_b16 v252, v20 offset:17408
	s_and_saveexec_b64 s[38:39], vcc
	s_xor_b64 s[38:39], exec, s[38:39]
	s_cbranch_execz .LBB25_516
; %bb.515:                              ;   in Loop: Header=BB25_13 Depth=1
	ds_write_b16 v253, v53 offset:17408
	ds_write_b16 v234, v53 offset:17408
                                        ; implicit-def: $vgpr18_vgpr19
.LBB25_516:                             ;   in Loop: Header=BB25_13 Depth=1
	s_or_saveexec_b64 s[38:39], s[38:39]
	v_mov_b32_e32 v1, 0
	v_mov_b32_e32 v20, 0
	s_xor_b64 exec, exec, s[38:39]
	s_cbranch_execz .LBB25_518
; %bb.517:                              ;   in Loop: Header=BB25_13 Depth=1
	v_mul_hi_u32 v0, s58, v203
	v_add_u32_e32 v0, v203, v0
	v_lshrrev_b32_e32 v0, s59, v0
	v_mul_lo_u32 v0, v0, s68
	v_sub_u32_e32 v0, v203, v0
	v_mad_i64_i32 v[0:1], s[42:43], v0, s94, 0
	v_lshl_add_u64 v[0:1], v[0:1], 1, v[18:19]
	global_load_ushort v20, v[0:1], off
	v_mul_hi_u32 v0, s58, v204
	v_add_u32_e32 v0, v204, v0
	v_lshrrev_b32_e32 v0, s59, v0
	v_mul_lo_u32 v0, v0, s68
	v_sub_u32_e32 v0, v204, v0
	v_mad_i64_i32 v[0:1], s[42:43], v0, s94, 0
	v_lshl_add_u64 v[0:1], v[0:1], 1, v[18:19]
	global_load_ushort v0, v[0:1], off
	s_waitcnt vmcnt(1)
	ds_write_b16 v253, v20 offset:17408
	s_waitcnt vmcnt(0)
	ds_write_b16 v234, v0 offset:17408
	v_mul_hi_u32 v0, s58, v205
	v_add_u32_e32 v0, v205, v0
	v_lshrrev_b32_e32 v0, s59, v0
	v_mul_lo_u32 v0, v0, s68
	v_sub_u32_e32 v0, v205, v0
	v_mad_i64_i32 v[0:1], s[42:43], v0, s94, 0
	v_lshl_add_u64 v[0:1], v[0:1], 1, v[18:19]
	global_load_ushort v1, v[0:1], off
	v_mul_hi_u32 v0, s58, v211
	v_add_u32_e32 v0, v211, v0
	v_lshrrev_b32_e32 v0, s59, v0
	v_mul_lo_u32 v0, v0, s68
	v_sub_u32_e32 v0, v211, v0
	v_mad_i64_i32 v[20:21], s[42:43], v0, s94, 0
	v_lshl_add_u64 v[18:19], v[20:21], 1, v[18:19]
	global_load_ushort v20, v[18:19], off
.LBB25_518:                             ;   in Loop: Header=BB25_13 Depth=1
	s_or_b64 exec, exec, s[38:39]
	s_waitcnt vmcnt(1)
	ds_write_b16 v232, v1 offset:17408
	s_waitcnt vmcnt(0)
	ds_write_b16 v235, v20 offset:17408
.LBB25_519:                             ;   in Loop: Header=BB25_13 Depth=1
	s_mul_i32 s38, s66, s99
	s_mul_hi_u32 s39, s66, s98
	s_add_i32 s39, s39, s38
	s_mul_i32 s38, s66, s98
	s_lshl_b64 s[38:39], s[38:39], 2
	v_lshl_add_u64 v[0:1], v[104:105], 0, s[38:39]
	v_lshlrev_b32_e32 v52, 2, v56
	v_lshl_add_u64 v[20:21], v[60:61], 2, v[0:1]
	v_lshl_add_u64 v[18:19], v[58:59], 2, v[0:1]
	v_mov_b32_e32 v26, s57
	v_cmp_gt_i32_e64 s[76:77], s40, v119
	v_lshl_add_u64 v[20:21], v[20:21], 0, v[52:53]
	v_cmp_gt_i32_e64 s[74:75], s40, v177
	v_lshl_add_u64 v[18:19], v[18:19], 0, v[52:53]
	v_cndmask_b32_e64 v23, v26, v21, s[76:77]
	v_cndmask_b32_e64 v22, v236, v20, s[76:77]
	v_lshl_add_u64 v[20:21], v[62:63], 2, v[0:1]
	v_cndmask_b32_e64 v19, v26, v19, s[74:75]
	v_cndmask_b32_e64 v18, v236, v18, s[74:75]
	v_cmp_gt_i32_e64 s[78:79], s40, v120
	v_lshl_add_u64 v[20:21], v[20:21], 0, v[52:53]
	scratch_store_dwordx4 off, v[228:231], off
	v_cndmask_b32_e64 v25, v26, v21, s[78:79]
	v_cndmask_b32_e64 v24, v236, v20, s[78:79]
	flat_load_dwordx4 v[18:21], v[18:19]
	v_lshl_add_u64 v[0:1], v[64:65], 2, v[0:1]
	v_cmp_gt_i32_e64 s[80:81], s40, v121
	v_lshl_add_u64 v[0:1], v[0:1], 0, v[52:53]
	s_waitcnt vmcnt(0) lgkmcnt(0)
	ds_write_b128 v178, v[18:21]
	flat_load_dwordx4 v[18:21], v[22:23]
	v_cndmask_b32_e64 v1, v26, v1, s[80:81]
	v_cndmask_b32_e64 v0, v236, v0, s[80:81]
	s_waitcnt vmcnt(0) lgkmcnt(0)
	ds_write_b128 v233, v[18:21]
	flat_load_dwordx4 v[18:21], v[24:25]
	s_waitcnt vmcnt(0) lgkmcnt(0)
	ds_write_b128 v227, v[18:21]
	flat_load_dwordx4 v[18:21], v[0:1]
	v_add_u32_e32 v0, 0x1000, v179
                                        ; implicit-def: $vgpr1
	s_waitcnt vmcnt(0) lgkmcnt(0)
	ds_write_b128 v238, v[18:21]
	s_waitcnt lgkmcnt(0)
	s_barrier
	ds_read2_b64 v[18:21], v179 offset1:4
	s_waitcnt lgkmcnt(0)
	v_mfma_f32_16x16x16_f16 v[22:25], v[18:19], v[14:15], 0
	v_mfma_f32_16x16x16_f16 v[18:21], v[20:21], v[16:17], v[22:25]
	s_nop 6
	ds_read2_b64 v[22:25], v179 offset0:8 offset1:12
	s_waitcnt lgkmcnt(0)
	v_mfma_f32_16x16x16_f16 v[18:21], v[22:23], v[10:11], v[18:21]
	v_mfma_f32_16x16x16_f16 v[18:21], v[24:25], v[12:13], v[18:21]
	ds_read2_b64 v[22:25], v179 offset0:16 offset1:20
	s_waitcnt lgkmcnt(0)
	v_mfma_f32_16x16x16_f16 v[18:21], v[22:23], v[6:7], v[18:21]
	v_mfma_f32_16x16x16_f16 v[18:21], v[24:25], v[8:9], v[18:21]
	;; [unrolled: 4-line block ×3, first 2 shown]
	ds_read2_b64 v[22:25], v0 offset0:32 offset1:36
	s_waitcnt lgkmcnt(0)
	v_mfma_f32_16x16x16_f16 v[26:29], v[22:23], v[14:15], 0
	s_nop 4
	v_cmp_nlt_f32_e64 s[38:39], |v18|, s71
	v_mfma_f32_16x16x16_f16 v[22:25], v[24:25], v[16:17], v[26:29]
	s_nop 2
	ds_read2_b64 v[26:29], v0 offset0:40 offset1:44
	s_waitcnt lgkmcnt(0)
	v_mfma_f32_16x16x16_f16 v[22:25], v[26:27], v[10:11], v[22:25]
	v_mfma_f32_16x16x16_f16 v[22:25], v[28:29], v[12:13], v[22:25]
	ds_read2_b64 v[26:29], v0 offset0:48 offset1:52
	s_waitcnt lgkmcnt(0)
	v_mfma_f32_16x16x16_f16 v[22:25], v[26:27], v[6:7], v[22:25]
	v_mfma_f32_16x16x16_f16 v[22:25], v[28:29], v[8:9], v[22:25]
	ds_read2_b64 v[26:29], v0 offset0:56 offset1:60
	v_add_u32_e32 v0, 0x2000, v179
	s_waitcnt lgkmcnt(0)
	v_mfma_f32_16x16x16_f16 v[22:25], v[26:27], v[2:3], v[22:25]
	v_mfma_f32_16x16x16_f16 v[22:25], v[28:29], v[4:5], v[22:25]
	ds_read2_b64 v[26:29], v0 offset0:64 offset1:68
	s_waitcnt lgkmcnt(0)
	v_mfma_f32_16x16x16_f16 v[30:33], v[26:27], v[14:15], 0
	v_mfma_f32_16x16x16_f16 v[26:29], v[28:29], v[16:17], v[30:33]
	s_nop 6
	ds_read2_b64 v[30:33], v0 offset0:72 offset1:76
	s_waitcnt lgkmcnt(0)
	v_mfma_f32_16x16x16_f16 v[26:29], v[30:31], v[10:11], v[26:29]
	v_mfma_f32_16x16x16_f16 v[26:29], v[32:33], v[12:13], v[26:29]
	ds_read2_b64 v[30:33], v0 offset0:80 offset1:84
	s_waitcnt lgkmcnt(0)
	v_mfma_f32_16x16x16_f16 v[26:29], v[30:31], v[6:7], v[26:29]
	v_mfma_f32_16x16x16_f16 v[26:29], v[32:33], v[8:9], v[26:29]
	ds_read2_b64 v[30:33], v0 offset0:88 offset1:92
	v_add_u32_e32 v0, 0x3000, v179
	s_waitcnt lgkmcnt(0)
	v_mfma_f32_16x16x16_f16 v[26:29], v[30:31], v[2:3], v[26:29]
	v_mfma_f32_16x16x16_f16 v[26:29], v[32:33], v[4:5], v[26:29]
	ds_read2_b64 v[30:33], v0 offset0:96 offset1:100
	s_waitcnt lgkmcnt(0)
	v_mfma_f32_16x16x16_f16 v[34:37], v[30:31], v[14:15], 0
	v_mfma_f32_16x16x16_f16 v[14:17], v[32:33], v[16:17], v[34:37]
	ds_read2_b64 v[30:33], v0 offset0:104 offset1:108
	s_waitcnt lgkmcnt(0)
	v_mfma_f32_16x16x16_f16 v[14:17], v[30:31], v[10:11], v[14:17]
	v_mfma_f32_16x16x16_f16 v[10:13], v[32:33], v[12:13], v[14:17]
	s_nop 6
	ds_read2_b64 v[14:17], v0 offset0:112 offset1:116
	s_waitcnt lgkmcnt(0)
	v_mfma_f32_16x16x16_f16 v[10:13], v[14:15], v[6:7], v[10:13]
	v_mfma_f32_16x16x16_f16 v[6:9], v[16:17], v[8:9], v[10:13]
	s_nop 6
	ds_read2_b64 v[10:13], v0 offset0:120 offset1:124
	s_waitcnt lgkmcnt(0)
	v_mfma_f32_16x16x16_f16 v[6:9], v[10:11], v[2:3], v[6:9]
	s_barrier
	v_mfma_f32_16x16x16_f16 v[2:5], v[12:13], v[4:5], v[6:9]
	s_and_saveexec_b64 s[42:43], s[38:39]
	s_xor_b64 s[38:39], exec, s[42:43]
	s_cbranch_execz .LBB25_521
; %bb.520:                              ;   in Loop: Header=BB25_13 Depth=1
	v_add_f32_e64 v0, |v18|, |v18|
	v_mul_f32_e32 v1, 0x3fb8aa3b, v0
	s_nop 0
	v_rndne_f32_e32 v6, v1
	v_sub_f32_e32 v7, v1, v6
	v_fma_f32 v1, v0, s56, -v1
	v_fmac_f32_e32 v1, 0x32a5705f, v0
	v_add_f32_e32 v1, v7, v1
	v_cvt_i32_f32_e32 v6, v6
	v_exp_f32_e32 v1, v1
	v_cmp_ngt_f32_e32 vcc, s33, v0
	v_ldexp_f32 v1, v1, v6
	s_nop 0
	v_cndmask_b32_e32 v1, 0, v1, vcc
	v_cmp_nlt_f32_e32 vcc, s69, v0
	s_nop 1
	v_cndmask_b32_e32 v0, v213, v1, vcc
	v_add_f32_e32 v0, 1.0, v0
	v_rcp_f32_e32 v0, v0
	s_nop 0
	v_fma_f32 v1, v0, -2.0, 1.0
.LBB25_521:                             ;   in Loop: Header=BB25_13 Depth=1
	s_andn2_saveexec_b64 s[38:39], s[38:39]
; %bb.522:                              ;   in Loop: Header=BB25_13 Depth=1
	v_mul_f32_e32 v0, v18, v18
	v_fmamk_f32 v1, v0, 0xbbbac73d, v217
	v_fmaak_f32 v1, v0, v1, 0xbd5c1c4e
	v_fmaak_f32 v1, v0, v1, 0x3e088382
	;; [unrolled: 1-line block ×3, first 2 shown]
	v_mul_f32_e64 v1, |v18|, v1
	v_fma_f32 v1, v0, v1, |v18|
; %bb.523:                              ;   in Loop: Header=BB25_13 Depth=1
	s_or_b64 exec, exec, s[38:39]
	v_cmp_nlt_f32_e64 s[38:39], |v19|, s71
                                        ; implicit-def: $vgpr6
	s_and_saveexec_b64 s[42:43], s[38:39]
	s_xor_b64 s[38:39], exec, s[42:43]
	s_cbranch_execz .LBB25_525
; %bb.524:                              ;   in Loop: Header=BB25_13 Depth=1
	v_add_f32_e64 v0, |v19|, |v19|
	v_mul_f32_e32 v6, 0x3fb8aa3b, v0
	v_rndne_f32_e32 v7, v6
	v_sub_f32_e32 v8, v6, v7
	v_fma_f32 v6, v0, s56, -v6
	v_fmac_f32_e32 v6, 0x32a5705f, v0
	v_add_f32_e32 v6, v8, v6
	v_cvt_i32_f32_e32 v7, v7
	v_exp_f32_e32 v6, v6
	v_cmp_ngt_f32_e32 vcc, s33, v0
	v_ldexp_f32 v6, v6, v7
	s_nop 0
	v_cndmask_b32_e32 v6, 0, v6, vcc
	v_cmp_nlt_f32_e32 vcc, s69, v0
	s_nop 1
	v_cndmask_b32_e32 v0, v213, v6, vcc
	v_add_f32_e32 v0, 1.0, v0
	v_rcp_f32_e32 v0, v0
	s_nop 0
	v_fma_f32 v6, v0, -2.0, 1.0
.LBB25_525:                             ;   in Loop: Header=BB25_13 Depth=1
	s_andn2_saveexec_b64 s[38:39], s[38:39]
; %bb.526:                              ;   in Loop: Header=BB25_13 Depth=1
	v_mul_f32_e32 v0, v19, v19
	v_fmamk_f32 v6, v0, 0xbbbac73d, v217
	v_fmaak_f32 v6, v0, v6, 0xbd5c1c4e
	v_fmaak_f32 v6, v0, v6, 0x3e088382
	v_fmaak_f32 v6, v0, v6, 0xbeaaaa99
	v_mul_f32_e64 v6, |v19|, v6
	v_fma_f32 v6, v0, v6, |v19|
; %bb.527:                              ;   in Loop: Header=BB25_13 Depth=1
	s_or_b64 exec, exec, s[38:39]
	v_cmp_nlt_f32_e64 s[38:39], |v20|, s71
                                        ; implicit-def: $vgpr7
	s_and_saveexec_b64 s[42:43], s[38:39]
	s_xor_b64 s[38:39], exec, s[42:43]
	s_cbranch_execz .LBB25_529
; %bb.528:                              ;   in Loop: Header=BB25_13 Depth=1
	v_add_f32_e64 v0, |v20|, |v20|
	v_mul_f32_e32 v7, 0x3fb8aa3b, v0
	v_rndne_f32_e32 v8, v7
	v_sub_f32_e32 v9, v7, v8
	v_fma_f32 v7, v0, s56, -v7
	v_fmac_f32_e32 v7, 0x32a5705f, v0
	v_add_f32_e32 v7, v9, v7
	v_cvt_i32_f32_e32 v8, v8
	v_exp_f32_e32 v7, v7
	v_cmp_ngt_f32_e32 vcc, s33, v0
	v_ldexp_f32 v7, v7, v8
	s_nop 0
	v_cndmask_b32_e32 v7, 0, v7, vcc
	v_cmp_nlt_f32_e32 vcc, s69, v0
	s_nop 1
	v_cndmask_b32_e32 v0, v213, v7, vcc
	v_add_f32_e32 v0, 1.0, v0
	v_rcp_f32_e32 v0, v0
	s_nop 0
	v_fma_f32 v7, v0, -2.0, 1.0
.LBB25_529:                             ;   in Loop: Header=BB25_13 Depth=1
	s_andn2_saveexec_b64 s[38:39], s[38:39]
; %bb.530:                              ;   in Loop: Header=BB25_13 Depth=1
	v_mul_f32_e32 v0, v20, v20
	v_fmamk_f32 v7, v0, 0xbbbac73d, v217
	v_fmaak_f32 v7, v0, v7, 0xbd5c1c4e
	v_fmaak_f32 v7, v0, v7, 0x3e088382
	;; [unrolled: 1-line block ×3, first 2 shown]
	v_mul_f32_e64 v7, |v20|, v7
	v_fma_f32 v7, v0, v7, |v20|
; %bb.531:                              ;   in Loop: Header=BB25_13 Depth=1
	s_or_b64 exec, exec, s[38:39]
	v_cmp_nlt_f32_e64 s[38:39], |v21|, s71
                                        ; implicit-def: $vgpr8
	s_and_saveexec_b64 s[42:43], s[38:39]
	s_xor_b64 s[38:39], exec, s[42:43]
	s_cbranch_execz .LBB25_533
; %bb.532:                              ;   in Loop: Header=BB25_13 Depth=1
	v_add_f32_e64 v0, |v21|, |v21|
	v_mul_f32_e32 v8, 0x3fb8aa3b, v0
	v_rndne_f32_e32 v9, v8
	v_sub_f32_e32 v10, v8, v9
	v_fma_f32 v8, v0, s56, -v8
	v_fmac_f32_e32 v8, 0x32a5705f, v0
	v_add_f32_e32 v8, v10, v8
	v_cvt_i32_f32_e32 v9, v9
	v_exp_f32_e32 v8, v8
	v_cmp_ngt_f32_e32 vcc, s33, v0
	v_ldexp_f32 v8, v8, v9
	s_nop 0
	v_cndmask_b32_e32 v8, 0, v8, vcc
	v_cmp_nlt_f32_e32 vcc, s69, v0
	s_nop 1
	v_cndmask_b32_e32 v0, v213, v8, vcc
	v_add_f32_e32 v0, 1.0, v0
	v_rcp_f32_e32 v0, v0
	s_nop 0
	v_fma_f32 v8, v0, -2.0, 1.0
.LBB25_533:                             ;   in Loop: Header=BB25_13 Depth=1
	s_andn2_saveexec_b64 s[38:39], s[38:39]
; %bb.534:                              ;   in Loop: Header=BB25_13 Depth=1
	v_mul_f32_e32 v0, v21, v21
	v_fmamk_f32 v8, v0, 0xbbbac73d, v217
	v_fmaak_f32 v8, v0, v8, 0xbd5c1c4e
	v_fmaak_f32 v8, v0, v8, 0x3e088382
	;; [unrolled: 1-line block ×3, first 2 shown]
	v_mul_f32_e64 v8, |v21|, v8
	v_fma_f32 v8, v0, v8, |v21|
; %bb.535:                              ;   in Loop: Header=BB25_13 Depth=1
	s_or_b64 exec, exec, s[38:39]
	v_cmp_nlt_f32_e64 s[38:39], |v22|, s71
                                        ; implicit-def: $vgpr9
	s_and_saveexec_b64 s[42:43], s[38:39]
	s_xor_b64 s[38:39], exec, s[42:43]
	s_cbranch_execz .LBB25_537
; %bb.536:                              ;   in Loop: Header=BB25_13 Depth=1
	v_add_f32_e64 v0, |v22|, |v22|
	v_mul_f32_e32 v9, 0x3fb8aa3b, v0
	v_rndne_f32_e32 v10, v9
	v_sub_f32_e32 v11, v9, v10
	v_fma_f32 v9, v0, s56, -v9
	v_fmac_f32_e32 v9, 0x32a5705f, v0
	v_add_f32_e32 v9, v11, v9
	v_cvt_i32_f32_e32 v10, v10
	v_exp_f32_e32 v9, v9
	v_cmp_ngt_f32_e32 vcc, s33, v0
	v_ldexp_f32 v9, v9, v10
	s_nop 0
	v_cndmask_b32_e32 v9, 0, v9, vcc
	v_cmp_nlt_f32_e32 vcc, s69, v0
	s_nop 1
	v_cndmask_b32_e32 v0, v213, v9, vcc
	v_add_f32_e32 v0, 1.0, v0
	v_rcp_f32_e32 v0, v0
	s_nop 0
	v_fma_f32 v9, v0, -2.0, 1.0
.LBB25_537:                             ;   in Loop: Header=BB25_13 Depth=1
	s_andn2_saveexec_b64 s[38:39], s[38:39]
; %bb.538:                              ;   in Loop: Header=BB25_13 Depth=1
	v_mul_f32_e32 v0, v22, v22
	v_fmamk_f32 v9, v0, 0xbbbac73d, v217
	v_fmaak_f32 v9, v0, v9, 0xbd5c1c4e
	v_fmaak_f32 v9, v0, v9, 0x3e088382
	;; [unrolled: 1-line block ×3, first 2 shown]
	v_mul_f32_e64 v9, |v22|, v9
	v_fma_f32 v9, v0, v9, |v22|
; %bb.539:                              ;   in Loop: Header=BB25_13 Depth=1
	s_or_b64 exec, exec, s[38:39]
	v_cmp_nlt_f32_e64 s[38:39], |v23|, s71
                                        ; implicit-def: $vgpr10
	s_and_saveexec_b64 s[42:43], s[38:39]
	s_xor_b64 s[38:39], exec, s[42:43]
	s_cbranch_execz .LBB25_541
; %bb.540:                              ;   in Loop: Header=BB25_13 Depth=1
	v_add_f32_e64 v0, |v23|, |v23|
	v_mul_f32_e32 v10, 0x3fb8aa3b, v0
	v_rndne_f32_e32 v11, v10
	v_sub_f32_e32 v12, v10, v11
	v_fma_f32 v10, v0, s56, -v10
	v_fmac_f32_e32 v10, 0x32a5705f, v0
	v_add_f32_e32 v10, v12, v10
	v_cvt_i32_f32_e32 v11, v11
	v_exp_f32_e32 v10, v10
	v_cmp_ngt_f32_e32 vcc, s33, v0
	v_ldexp_f32 v10, v10, v11
	s_nop 0
	v_cndmask_b32_e32 v10, 0, v10, vcc
	v_cmp_nlt_f32_e32 vcc, s69, v0
	s_nop 1
	v_cndmask_b32_e32 v0, v213, v10, vcc
	v_add_f32_e32 v0, 1.0, v0
	v_rcp_f32_e32 v0, v0
	s_nop 0
	v_fma_f32 v10, v0, -2.0, 1.0
.LBB25_541:                             ;   in Loop: Header=BB25_13 Depth=1
	s_andn2_saveexec_b64 s[38:39], s[38:39]
; %bb.542:                              ;   in Loop: Header=BB25_13 Depth=1
	v_mul_f32_e32 v0, v23, v23
	v_fmamk_f32 v10, v0, 0xbbbac73d, v217
	v_fmaak_f32 v10, v0, v10, 0xbd5c1c4e
	v_fmaak_f32 v10, v0, v10, 0x3e088382
	;; [unrolled: 1-line block ×3, first 2 shown]
	v_mul_f32_e64 v10, |v23|, v10
	v_fma_f32 v10, v0, v10, |v23|
; %bb.543:                              ;   in Loop: Header=BB25_13 Depth=1
	s_or_b64 exec, exec, s[38:39]
	v_cmp_nlt_f32_e64 s[38:39], |v24|, s71
                                        ; implicit-def: $vgpr11
	s_and_saveexec_b64 s[42:43], s[38:39]
	s_xor_b64 s[38:39], exec, s[42:43]
	s_cbranch_execz .LBB25_545
; %bb.544:                              ;   in Loop: Header=BB25_13 Depth=1
	v_add_f32_e64 v0, |v24|, |v24|
	v_mul_f32_e32 v11, 0x3fb8aa3b, v0
	v_rndne_f32_e32 v12, v11
	v_sub_f32_e32 v13, v11, v12
	v_fma_f32 v11, v0, s56, -v11
	v_fmac_f32_e32 v11, 0x32a5705f, v0
	v_add_f32_e32 v11, v13, v11
	v_cvt_i32_f32_e32 v12, v12
	v_exp_f32_e32 v11, v11
	v_cmp_ngt_f32_e32 vcc, s33, v0
	v_ldexp_f32 v11, v11, v12
	s_nop 0
	v_cndmask_b32_e32 v11, 0, v11, vcc
	v_cmp_nlt_f32_e32 vcc, s69, v0
	s_nop 1
	v_cndmask_b32_e32 v0, v213, v11, vcc
	v_add_f32_e32 v0, 1.0, v0
	v_rcp_f32_e32 v0, v0
	s_nop 0
	v_fma_f32 v11, v0, -2.0, 1.0
.LBB25_545:                             ;   in Loop: Header=BB25_13 Depth=1
	s_andn2_saveexec_b64 s[38:39], s[38:39]
; %bb.546:                              ;   in Loop: Header=BB25_13 Depth=1
	v_mul_f32_e32 v0, v24, v24
	v_fmamk_f32 v11, v0, 0xbbbac73d, v217
	v_fmaak_f32 v11, v0, v11, 0xbd5c1c4e
	v_fmaak_f32 v11, v0, v11, 0x3e088382
	;; [unrolled: 1-line block ×3, first 2 shown]
	v_mul_f32_e64 v11, |v24|, v11
	v_fma_f32 v11, v0, v11, |v24|
; %bb.547:                              ;   in Loop: Header=BB25_13 Depth=1
	s_or_b64 exec, exec, s[38:39]
	v_cmp_nlt_f32_e64 s[38:39], |v25|, s71
                                        ; implicit-def: $vgpr12
	s_and_saveexec_b64 s[42:43], s[38:39]
	s_xor_b64 s[38:39], exec, s[42:43]
	s_cbranch_execz .LBB25_549
; %bb.548:                              ;   in Loop: Header=BB25_13 Depth=1
	v_add_f32_e64 v0, |v25|, |v25|
	v_mul_f32_e32 v12, 0x3fb8aa3b, v0
	v_rndne_f32_e32 v13, v12
	v_sub_f32_e32 v14, v12, v13
	v_fma_f32 v12, v0, s56, -v12
	v_fmac_f32_e32 v12, 0x32a5705f, v0
	v_add_f32_e32 v12, v14, v12
	v_cvt_i32_f32_e32 v13, v13
	v_exp_f32_e32 v12, v12
	v_cmp_ngt_f32_e32 vcc, s33, v0
	v_ldexp_f32 v12, v12, v13
	s_nop 0
	v_cndmask_b32_e32 v12, 0, v12, vcc
	v_cmp_nlt_f32_e32 vcc, s69, v0
	s_nop 1
	v_cndmask_b32_e32 v0, v213, v12, vcc
	v_add_f32_e32 v0, 1.0, v0
	v_rcp_f32_e32 v0, v0
	s_nop 0
	v_fma_f32 v12, v0, -2.0, 1.0
.LBB25_549:                             ;   in Loop: Header=BB25_13 Depth=1
	s_andn2_saveexec_b64 s[38:39], s[38:39]
; %bb.550:                              ;   in Loop: Header=BB25_13 Depth=1
	v_mul_f32_e32 v0, v25, v25
	v_fmamk_f32 v12, v0, 0xbbbac73d, v217
	v_fmaak_f32 v12, v0, v12, 0xbd5c1c4e
	v_fmaak_f32 v12, v0, v12, 0x3e088382
	;; [unrolled: 1-line block ×3, first 2 shown]
	v_mul_f32_e64 v12, |v25|, v12
	v_fma_f32 v12, v0, v12, |v25|
; %bb.551:                              ;   in Loop: Header=BB25_13 Depth=1
	s_or_b64 exec, exec, s[38:39]
	v_cmp_nlt_f32_e64 s[38:39], |v26|, s71
                                        ; implicit-def: $vgpr13
	s_and_saveexec_b64 s[42:43], s[38:39]
	s_xor_b64 s[38:39], exec, s[42:43]
	s_cbranch_execz .LBB25_553
; %bb.552:                              ;   in Loop: Header=BB25_13 Depth=1
	v_add_f32_e64 v0, |v26|, |v26|
	v_mul_f32_e32 v13, 0x3fb8aa3b, v0
	v_rndne_f32_e32 v14, v13
	v_sub_f32_e32 v15, v13, v14
	v_fma_f32 v13, v0, s56, -v13
	v_fmac_f32_e32 v13, 0x32a5705f, v0
	v_add_f32_e32 v13, v15, v13
	v_cvt_i32_f32_e32 v14, v14
	v_exp_f32_e32 v13, v13
	v_cmp_ngt_f32_e32 vcc, s33, v0
	v_ldexp_f32 v13, v13, v14
	s_nop 0
	v_cndmask_b32_e32 v13, 0, v13, vcc
	v_cmp_nlt_f32_e32 vcc, s69, v0
	s_nop 1
	v_cndmask_b32_e32 v0, v213, v13, vcc
	v_add_f32_e32 v0, 1.0, v0
	v_rcp_f32_e32 v0, v0
	s_nop 0
	v_fma_f32 v13, v0, -2.0, 1.0
.LBB25_553:                             ;   in Loop: Header=BB25_13 Depth=1
	s_andn2_saveexec_b64 s[38:39], s[38:39]
; %bb.554:                              ;   in Loop: Header=BB25_13 Depth=1
	v_mul_f32_e32 v0, v26, v26
	v_fmamk_f32 v13, v0, 0xbbbac73d, v217
	v_fmaak_f32 v13, v0, v13, 0xbd5c1c4e
	v_fmaak_f32 v13, v0, v13, 0x3e088382
	;; [unrolled: 1-line block ×3, first 2 shown]
	v_mul_f32_e64 v13, |v26|, v13
	v_fma_f32 v13, v0, v13, |v26|
; %bb.555:                              ;   in Loop: Header=BB25_13 Depth=1
	s_or_b64 exec, exec, s[38:39]
	v_cmp_nlt_f32_e64 s[38:39], |v27|, s71
                                        ; implicit-def: $vgpr14
	s_and_saveexec_b64 s[42:43], s[38:39]
	s_xor_b64 s[38:39], exec, s[42:43]
	s_cbranch_execz .LBB25_557
; %bb.556:                              ;   in Loop: Header=BB25_13 Depth=1
	v_add_f32_e64 v0, |v27|, |v27|
	v_mul_f32_e32 v14, 0x3fb8aa3b, v0
	v_rndne_f32_e32 v15, v14
	v_sub_f32_e32 v16, v14, v15
	v_fma_f32 v14, v0, s56, -v14
	v_fmac_f32_e32 v14, 0x32a5705f, v0
	v_add_f32_e32 v14, v16, v14
	v_cvt_i32_f32_e32 v15, v15
	v_exp_f32_e32 v14, v14
	v_cmp_ngt_f32_e32 vcc, s33, v0
	v_ldexp_f32 v14, v14, v15
	s_nop 0
	v_cndmask_b32_e32 v14, 0, v14, vcc
	v_cmp_nlt_f32_e32 vcc, s69, v0
	s_nop 1
	v_cndmask_b32_e32 v0, v213, v14, vcc
	v_add_f32_e32 v0, 1.0, v0
	v_rcp_f32_e32 v0, v0
	s_nop 0
	v_fma_f32 v14, v0, -2.0, 1.0
.LBB25_557:                             ;   in Loop: Header=BB25_13 Depth=1
	s_andn2_saveexec_b64 s[38:39], s[38:39]
; %bb.558:                              ;   in Loop: Header=BB25_13 Depth=1
	v_mul_f32_e32 v0, v27, v27
	v_fmamk_f32 v14, v0, 0xbbbac73d, v217
	v_fmaak_f32 v14, v0, v14, 0xbd5c1c4e
	v_fmaak_f32 v14, v0, v14, 0x3e088382
	;; [unrolled: 1-line block ×3, first 2 shown]
	v_mul_f32_e64 v14, |v27|, v14
	v_fma_f32 v14, v0, v14, |v27|
; %bb.559:                              ;   in Loop: Header=BB25_13 Depth=1
	s_or_b64 exec, exec, s[38:39]
	v_cmp_nlt_f32_e64 s[38:39], |v28|, s71
                                        ; implicit-def: $vgpr15
	s_and_saveexec_b64 s[42:43], s[38:39]
	s_xor_b64 s[38:39], exec, s[42:43]
	s_cbranch_execz .LBB25_561
; %bb.560:                              ;   in Loop: Header=BB25_13 Depth=1
	v_add_f32_e64 v0, |v28|, |v28|
	v_mul_f32_e32 v15, 0x3fb8aa3b, v0
	v_rndne_f32_e32 v16, v15
	v_sub_f32_e32 v17, v15, v16
	v_fma_f32 v15, v0, s56, -v15
	v_fmac_f32_e32 v15, 0x32a5705f, v0
	v_add_f32_e32 v15, v17, v15
	v_cvt_i32_f32_e32 v16, v16
	v_exp_f32_e32 v15, v15
	v_cmp_ngt_f32_e32 vcc, s33, v0
	v_ldexp_f32 v15, v15, v16
	s_nop 0
	v_cndmask_b32_e32 v15, 0, v15, vcc
	v_cmp_nlt_f32_e32 vcc, s69, v0
	s_nop 1
	v_cndmask_b32_e32 v0, v213, v15, vcc
	v_add_f32_e32 v0, 1.0, v0
	v_rcp_f32_e32 v0, v0
	s_nop 0
	v_fma_f32 v15, v0, -2.0, 1.0
.LBB25_561:                             ;   in Loop: Header=BB25_13 Depth=1
	s_andn2_saveexec_b64 s[38:39], s[38:39]
; %bb.562:                              ;   in Loop: Header=BB25_13 Depth=1
	v_mul_f32_e32 v0, v28, v28
	v_fmamk_f32 v15, v0, 0xbbbac73d, v217
	v_fmaak_f32 v15, v0, v15, 0xbd5c1c4e
	v_fmaak_f32 v15, v0, v15, 0x3e088382
	;; [unrolled: 1-line block ×3, first 2 shown]
	v_mul_f32_e64 v15, |v28|, v15
	v_fma_f32 v15, v0, v15, |v28|
; %bb.563:                              ;   in Loop: Header=BB25_13 Depth=1
	s_or_b64 exec, exec, s[38:39]
	v_cmp_nlt_f32_e64 s[38:39], |v29|, s71
                                        ; implicit-def: $vgpr16
	s_and_saveexec_b64 s[42:43], s[38:39]
	s_xor_b64 s[38:39], exec, s[42:43]
	s_cbranch_execz .LBB25_565
; %bb.564:                              ;   in Loop: Header=BB25_13 Depth=1
	v_add_f32_e64 v0, |v29|, |v29|
	v_mul_f32_e32 v16, 0x3fb8aa3b, v0
	v_rndne_f32_e32 v17, v16
	v_sub_f32_e32 v30, v16, v17
	v_fma_f32 v16, v0, s56, -v16
	v_fmac_f32_e32 v16, 0x32a5705f, v0
	v_add_f32_e32 v16, v30, v16
	v_cvt_i32_f32_e32 v17, v17
	v_exp_f32_e32 v16, v16
	v_cmp_ngt_f32_e32 vcc, s33, v0
	v_ldexp_f32 v16, v16, v17
	s_nop 0
	v_cndmask_b32_e32 v16, 0, v16, vcc
	v_cmp_nlt_f32_e32 vcc, s69, v0
	s_nop 1
	v_cndmask_b32_e32 v0, v213, v16, vcc
	v_add_f32_e32 v0, 1.0, v0
	v_rcp_f32_e32 v0, v0
	s_nop 0
	v_fma_f32 v16, v0, -2.0, 1.0
.LBB25_565:                             ;   in Loop: Header=BB25_13 Depth=1
	s_andn2_saveexec_b64 s[38:39], s[38:39]
; %bb.566:                              ;   in Loop: Header=BB25_13 Depth=1
	v_mul_f32_e32 v0, v29, v29
	v_fmamk_f32 v16, v0, 0xbbbac73d, v217
	v_fmaak_f32 v16, v0, v16, 0xbd5c1c4e
	v_fmaak_f32 v16, v0, v16, 0x3e088382
	;; [unrolled: 1-line block ×3, first 2 shown]
	v_mul_f32_e64 v16, |v29|, v16
	v_fma_f32 v16, v0, v16, |v29|
; %bb.567:                              ;   in Loop: Header=BB25_13 Depth=1
	s_or_b64 exec, exec, s[38:39]
	v_cmp_nlt_f32_e64 s[38:39], |v2|, s71
                                        ; implicit-def: $vgpr17
	s_and_saveexec_b64 s[42:43], s[38:39]
	s_xor_b64 s[38:39], exec, s[42:43]
	s_cbranch_execz .LBB25_569
; %bb.568:                              ;   in Loop: Header=BB25_13 Depth=1
	v_add_f32_e64 v0, |v2|, |v2|
	v_mul_f32_e32 v17, 0x3fb8aa3b, v0
	v_rndne_f32_e32 v30, v17
	v_sub_f32_e32 v31, v17, v30
	v_fma_f32 v17, v0, s56, -v17
	v_fmac_f32_e32 v17, 0x32a5705f, v0
	v_add_f32_e32 v17, v31, v17
	v_cvt_i32_f32_e32 v30, v30
	v_exp_f32_e32 v17, v17
	v_cmp_ngt_f32_e32 vcc, s33, v0
	v_ldexp_f32 v17, v17, v30
	s_nop 0
	v_cndmask_b32_e32 v17, 0, v17, vcc
	v_cmp_nlt_f32_e32 vcc, s69, v0
	s_nop 1
	v_cndmask_b32_e32 v0, v213, v17, vcc
	v_add_f32_e32 v0, 1.0, v0
	v_rcp_f32_e32 v0, v0
	s_nop 0
	v_fma_f32 v17, v0, -2.0, 1.0
.LBB25_569:                             ;   in Loop: Header=BB25_13 Depth=1
	s_andn2_saveexec_b64 s[38:39], s[38:39]
; %bb.570:                              ;   in Loop: Header=BB25_13 Depth=1
	v_mul_f32_e32 v0, v2, v2
	v_fmamk_f32 v17, v0, 0xbbbac73d, v217
	v_fmaak_f32 v17, v0, v17, 0xbd5c1c4e
	v_fmaak_f32 v17, v0, v17, 0x3e088382
	;; [unrolled: 1-line block ×3, first 2 shown]
	v_mul_f32_e64 v17, |v2|, v17
	v_fma_f32 v17, v0, v17, |v2|
; %bb.571:                              ;   in Loop: Header=BB25_13 Depth=1
	s_or_b64 exec, exec, s[38:39]
	v_cmp_nlt_f32_e64 s[38:39], |v3|, s71
                                        ; implicit-def: $vgpr31
	s_and_saveexec_b64 s[42:43], s[38:39]
	s_xor_b64 s[38:39], exec, s[42:43]
	s_cbranch_execz .LBB25_573
; %bb.572:                              ;   in Loop: Header=BB25_13 Depth=1
	v_add_f32_e64 v0, |v3|, |v3|
	v_mul_f32_e32 v30, 0x3fb8aa3b, v0
	v_rndne_f32_e32 v31, v30
	v_sub_f32_e32 v32, v30, v31
	v_fma_f32 v30, v0, s56, -v30
	v_fmac_f32_e32 v30, 0x32a5705f, v0
	v_add_f32_e32 v30, v32, v30
	v_cvt_i32_f32_e32 v31, v31
	v_exp_f32_e32 v30, v30
	v_cmp_ngt_f32_e32 vcc, s33, v0
	v_ldexp_f32 v30, v30, v31
	s_nop 0
	v_cndmask_b32_e32 v30, 0, v30, vcc
	v_cmp_nlt_f32_e32 vcc, s69, v0
	s_nop 1
	v_cndmask_b32_e32 v0, v213, v30, vcc
	v_add_f32_e32 v0, 1.0, v0
	v_rcp_f32_e32 v0, v0
	s_nop 0
	v_fma_f32 v31, v0, -2.0, 1.0
.LBB25_573:                             ;   in Loop: Header=BB25_13 Depth=1
	s_andn2_saveexec_b64 s[38:39], s[38:39]
; %bb.574:                              ;   in Loop: Header=BB25_13 Depth=1
	v_mul_f32_e32 v0, v3, v3
	v_fmamk_f32 v30, v0, 0xbbbac73d, v217
	v_fmaak_f32 v30, v0, v30, 0xbd5c1c4e
	v_fmaak_f32 v30, v0, v30, 0x3e088382
	;; [unrolled: 1-line block ×3, first 2 shown]
	v_mul_f32_e64 v30, |v3|, v30
	v_fma_f32 v31, v0, v30, |v3|
; %bb.575:                              ;   in Loop: Header=BB25_13 Depth=1
	s_or_b64 exec, exec, s[38:39]
	v_cmp_nlt_f32_e64 s[38:39], |v4|, s71
                                        ; implicit-def: $vgpr32
	s_and_saveexec_b64 s[42:43], s[38:39]
	s_xor_b64 s[38:39], exec, s[42:43]
	s_cbranch_execz .LBB25_577
; %bb.576:                              ;   in Loop: Header=BB25_13 Depth=1
	v_add_f32_e64 v0, |v4|, |v4|
	v_mul_f32_e32 v30, 0x3fb8aa3b, v0
	v_rndne_f32_e32 v32, v30
	v_sub_f32_e32 v33, v30, v32
	v_fma_f32 v30, v0, s56, -v30
	v_fmac_f32_e32 v30, 0x32a5705f, v0
	v_add_f32_e32 v30, v33, v30
	v_cvt_i32_f32_e32 v32, v32
	v_exp_f32_e32 v30, v30
	v_cmp_ngt_f32_e32 vcc, s33, v0
	v_ldexp_f32 v30, v30, v32
	s_nop 0
	v_cndmask_b32_e32 v30, 0, v30, vcc
	v_cmp_nlt_f32_e32 vcc, s69, v0
	s_nop 1
	v_cndmask_b32_e32 v0, v213, v30, vcc
	v_add_f32_e32 v0, 1.0, v0
	v_rcp_f32_e32 v0, v0
	s_nop 0
	v_fma_f32 v32, v0, -2.0, 1.0
.LBB25_577:                             ;   in Loop: Header=BB25_13 Depth=1
	s_andn2_saveexec_b64 s[38:39], s[38:39]
; %bb.578:                              ;   in Loop: Header=BB25_13 Depth=1
	v_mul_f32_e32 v0, v4, v4
	v_fmamk_f32 v30, v0, 0xbbbac73d, v217
	v_fmaak_f32 v30, v0, v30, 0xbd5c1c4e
	v_fmaak_f32 v30, v0, v30, 0x3e088382
	;; [unrolled: 1-line block ×3, first 2 shown]
	v_mul_f32_e64 v30, |v4|, v30
	v_fma_f32 v32, v0, v30, |v4|
; %bb.579:                              ;   in Loop: Header=BB25_13 Depth=1
	s_or_b64 exec, exec, s[38:39]
	v_cmp_nlt_f32_e64 s[38:39], |v5|, s71
                                        ; implicit-def: $vgpr33
	s_and_saveexec_b64 s[42:43], s[38:39]
	s_xor_b64 s[38:39], exec, s[42:43]
	s_cbranch_execz .LBB25_581
; %bb.580:                              ;   in Loop: Header=BB25_13 Depth=1
	v_add_f32_e64 v0, |v5|, |v5|
	v_mul_f32_e32 v30, 0x3fb8aa3b, v0
	v_rndne_f32_e32 v33, v30
	v_sub_f32_e32 v34, v30, v33
	v_fma_f32 v30, v0, s56, -v30
	v_fmac_f32_e32 v30, 0x32a5705f, v0
	v_add_f32_e32 v30, v34, v30
	v_cvt_i32_f32_e32 v33, v33
	v_exp_f32_e32 v30, v30
	v_cmp_ngt_f32_e32 vcc, s33, v0
	v_ldexp_f32 v30, v30, v33
	s_nop 0
	v_cndmask_b32_e32 v30, 0, v30, vcc
	v_cmp_nlt_f32_e32 vcc, s69, v0
	s_nop 1
	v_cndmask_b32_e32 v0, v213, v30, vcc
	v_add_f32_e32 v0, 1.0, v0
	v_rcp_f32_e32 v0, v0
	s_nop 0
	v_fma_f32 v33, v0, -2.0, 1.0
.LBB25_581:                             ;   in Loop: Header=BB25_13 Depth=1
	s_andn2_saveexec_b64 s[38:39], s[38:39]
; %bb.582:                              ;   in Loop: Header=BB25_13 Depth=1
	v_mul_f32_e32 v0, v5, v5
	v_fmamk_f32 v30, v0, 0xbbbac73d, v217
	v_fmaak_f32 v30, v0, v30, 0xbd5c1c4e
	v_fmaak_f32 v30, v0, v30, 0x3e088382
	;; [unrolled: 1-line block ×3, first 2 shown]
	v_mul_f32_e64 v30, |v5|, v30
	v_fma_f32 v33, v0, v30, |v5|
; %bb.583:                              ;   in Loop: Header=BB25_13 Depth=1
	s_or_b64 exec, exec, s[38:39]
	v_bfi_b32 v0, s70, v17, v2
	v_mul_f32_e32 v30, s53, v0
	v_bfi_b32 v0, s70, v31, v3
	v_mul_f32_e32 v31, s53, v0
	;; [unrolled: 2-line block ×16, first 2 shown]
	s_and_b64 vcc, exec, s[72:73]
	s_cbranch_vccz .LBB25_588
; %bb.584:                              ;   in Loop: Header=BB25_13 Depth=1
	v_add_u32_e32 v0, 0x4400, v184
	ds_read_b32 v2, v181 offset:17408
	v_add_u32_e32 v3, 0x4400, v186
	ds_read_b32 v4, v182 offset:17408
	ds_read2_b32 v[0:1], v0 offset1:1
	ds_read2_b32 v[10:11], v3 offset1:1
	s_waitcnt lgkmcnt(3)
	v_cvt_f32_f16_sdwa v3, v2 dst_sel:DWORD dst_unused:UNUSED_PAD src0_sel:WORD_1
	s_waitcnt lgkmcnt(1)
	v_cvt_f32_f16_e32 v6, v0
	v_cvt_f32_f16_sdwa v7, v0 dst_sel:DWORD dst_unused:UNUSED_PAD src0_sel:WORD_1
	v_add_u32_e32 v0, 0x4400, v188
	v_cvt_f32_f16_e32 v8, v1
	v_cvt_f32_f16_sdwa v9, v1 dst_sel:DWORD dst_unused:UNUSED_PAD src0_sel:WORD_1
	ds_read2_b32 v[0:1], v0 offset1:1
	v_cvt_f32_f16_e32 v2, v2
	v_cvt_f32_f16_sdwa v5, v4 dst_sel:DWORD dst_unused:UNUSED_PAD src0_sel:WORD_1
	v_cvt_f32_f16_e32 v4, v4
	s_waitcnt lgkmcnt(1)
	v_cvt_f32_f16_e32 v14, v10
	v_cvt_f32_f16_sdwa v15, v10 dst_sel:DWORD dst_unused:UNUSED_PAD src0_sel:WORD_1
	v_cvt_f32_f16_e32 v10, v11
	v_cvt_f32_f16_sdwa v11, v11 dst_sel:DWORD dst_unused:UNUSED_PAD src0_sel:WORD_1
	s_waitcnt lgkmcnt(0)
	v_cvt_f32_f16_e32 v34, v0
	v_cvt_f32_f16_e32 v16, v1
	v_cvt_f32_f16_sdwa v17, v1 dst_sel:DWORD dst_unused:UNUSED_PAD src0_sel:WORD_1
	v_cvt_f32_f16_sdwa v35, v0 dst_sel:DWORD dst_unused:UNUSED_PAD src0_sel:WORD_1
	v_pk_fma_f32 v[4:5], v[100:101], v[4:5], v[20:21] op_sel_hi:[0,1,1]
	v_pk_fma_f32 v[2:3], v[100:101], v[2:3], v[18:19] op_sel_hi:[0,1,1]
	;; [unrolled: 1-line block ×8, first 2 shown]
	s_cbranch_execnz .LBB25_586
.LBB25_585:                             ;   in Loop: Header=BB25_13 Depth=1
	v_mov_b64_e32 v[14:15], v[30:31]
	v_mov_b64_e32 v[10:11], v[26:27]
	;; [unrolled: 1-line block ×8, first 2 shown]
.LBB25_586:                             ;   in Loop: Header=BB25_13 Depth=1
	v_add_f32_e32 v0, 0x40051340, v2
	v_max_f32_e32 v1, v215, v215
	v_cmp_gt_u32_e64 s[46:47], s40, v180
	v_max_f32_e32 v0, v1, v0
	v_add_f32_e32 v1, 0x40051340, v3
	v_cndmask_b32_e64 v0, v215, v0, s[46:47]
	v_max_f32_e32 v18, v0, v0
	v_cmp_gt_u32_e64 s[50:51], s40, v125
	v_max_f32_e32 v1, v18, v1
	v_cmp_gt_u32_e64 s[44:45], s40, v220
	v_cndmask_b32_e64 v0, v0, v1, s[50:51]
	v_add_f32_e32 v1, 0x40051340, v4
	v_max_f32_e32 v18, v0, v0
	v_max_f32_e32 v1, v18, v1
	v_cndmask_b32_e64 v0, v0, v1, s[44:45]
	v_add_f32_e32 v1, 0x40051340, v5
	v_max_f32_e32 v18, v0, v0
	v_cmp_gt_u32_e64 s[42:43], s40, v195
	v_max_f32_e32 v1, v18, v1
	v_cmp_gt_u32_e64 s[38:39], s40, v183
	v_cndmask_b32_e64 v0, v0, v1, s[42:43]
	v_add_f32_e32 v1, 0x40051340, v6
	v_max_f32_e32 v18, v0, v0
	v_max_f32_e32 v1, v18, v1
	v_cndmask_b32_e64 v0, v0, v1, s[38:39]
	v_add_f32_e32 v1, 0x40051340, v7
	;; [unrolled: 10-line block ×7, first 2 shown]
	v_max_f32_e32 v18, v0, v0
	v_cmp_gt_u32_e64 s[40:41], s40, v219
	v_max_f32_e32 v1, v18, v1
	v_xor_b32_e32 v18, 32, v240
	v_cndmask_b32_e64 v0, v0, v1, s[40:41]
	v_and_b32_e32 v1, 64, v240
	v_add_u32_e32 v1, 64, v1
	v_cmp_lt_i32_e32 vcc, v18, v1
	scratch_store_dwordx4 off, v[228:231], off
	s_nop 0
	v_cndmask_b32_e32 v18, v240, v18, vcc
	v_lshlrev_b32_e32 v30, 2, v18
	ds_bpermute_b32 v18, v30, v0
	v_max_f32_e32 v0, v0, v0
	s_waitcnt lgkmcnt(0)
	v_max_f32_e32 v18, v18, v18
	v_max_f32_e32 v0, v0, v18
	v_xor_b32_e32 v18, 16, v240
	v_cmp_lt_i32_e32 vcc, v18, v1
	s_nop 1
	v_cndmask_b32_e32 v1, v240, v18, vcc
	v_lshlrev_b32_e32 v23, 2, v1
	ds_bpermute_b32 v1, v23, v0
	s_waitcnt lgkmcnt(0)
	v_max_f32_e32 v1, v1, v1
	v_max_f32_e32 v22, v0, v1
	v_sub_f32_e32 v0, v2, v22
	v_mul_f32_e32 v1, 0x3fb8aa3b, v0
	v_fma_f32 v2, v0, s56, -v1
	v_rndne_f32_e32 v18, v1
	v_fmac_f32_e32 v2, 0x32a5705f, v0
	v_sub_f32_e32 v1, v1, v18
	v_add_f32_e32 v1, v1, v2
	v_exp_f32_e32 v1, v1
	v_cvt_i32_f32_e32 v2, v18
	v_cmp_ngt_f32_e32 vcc, s33, v0
	v_ldexp_f32 v1, v1, v2
	s_nop 0
	v_cndmask_b32_e32 v1, 0, v1, vcc
	v_cmp_nlt_f32_e32 vcc, s69, v0
	s_nop 1
	v_cndmask_b32_e32 v0, v213, v1, vcc
	v_cndmask_b32_e64 v2, 0, v0, s[46:47]
	v_sub_f32_e32 v0, v3, v22
	v_mul_f32_e32 v1, 0x3fb8aa3b, v0
	v_fma_f32 v3, v0, s56, -v1
	v_rndne_f32_e32 v18, v1
	v_fmac_f32_e32 v3, 0x32a5705f, v0
	v_sub_f32_e32 v1, v1, v18
	v_add_f32_e32 v1, v1, v3
	v_exp_f32_e32 v1, v1
	v_cvt_i32_f32_e32 v3, v18
	v_cmp_ngt_f32_e32 vcc, s33, v0
	v_ldexp_f32 v1, v1, v3
	s_nop 0
	v_cndmask_b32_e32 v1, 0, v1, vcc
	v_cmp_nlt_f32_e32 vcc, s69, v0
	s_nop 1
	v_cndmask_b32_e32 v0, v213, v1, vcc
	v_add_f32_e32 v3, v0, v2
	v_mov_b32_e32 v1, s67
	v_cndmask_b32_e64 v1, v1, v0, s[50:51]
	v_cndmask_b32_e64 v0, v2, v3, s[50:51]
	v_sub_f32_e32 v3, v4, v22
	v_mul_f32_e32 v4, 0x3fb8aa3b, v3
	v_fma_f32 v18, v3, s56, -v4
	v_rndne_f32_e32 v19, v4
	v_fmac_f32_e32 v18, 0x32a5705f, v3
	v_sub_f32_e32 v4, v4, v19
	v_add_f32_e32 v4, v4, v18
	v_exp_f32_e32 v4, v4
	v_cvt_i32_f32_e32 v18, v19
	v_cmp_ngt_f32_e32 vcc, s33, v3
	v_ldexp_f32 v4, v4, v18
	s_nop 0
	v_cndmask_b32_e32 v4, 0, v4, vcc
	v_cmp_nlt_f32_e32 vcc, s69, v3
	s_nop 1
	v_cndmask_b32_e32 v3, v213, v4, vcc
	v_mov_b32_e32 v4, s67
	v_add_f32_e32 v18, v0, v3
	v_cndmask_b32_e64 v4, v4, v3, s[44:45]
	v_sub_f32_e32 v3, v5, v22
	v_mul_f32_e32 v5, 0x3fb8aa3b, v3
	v_cndmask_b32_e64 v0, v0, v18, s[44:45]
	v_fma_f32 v18, v3, s56, -v5
	v_rndne_f32_e32 v19, v5
	v_fmac_f32_e32 v18, 0x32a5705f, v3
	v_sub_f32_e32 v5, v5, v19
	v_add_f32_e32 v5, v5, v18
	v_exp_f32_e32 v5, v5
	v_cvt_i32_f32_e32 v18, v19
	v_cmp_ngt_f32_e32 vcc, s33, v3
	v_ldexp_f32 v5, v5, v18
	s_nop 0
	v_cndmask_b32_e32 v5, 0, v5, vcc
	v_cmp_nlt_f32_e32 vcc, s69, v3
	v_mov_b32_e32 v3, s67
	s_nop 0
	v_cndmask_b32_e32 v5, v213, v5, vcc
	v_cndmask_b32_e64 v41, v3, v5, s[42:43]
	v_sub_f32_e32 v3, v6, v22
	v_add_f32_e32 v18, v0, v5
	v_mul_f32_e32 v5, 0x3fb8aa3b, v3
	v_cndmask_b32_e64 v0, v0, v18, s[42:43]
	v_fma_f32 v6, v3, s56, -v5
	v_rndne_f32_e32 v18, v5
	v_fmac_f32_e32 v6, 0x32a5705f, v3
	v_sub_f32_e32 v5, v5, v18
	v_add_f32_e32 v5, v5, v6
	v_exp_f32_e32 v5, v5
	v_cvt_i32_f32_e32 v6, v18
	v_cmp_ngt_f32_e32 vcc, s33, v3
	v_ldexp_f32 v5, v5, v6
	s_nop 0
	v_cndmask_b32_e32 v5, 0, v5, vcc
	v_cmp_nlt_f32_e32 vcc, s69, v3
	v_mov_b32_e32 v6, s67
	s_nop 0
	v_cndmask_b32_e32 v3, v213, v5, vcc
	v_add_f32_e32 v5, v3, v0
	v_cndmask_b32_e64 v6, v6, v3, s[38:39]
	v_sub_f32_e32 v3, v7, v22
	v_cndmask_b32_e64 v0, v0, v5, s[38:39]
	v_mul_f32_e32 v5, 0x3fb8aa3b, v3
	v_fma_f32 v7, v3, s56, -v5
	v_rndne_f32_e32 v18, v5
	v_fmac_f32_e32 v7, 0x32a5705f, v3
	v_sub_f32_e32 v5, v5, v18
	v_add_f32_e32 v5, v5, v7
	v_exp_f32_e32 v5, v5
	v_cvt_i32_f32_e32 v7, v18
	v_cmp_ngt_f32_e32 vcc, s33, v3
	v_ldexp_f32 v5, v5, v7
	s_nop 0
	v_cndmask_b32_e32 v5, 0, v5, vcc
	v_cmp_nlt_f32_e32 vcc, s69, v3
	v_mov_b32_e32 v3, s67
	s_nop 0
	v_cndmask_b32_e32 v5, v213, v5, vcc
	v_add_f32_e32 v7, v5, v0
	v_cndmask_b32_e64 v3, v3, v5, s[98:99]
	v_sub_f32_e32 v5, v8, v22
	v_cndmask_b32_e64 v0, v0, v7, s[98:99]
	v_mul_f32_e32 v7, 0x3fb8aa3b, v5
	;; [unrolled: 20-line block ×3, first 2 shown]
	v_fma_f32 v9, v5, s56, -v7
	v_rndne_f32_e32 v18, v7
	v_fmac_f32_e32 v9, 0x32a5705f, v5
	v_sub_f32_e32 v7, v7, v18
	v_add_f32_e32 v7, v7, v9
	v_exp_f32_e32 v7, v7
	v_cvt_i32_f32_e32 v9, v18
	v_cmp_ngt_f32_e32 vcc, s33, v5
	v_readlane_b32 s96, v255, 12
	v_readlane_b32 s97, v255, 13
	v_ldexp_f32 v7, v7, v9
	v_cndmask_b32_e32 v7, 0, v7, vcc
	v_cmp_nlt_f32_e32 vcc, s69, v5
	v_mov_b32_e32 v5, s67
	s_mul_i32 s38, s66, s97
	v_cndmask_b32_e32 v7, v213, v7, vcc
	v_cndmask_b32_e64 v42, v5, v7, s[94:95]
	v_sub_f32_e32 v5, v10, v22
	v_add_f32_e32 v9, v7, v0
	v_mul_f32_e32 v7, 0x3fb8aa3b, v5
	v_cndmask_b32_e64 v0, v0, v9, s[94:95]
	v_fma_f32 v9, v5, s56, -v7
	v_rndne_f32_e32 v10, v7
	v_fmac_f32_e32 v9, 0x32a5705f, v5
	v_sub_f32_e32 v7, v7, v10
	v_add_f32_e32 v7, v7, v9
	v_exp_f32_e32 v7, v7
	v_cvt_i32_f32_e32 v9, v10
	v_cmp_ngt_f32_e32 vcc, s33, v5
	v_mov_b32_e32 v10, s67
	s_mul_hi_u32 s39, s66, s96
	v_ldexp_f32 v7, v7, v9
	v_cndmask_b32_e32 v7, 0, v7, vcc
	v_cmp_nlt_f32_e32 vcc, s69, v5
	s_add_i32 s39, s39, s38
	s_mul_i32 s38, s66, s96
	v_cndmask_b32_e32 v5, v213, v7, vcc
	v_add_f32_e32 v7, v5, v0
	v_cndmask_b32_e64 v10, v10, v5, s[92:93]
	v_sub_f32_e32 v5, v11, v22
	v_cndmask_b32_e64 v0, v0, v7, s[92:93]
	v_mul_f32_e32 v7, 0x3fb8aa3b, v5
	v_fma_f32 v9, v5, s56, -v7
	v_rndne_f32_e32 v11, v7
	v_fmac_f32_e32 v9, 0x32a5705f, v5
	v_sub_f32_e32 v7, v7, v11
	v_add_f32_e32 v7, v7, v9
	v_exp_f32_e32 v7, v7
	v_cvt_i32_f32_e32 v9, v11
	v_cmp_ngt_f32_e32 vcc, s33, v5
	s_lshl_b64 s[38:39], s[38:39], 2
	v_lshl_add_u64 v[18:19], v[98:99], 0, s[38:39]
	v_ldexp_f32 v7, v7, v9
	v_cndmask_b32_e32 v7, 0, v7, vcc
	v_cmp_nlt_f32_e32 vcc, s69, v5
	v_mov_b32_e32 v5, s67
	v_lshl_add_u64 v[24:25], v[68:69], 2, v[18:19]
	v_cndmask_b32_e32 v7, v213, v7, vcc
	v_add_f32_e32 v9, v7, v0
	v_cndmask_b32_e64 v5, v5, v7, s[90:91]
	v_sub_f32_e32 v7, v12, v22
	v_cndmask_b32_e64 v0, v0, v9, s[90:91]
	v_mul_f32_e32 v9, 0x3fb8aa3b, v7
	v_fma_f32 v11, v7, s56, -v9
	v_rndne_f32_e32 v12, v9
	v_fmac_f32_e32 v11, 0x32a5705f, v7
	v_sub_f32_e32 v9, v9, v12
	v_add_f32_e32 v9, v9, v11
	v_exp_f32_e32 v9, v9
	v_cvt_i32_f32_e32 v11, v12
	v_cmp_ngt_f32_e32 vcc, s33, v7
	v_mov_b32_e32 v12, s67
	v_lshl_add_u64 v[20:21], v[66:67], 2, v[18:19]
	v_ldexp_f32 v9, v9, v11
	v_cndmask_b32_e32 v9, 0, v9, vcc
	v_cmp_nlt_f32_e32 vcc, s69, v7
	v_lshl_add_u64 v[24:25], v[24:25], 0, v[52:53]
	v_lshl_add_u64 v[20:21], v[20:21], 0, v[52:53]
	v_cndmask_b32_e32 v7, v213, v9, vcc
	v_add_f32_e32 v9, v7, v0
	v_cndmask_b32_e64 v12, v12, v7, s[88:89]
	v_sub_f32_e32 v7, v13, v22
	v_cndmask_b32_e64 v0, v0, v9, s[88:89]
	v_mul_f32_e32 v9, 0x3fb8aa3b, v7
	v_fma_f32 v11, v7, s56, -v9
	v_rndne_f32_e32 v13, v9
	v_fmac_f32_e32 v11, 0x32a5705f, v7
	v_sub_f32_e32 v9, v9, v13
	v_add_f32_e32 v9, v9, v11
	v_exp_f32_e32 v9, v9
	v_cvt_i32_f32_e32 v11, v13
	v_cmp_ngt_f32_e32 vcc, s33, v7
	v_cndmask_b32_e64 v28, v236, v24, s[76:77]
	v_cndmask_b32_e64 v20, v236, v20, s[74:75]
	v_ldexp_f32 v9, v9, v11
	v_cndmask_b32_e32 v9, 0, v9, vcc
	v_cmp_nlt_f32_e32 vcc, s69, v7
	v_mov_b32_e32 v7, s67
	s_nop 0
	v_cndmask_b32_e32 v9, v213, v9, vcc
	v_cndmask_b32_e64 v43, v7, v9, s[86:87]
	v_sub_f32_e32 v7, v14, v22
	v_add_f32_e32 v11, v9, v0
	v_mul_f32_e32 v9, 0x3fb8aa3b, v7
	v_cndmask_b32_e64 v0, v0, v11, s[86:87]
	v_fma_f32 v11, v7, s56, -v9
	v_rndne_f32_e32 v13, v9
	v_fmac_f32_e32 v11, 0x32a5705f, v7
	v_sub_f32_e32 v9, v9, v13
	v_add_f32_e32 v9, v9, v11
	v_exp_f32_e32 v9, v9
	v_cvt_i32_f32_e32 v11, v13
	v_cmp_ngt_f32_e32 vcc, s33, v7
	v_mov_b32_e32 v14, s67
	v_ldexp_f32 v9, v9, v11
	v_cndmask_b32_e32 v9, 0, v9, vcc
	v_cmp_nlt_f32_e32 vcc, s69, v7
	s_nop 1
	v_cndmask_b32_e32 v7, v213, v9, vcc
	v_add_f32_e32 v9, v7, v0
	v_cndmask_b32_e64 v14, v14, v7, s[84:85]
	v_sub_f32_e32 v7, v15, v22
	v_cndmask_b32_e64 v0, v0, v9, s[84:85]
	v_mul_f32_e32 v9, 0x3fb8aa3b, v7
	v_fma_f32 v11, v7, s56, -v9
	v_rndne_f32_e32 v13, v9
	v_fmac_f32_e32 v11, 0x32a5705f, v7
	v_sub_f32_e32 v9, v9, v13
	v_add_f32_e32 v9, v9, v11
	v_exp_f32_e32 v9, v9
	v_cvt_i32_f32_e32 v11, v13
	v_cmp_ngt_f32_e32 vcc, s33, v7
	v_ldexp_f32 v9, v9, v11
	s_nop 0
	v_cndmask_b32_e32 v9, 0, v9, vcc
	v_cmp_nlt_f32_e32 vcc, s69, v7
	v_mov_b32_e32 v7, s67
	s_nop 0
	v_cndmask_b32_e32 v9, v213, v9, vcc
	v_add_f32_e32 v11, v9, v0
	v_cndmask_b32_e64 v7, v7, v9, s[82:83]
	v_sub_f32_e32 v9, v16, v22
	v_cndmask_b32_e64 v0, v0, v11, s[82:83]
	v_mul_f32_e32 v11, 0x3fb8aa3b, v9
	v_fma_f32 v13, v9, s56, -v11
	v_rndne_f32_e32 v15, v11
	v_fmac_f32_e32 v13, 0x32a5705f, v9
	v_sub_f32_e32 v11, v11, v15
	v_add_f32_e32 v11, v11, v13
	v_exp_f32_e32 v11, v11
	v_cvt_i32_f32_e32 v13, v15
	v_cmp_ngt_f32_e32 vcc, s33, v9
	v_mov_b32_e32 v16, s67
	v_ldexp_f32 v11, v11, v13
	v_cndmask_b32_e32 v11, 0, v11, vcc
	v_cmp_nlt_f32_e32 vcc, s69, v9
	s_nop 1
	v_cndmask_b32_e32 v9, v213, v11, vcc
	v_add_f32_e32 v11, v9, v0
	v_cndmask_b32_e64 v16, v16, v9, s[72:73]
	v_sub_f32_e32 v9, v17, v22
	v_cndmask_b32_e64 v0, v0, v11, s[72:73]
	v_mul_f32_e32 v11, 0x3fb8aa3b, v9
	v_fma_f32 v13, v9, s56, -v11
	v_rndne_f32_e32 v15, v11
	v_fmac_f32_e32 v13, 0x32a5705f, v9
	v_sub_f32_e32 v11, v11, v15
	v_add_f32_e32 v11, v11, v13
	v_exp_f32_e32 v11, v11
	v_cvt_i32_f32_e32 v13, v15
	v_cmp_ngt_f32_e32 vcc, s33, v9
	v_ldexp_f32 v11, v11, v13
	s_nop 0
	v_cndmask_b32_e32 v11, 0, v11, vcc
	v_cmp_nlt_f32_e32 vcc, s69, v9
	v_mov_b32_e32 v9, s67
	s_nop 0
	v_cndmask_b32_e32 v11, v213, v11, vcc
	v_add_f32_e32 v13, v11, v0
	v_cndmask_b32_e64 v31, v0, v13, s[40:41]
	v_sub_f32_e32 v0, v215, v22
	v_cndmask_b32_e64 v44, v9, v11, s[40:41]
	v_mul_f32_e32 v9, 0x3fb8aa3b, v0
	v_fma_f32 v11, v0, s56, -v9
	v_rndne_f32_e32 v13, v9
	v_fmac_f32_e32 v11, 0x32a5705f, v0
	v_sub_f32_e32 v9, v9, v13
	v_add_f32_e32 v9, v9, v11
	v_exp_f32_e32 v9, v9
	v_cvt_i32_f32_e32 v11, v13
	v_cmp_ngt_f32_e32 vcc, s33, v0
	s_mov_b32 s40, 0xc1a00000
	v_ldexp_f32 v9, v9, v11
	v_cndmask_b32_e32 v9, 0, v9, vcc
	v_cmp_nlt_f32_e32 vcc, s69, v0
	s_nop 1
	v_cndmask_b32_e32 v9, v213, v9, vcc
	v_cmp_le_f32_e32 vcc, s40, v0
	s_nop 1
	v_cndmask_b32_e32 v0, 0, v9, vcc
	v_fmac_f32_e32 v31, v101, v0
	v_cvt_f16_f32_e32 v0, v0
	v_cmp_eq_u64_e32 vcc, 0, v[96:97]
	s_and_b64 vcc, exec, vcc
	v_mul_u32_u24_e32 v0, 0x10001, v0
	v_pk_mul_f16 v46, v173, v0
	v_pk_mul_f16 v45, v159, v0
	;; [unrolled: 1-line block ×16, first 2 shown]
	v_mov_b32_e32 v0, s57
	v_cndmask_b32_e64 v29, v0, v25, s[76:77]
	v_lshl_add_u64 v[24:25], v[70:71], 2, v[18:19]
	v_lshl_add_u64 v[18:19], v[72:73], 2, v[18:19]
	v_cndmask_b32_e64 v21, v0, v21, s[74:75]
	v_lshl_add_u64 v[24:25], v[24:25], 0, v[52:53]
	v_lshl_add_u64 v[18:19], v[18:19], 0, v[52:53]
	v_cndmask_b32_e64 v27, v0, v25, s[78:79]
	v_cndmask_b32_e64 v26, v236, v24, s[78:79]
	;; [unrolled: 1-line block ×4, first 2 shown]
	flat_load_dwordx4 v[18:21], v[20:21]
	s_waitcnt vmcnt(0) lgkmcnt(0)
	ds_write_b128 v178, v[18:21]
	flat_load_dwordx4 v[18:21], v[28:29]
	s_waitcnt vmcnt(0) lgkmcnt(0)
	ds_write_b128 v233, v[18:21]
	flat_load_dwordx4 v[18:21], v[26:27]
	v_cvt_pk_f16_f32 v27, v4, v41
	v_cvt_pk_f16_f32 v26, v2, v1
	s_waitcnt vmcnt(0) lgkmcnt(0)
	ds_write_b128 v227, v[18:21]
	flat_load_dwordx4 v[18:21], v[24:25]
	s_waitcnt vmcnt(0) lgkmcnt(0)
	ds_write_b128 v238, v[18:21]
	s_waitcnt lgkmcnt(0)
	s_barrier
	ds_read_u16 v0, v189 offset:272
	ds_read_u16 v24, v189 offset:544
	ds_read_u16 v25, v196
	ds_read_u16 v28, v196 offset:32
	v_cvt_f32_f16_e32 v20, v45
	v_cvt_f32_f16_sdwa v21, v45 dst_sel:DWORD dst_unused:UNUSED_PAD src0_sel:WORD_1
	v_cvt_f32_f16_e32 v18, v46
	s_waitcnt lgkmcnt(1)
	v_perm_b32 v25, v25, v24, s54
	ds_read_u16 v24, v189
	ds_read_u16 v45, v189 offset:32
	v_cvt_f32_f16_sdwa v19, v46 dst_sel:DWORD dst_unused:UNUSED_PAD src0_sel:WORD_1
	s_waitcnt lgkmcnt(1)
	v_perm_b32 v24, v0, v24, s54
	s_nop 1
	v_mfma_f32_16x16x16_f16 v[18:21], v[24:25], v[26:27], v[18:21]
	ds_read_u16 v24, v189 offset:4352
	ds_read_u16 v25, v189 offset:4624
	ds_read_u16 v29, v189 offset:4896
	ds_read_u16 v41, v196 offset:4352
	s_nop 3
	v_cvt_f16_f32_e32 v0, v18
	v_cvt_f16_f32_e32 v1, v19
	;; [unrolled: 1-line block ×4, first 2 shown]
	v_cvt_f32_f16_e32 v18, v0
	v_cvt_f32_f16_e32 v19, v1
	s_waitcnt lgkmcnt(0)
	v_perm_b32 v1, v41, v29, s54
	v_perm_b32 v0, v25, v24, s54
	v_cvt_f32_f16_e32 v20, v2
	v_cvt_f32_f16_e32 v21, v4
	v_cvt_pk_f16_f32 v25, v8, v42
	v_cvt_pk_f16_f32 v24, v6, v3
	v_cvt_f32_f16_sdwa v41, v32 dst_sel:DWORD dst_unused:UNUSED_PAD src0_sel:WORD_1
	s_nop 0
	v_mfma_f32_16x16x16_f16 v[18:21], v[0:1], v[24:25], v[18:21]
	s_nop 7
	v_cvt_f16_f32_e32 v0, v18
	ds_read_u16 v4, v189 offset:8704
	ds_read_u16 v6, v189 offset:8976
	;; [unrolled: 1-line block ×4, first 2 shown]
	v_cvt_f16_f32_e32 v1, v19
	v_cvt_f16_f32_e32 v2, v20
	;; [unrolled: 1-line block ×3, first 2 shown]
	v_cvt_f32_f16_e32 v46, v0
	v_cvt_f32_f16_e32 v47, v1
	s_waitcnt lgkmcnt(0)
	v_perm_b32 v1, v18, v8, s54
	v_perm_b32 v0, v6, v4, s54
	v_cvt_f32_f16_e32 v48, v2
	v_cvt_f32_f16_e32 v49, v3
	v_cvt_pk_f16_f32 v21, v12, v43
	v_cvt_pk_f16_f32 v20, v10, v5
	ds_read_u16 v6, v189 offset:13056
	ds_read_u16 v8, v189 offset:13328
	;; [unrolled: 1-line block ×4, first 2 shown]
	v_mfma_f32_16x16x16_f16 v[2:5], v[0:1], v[20:21], v[46:49]
	v_cvt_pk_f16_f32 v19, v16, v44
	v_cvt_pk_f16_f32 v18, v14, v7
	v_cvt_f32_f16_sdwa v7, v39 dst_sel:DWORD dst_unused:UNUSED_PAD src0_sel:WORD_1
	s_nop 4
	v_cvt_f16_f32_e32 v0, v2
	v_cvt_f16_f32_e32 v1, v3
	;; [unrolled: 1-line block ×4, first 2 shown]
	v_cvt_f32_f16_e32 v2, v0
	v_cvt_f32_f16_e32 v3, v1
	s_waitcnt lgkmcnt(0)
	v_perm_b32 v1, v12, v10, s54
	v_perm_b32 v0, v8, v6, s54
	v_cvt_f32_f16_e32 v4, v4
	v_cvt_f32_f16_e32 v5, v5
	;; [unrolled: 1-line block ×3, first 2 shown]
	s_nop 0
	v_mfma_f32_16x16x16_f16 v[2:5], v[0:1], v[18:19], v[2:5]
	s_nop 7
	v_cvt_f16_f32_e32 v0, v4
	v_cvt_f16_f32_e32 v1, v5
	v_cvt_f32_f16_e32 v4, v40
	v_cvt_f32_f16_sdwa v5, v40 dst_sel:DWORD dst_unused:UNUSED_PAD src0_sel:WORD_1
	v_perm_b32 v1, v1, v0, s54
	ds_read_u16 v0, v189 offset:304
	ds_read_u16 v8, v189 offset:576
	s_waitcnt lgkmcnt(0)
	v_perm_b32 v29, v28, v8, s54
	v_perm_b32 v28, v0, v45, s54
	ds_read_u16 v8, v189 offset:4384
	ds_read_u16 v10, v189 offset:4656
	;; [unrolled: 1-line block ×4, first 2 shown]
	v_mfma_f32_16x16x16_f16 v[4:7], v[28:29], v[26:27], v[4:7]
	s_waitcnt lgkmcnt(0)
	v_perm_b32 v29, v14, v12, s54
	v_perm_b32 v28, v10, v8, s54
	ds_read_u16 v8, v189 offset:8736
	ds_read_u16 v10, v189 offset:9008
	;; [unrolled: 1-line block ×4, first 2 shown]
	s_nop 0
	v_cvt_f16_f32_e32 v0, v4
	v_cvt_f16_f32_e32 v5, v5
	v_cvt_f16_f32_e32 v6, v6
	v_cvt_f16_f32_e32 v7, v7
	v_cvt_f32_f16_e32 v4, v0
	v_cvt_f32_f16_e32 v5, v5
	;; [unrolled: 1-line block ×4, first 2 shown]
	s_nop 1
	v_mfma_f32_16x16x16_f16 v[4:7], v[28:29], v[24:25], v[4:7]
	s_waitcnt lgkmcnt(0)
	v_perm_b32 v29, v14, v12, s54
	v_perm_b32 v28, v10, v8, s54
	ds_read_u16 v8, v189 offset:13088
	ds_read_u16 v10, v189 offset:13360
	ds_read_u16 v12, v189 offset:13632
	ds_read_u16 v14, v196 offset:13088
	s_nop 0
	v_cvt_f16_f32_e32 v0, v4
	v_cvt_f16_f32_e32 v5, v5
	;; [unrolled: 1-line block ×4, first 2 shown]
	v_cvt_f32_f16_e32 v4, v0
	v_cvt_f32_f16_e32 v5, v5
	;; [unrolled: 1-line block ×4, first 2 shown]
	s_nop 1
	v_mfma_f32_16x16x16_f16 v[4:7], v[28:29], v[20:21], v[4:7]
	s_waitcnt lgkmcnt(0)
	v_perm_b32 v29, v14, v12, s54
	v_perm_b32 v28, v10, v8, s54
	v_cvt_f32_f16_e32 v8, v9
	v_cvt_f32_f16_sdwa v9, v9 dst_sel:DWORD dst_unused:UNUSED_PAD src0_sel:WORD_1
	s_nop 2
	v_cvt_f16_f32_e32 v0, v4
	v_cvt_f16_f32_e32 v5, v5
	;; [unrolled: 1-line block ×4, first 2 shown]
	v_cvt_f32_f16_e32 v4, v0
	v_cvt_f32_f16_e32 v5, v5
	;; [unrolled: 1-line block ×4, first 2 shown]
	s_nop 1
	v_mfma_f32_16x16x16_f16 v[4:7], v[28:29], v[18:19], v[4:7]
	s_nop 7
	v_cvt_f16_f32_e32 v0, v6
	v_cvt_f16_f32_e32 v6, v7
	v_cvt_f32_f16_sdwa v7, v38 dst_sel:DWORD dst_unused:UNUSED_PAD src0_sel:WORD_1
	v_perm_b32 v28, v6, v0, s54
	ds_read_u16 v0, v189 offset:64
	ds_read_u16 v10, v189 offset:336
	ds_read_u16 v12, v189 offset:608
	ds_read_u16 v14, v196 offset:64
	v_cvt_f32_f16_e32 v6, v38
	s_waitcnt lgkmcnt(2)
	v_perm_b32 v38, v10, v0, s54
	s_waitcnt lgkmcnt(0)
	v_perm_b32 v39, v14, v12, s54
	ds_read_u16 v10, v189 offset:4416
	ds_read_u16 v12, v189 offset:4688
	;; [unrolled: 1-line block ×4, first 2 shown]
	v_mfma_f32_16x16x16_f16 v[6:9], v[38:39], v[26:27], v[6:9]
	s_waitcnt lgkmcnt(0)
	v_perm_b32 v39, v16, v14, s54
	v_perm_b32 v38, v12, v10, s54
	ds_read_u16 v10, v189 offset:8768
	ds_read_u16 v12, v189 offset:9040
	;; [unrolled: 1-line block ×4, first 2 shown]
	s_nop 0
	v_cvt_f16_f32_e32 v0, v6
	v_cvt_f16_f32_e32 v7, v7
	;; [unrolled: 1-line block ×4, first 2 shown]
	v_cvt_f32_f16_e32 v6, v0
	v_cvt_f32_f16_e32 v7, v7
	;; [unrolled: 1-line block ×4, first 2 shown]
	s_nop 1
	v_mfma_f32_16x16x16_f16 v[6:9], v[38:39], v[24:25], v[6:9]
	s_waitcnt lgkmcnt(0)
	v_perm_b32 v39, v16, v14, s54
	v_perm_b32 v38, v12, v10, s54
	ds_read_u16 v10, v189 offset:13120
	ds_read_u16 v12, v189 offset:13392
	;; [unrolled: 1-line block ×4, first 2 shown]
	s_nop 0
	v_cvt_f16_f32_e32 v0, v6
	v_cvt_f16_f32_e32 v7, v7
	;; [unrolled: 1-line block ×4, first 2 shown]
	v_cvt_f32_f16_e32 v6, v0
	v_cvt_f32_f16_e32 v7, v7
	;; [unrolled: 1-line block ×4, first 2 shown]
	s_nop 1
	v_mfma_f32_16x16x16_f16 v[6:9], v[38:39], v[20:21], v[6:9]
	s_waitcnt lgkmcnt(0)
	v_perm_b32 v39, v16, v14, s54
	v_perm_b32 v38, v12, v10, s54
	v_cvt_f32_f16_e32 v10, v11
	v_cvt_f32_f16_sdwa v11, v11 dst_sel:DWORD dst_unused:UNUSED_PAD src0_sel:WORD_1
	s_nop 2
	v_cvt_f16_f32_e32 v0, v6
	v_cvt_f16_f32_e32 v7, v7
	;; [unrolled: 1-line block ×4, first 2 shown]
	v_cvt_f32_f16_e32 v6, v0
	v_cvt_f32_f16_e32 v7, v7
	;; [unrolled: 1-line block ×4, first 2 shown]
	s_nop 1
	v_mfma_f32_16x16x16_f16 v[6:9], v[38:39], v[18:19], v[6:9]
	s_nop 7
	v_cvt_f16_f32_e32 v0, v8
	v_cvt_f16_f32_e32 v8, v9
	v_cvt_f32_f16_sdwa v9, v37 dst_sel:DWORD dst_unused:UNUSED_PAD src0_sel:WORD_1
	v_perm_b32 v29, v8, v0, s54
	ds_read_u16 v0, v189 offset:96
	ds_read_u16 v12, v189 offset:368
	;; [unrolled: 1-line block ×4, first 2 shown]
	v_cvt_f32_f16_e32 v8, v37
	s_waitcnt lgkmcnt(2)
	v_perm_b32 v38, v12, v0, s54
	s_waitcnt lgkmcnt(0)
	v_perm_b32 v39, v16, v14, s54
	ds_read_u16 v12, v189 offset:4448
	ds_read_u16 v14, v189 offset:4720
	;; [unrolled: 1-line block ×4, first 2 shown]
	v_mfma_f32_16x16x16_f16 v[8:11], v[38:39], v[26:27], v[8:11]
	s_waitcnt lgkmcnt(0)
	v_perm_b32 v39, v37, v16, s54
	v_perm_b32 v38, v14, v12, s54
	ds_read_u16 v12, v189 offset:8800
	ds_read_u16 v14, v189 offset:9072
	;; [unrolled: 1-line block ×4, first 2 shown]
	s_nop 0
	v_cvt_f16_f32_e32 v0, v8
	v_cvt_f16_f32_e32 v9, v9
	;; [unrolled: 1-line block ×4, first 2 shown]
	v_cvt_f32_f16_e32 v8, v0
	v_cvt_f32_f16_e32 v9, v9
	;; [unrolled: 1-line block ×4, first 2 shown]
	s_nop 1
	v_mfma_f32_16x16x16_f16 v[8:11], v[38:39], v[24:25], v[8:11]
	s_waitcnt lgkmcnt(0)
	v_perm_b32 v39, v37, v16, s54
	v_perm_b32 v38, v14, v12, s54
	ds_read_u16 v12, v189 offset:13152
	ds_read_u16 v14, v189 offset:13424
	;; [unrolled: 1-line block ×4, first 2 shown]
	s_nop 0
	v_cvt_f16_f32_e32 v0, v8
	v_cvt_f16_f32_e32 v9, v9
	;; [unrolled: 1-line block ×4, first 2 shown]
	v_cvt_f32_f16_e32 v8, v0
	v_cvt_f32_f16_e32 v9, v9
	;; [unrolled: 1-line block ×4, first 2 shown]
	s_nop 1
	v_mfma_f32_16x16x16_f16 v[8:11], v[38:39], v[20:21], v[8:11]
	s_waitcnt lgkmcnt(0)
	v_perm_b32 v39, v37, v16, s54
	v_perm_b32 v38, v14, v12, s54
	v_cvt_f32_f16_e32 v12, v13
	v_cvt_f32_f16_sdwa v13, v13 dst_sel:DWORD dst_unused:UNUSED_PAD src0_sel:WORD_1
	s_nop 2
	v_cvt_f16_f32_e32 v0, v8
	v_cvt_f16_f32_e32 v9, v9
	v_cvt_f16_f32_e32 v10, v10
	v_cvt_f16_f32_e32 v11, v11
	v_cvt_f32_f16_e32 v8, v0
	v_cvt_f32_f16_e32 v9, v9
	;; [unrolled: 1-line block ×4, first 2 shown]
	s_nop 1
	v_mfma_f32_16x16x16_f16 v[8:11], v[38:39], v[18:19], v[8:11]
	s_nop 7
	v_cvt_f16_f32_e32 v0, v10
	v_cvt_f16_f32_e32 v10, v11
	v_cvt_f32_f16_sdwa v11, v36 dst_sel:DWORD dst_unused:UNUSED_PAD src0_sel:WORD_1
	v_perm_b32 v37, v10, v0, s54
	ds_read_u16 v0, v189 offset:128
	ds_read_u16 v14, v189 offset:400
	;; [unrolled: 1-line block ×4, first 2 shown]
	v_cvt_f32_f16_e32 v10, v36
	s_waitcnt lgkmcnt(0)
	v_perm_b32 v39, v38, v16, s54
	v_perm_b32 v38, v14, v0, s54
	s_nop 1
	v_mfma_f32_16x16x16_f16 v[10:13], v[38:39], v[26:27], v[10:13]
	ds_read_u16 v14, v189 offset:4480
	ds_read_u16 v16, v189 offset:4752
	ds_read_u16 v36, v189 offset:5024
	ds_read_u16 v38, v196 offset:4480
	s_nop 3
	v_cvt_f16_f32_e32 v0, v10
	v_cvt_f16_f32_e32 v11, v11
	v_cvt_f16_f32_e32 v12, v12
	v_cvt_f16_f32_e32 v13, v13
	s_waitcnt lgkmcnt(0)
	v_perm_b32 v39, v38, v36, s54
	v_perm_b32 v38, v16, v14, s54
	v_cvt_f32_f16_e32 v10, v0
	v_cvt_f32_f16_e32 v11, v11
	v_cvt_f32_f16_e32 v12, v12
	v_cvt_f32_f16_e32 v13, v13
	s_nop 1
	v_mfma_f32_16x16x16_f16 v[10:13], v[38:39], v[24:25], v[10:13]
	ds_read_u16 v14, v189 offset:8832
	ds_read_u16 v16, v189 offset:9104
	ds_read_u16 v36, v189 offset:9376
	ds_read_u16 v38, v196 offset:8832
	s_nop 3
	v_cvt_f16_f32_e32 v0, v10
	v_cvt_f16_f32_e32 v11, v11
	v_cvt_f16_f32_e32 v12, v12
	v_cvt_f16_f32_e32 v13, v13
	s_waitcnt lgkmcnt(0)
	v_perm_b32 v39, v38, v36, s54
	v_perm_b32 v38, v16, v14, s54
	v_cvt_f32_f16_e32 v10, v0
	v_cvt_f32_f16_e32 v11, v11
	v_cvt_f32_f16_e32 v12, v12
	v_cvt_f32_f16_e32 v13, v13
	;; [unrolled: 18-line block ×3, first 2 shown]
	v_cvt_f32_f16_e32 v14, v15
	v_cvt_f32_f16_sdwa v15, v15 dst_sel:DWORD dst_unused:UNUSED_PAD src0_sel:WORD_1
	v_mfma_f32_16x16x16_f16 v[10:13], v[38:39], v[18:19], v[10:13]
	s_nop 7
	v_cvt_f16_f32_e32 v0, v12
	v_cvt_f16_f32_e32 v12, v13
	v_cvt_f32_f16_sdwa v13, v35 dst_sel:DWORD dst_unused:UNUSED_PAD src0_sel:WORD_1
	v_perm_b32 v36, v12, v0, s54
	ds_read_u16 v0, v189 offset:160
	ds_read_u16 v16, v189 offset:432
	;; [unrolled: 1-line block ×4, first 2 shown]
	v_cvt_f32_f16_e32 v12, v35
	s_waitcnt lgkmcnt(0)
	v_perm_b32 v39, v39, v38, s54
	v_perm_b32 v38, v16, v0, s54
	s_nop 1
	v_mfma_f32_16x16x16_f16 v[12:15], v[38:39], v[26:27], v[12:15]
	ds_read_u16 v16, v189 offset:4512
	ds_read_u16 v35, v189 offset:4784
	ds_read_u16 v38, v189 offset:5056
	ds_read_u16 v39, v196 offset:4512
	s_nop 3
	v_cvt_f16_f32_e32 v0, v12
	v_cvt_f16_f32_e32 v13, v13
	v_cvt_f16_f32_e32 v14, v14
	v_cvt_f16_f32_e32 v15, v15
	s_waitcnt lgkmcnt(0)
	v_perm_b32 v39, v39, v38, s54
	v_perm_b32 v38, v35, v16, s54
	v_cvt_f32_f16_e32 v12, v0
	v_cvt_f32_f16_e32 v13, v13
	v_cvt_f32_f16_e32 v14, v14
	v_cvt_f32_f16_e32 v15, v15
	s_nop 1
	v_mfma_f32_16x16x16_f16 v[12:15], v[38:39], v[24:25], v[12:15]
	ds_read_u16 v16, v189 offset:8864
	ds_read_u16 v35, v189 offset:9136
	ds_read_u16 v38, v189 offset:9408
	ds_read_u16 v39, v196 offset:8864
	s_nop 3
	v_cvt_f16_f32_e32 v0, v12
	v_cvt_f16_f32_e32 v13, v13
	v_cvt_f16_f32_e32 v14, v14
	v_cvt_f16_f32_e32 v15, v15
	s_waitcnt lgkmcnt(0)
	v_perm_b32 v39, v39, v38, s54
	v_perm_b32 v38, v35, v16, s54
	v_cvt_f32_f16_e32 v12, v0
	v_cvt_f32_f16_e32 v13, v13
	v_cvt_f32_f16_e32 v14, v14
	v_cvt_f32_f16_e32 v15, v15
	;; [unrolled: 18-line block ×3, first 2 shown]
	v_cvt_f32_f16_e32 v16, v17
	v_cvt_f32_f16_sdwa v17, v17 dst_sel:DWORD dst_unused:UNUSED_PAD src0_sel:WORD_1
	v_mfma_f32_16x16x16_f16 v[12:15], v[38:39], v[18:19], v[12:15]
	s_nop 7
	v_cvt_f16_f32_e32 v0, v14
	v_cvt_f16_f32_e32 v14, v15
	v_cvt_f32_f16_sdwa v15, v34 dst_sel:DWORD dst_unused:UNUSED_PAD src0_sel:WORD_1
	v_perm_b32 v35, v14, v0, s54
	ds_read_u16 v0, v189 offset:192
	ds_read_u16 v38, v189 offset:464
	;; [unrolled: 1-line block ×4, first 2 shown]
	v_cvt_f32_f16_e32 v14, v34
	s_waitcnt lgkmcnt(2)
	v_perm_b32 v38, v38, v0, s54
	s_waitcnt lgkmcnt(0)
	v_perm_b32 v39, v40, v39, s54
	s_nop 1
	v_mfma_f32_16x16x16_f16 v[14:17], v[38:39], v[26:27], v[14:17]
	ds_read_u16 v34, v189 offset:4544
	ds_read_u16 v38, v189 offset:4816
	ds_read_u16 v39, v189 offset:5088
	ds_read_u16 v40, v196 offset:4544
	s_nop 3
	v_cvt_f16_f32_e32 v0, v14
	v_cvt_f16_f32_e32 v15, v15
	v_cvt_f16_f32_e32 v16, v16
	v_cvt_f16_f32_e32 v17, v17
	s_waitcnt lgkmcnt(0)
	v_perm_b32 v39, v40, v39, s54
	v_perm_b32 v38, v38, v34, s54
	v_cvt_f32_f16_e32 v14, v0
	v_cvt_f32_f16_e32 v15, v15
	v_cvt_f32_f16_e32 v16, v16
	v_cvt_f32_f16_e32 v17, v17
	s_nop 1
	v_mfma_f32_16x16x16_f16 v[14:17], v[38:39], v[24:25], v[14:17]
	ds_read_u16 v34, v189 offset:8896
	ds_read_u16 v38, v189 offset:9168
	ds_read_u16 v39, v189 offset:9440
	ds_read_u16 v40, v196 offset:8896
	s_nop 3
	v_cvt_f16_f32_e32 v0, v14
	v_cvt_f16_f32_e32 v15, v15
	v_cvt_f16_f32_e32 v16, v16
	v_cvt_f16_f32_e32 v17, v17
	s_waitcnt lgkmcnt(0)
	v_perm_b32 v39, v40, v39, s54
	v_perm_b32 v38, v38, v34, s54
	v_cvt_f32_f16_e32 v14, v0
	v_cvt_f32_f16_e32 v15, v15
	v_cvt_f32_f16_e32 v16, v16
	v_cvt_f32_f16_e32 v17, v17
	;; [unrolled: 18-line block ×3, first 2 shown]
	v_cvt_f32_f16_e32 v40, v32
	s_nop 0
	v_mfma_f32_16x16x16_f16 v[14:17], v[38:39], v[18:19], v[14:17]
	v_cvt_f32_f16_e32 v38, v33
	v_cvt_f32_f16_sdwa v39, v33 dst_sel:DWORD dst_unused:UNUSED_PAD src0_sel:WORD_1
	s_nop 5
	v_cvt_f16_f32_e32 v0, v16
	v_cvt_f16_f32_e32 v16, v17
	v_perm_b32 v34, v16, v0, s54
	ds_read_u16 v0, v189 offset:224
	ds_read_u16 v16, v189 offset:496
	;; [unrolled: 1-line block ×4, first 2 shown]
	s_waitcnt lgkmcnt(2)
	v_perm_b32 v16, v16, v0, s54
	s_waitcnt lgkmcnt(0)
	v_perm_b32 v17, v42, v17, s54
	s_nop 1
	v_mfma_f32_16x16x16_f16 v[38:41], v[16:17], v[26:27], v[38:41]
	ds_read_u16 v27, v189 offset:4576
	ds_read_u16 v32, v189 offset:4848
	;; [unrolled: 1-line block ×4, first 2 shown]
	s_nop 3
	v_cvt_f16_f32_e32 v16, v39
	v_cvt_f16_f32_e32 v17, v40
	;; [unrolled: 1-line block ×4, first 2 shown]
	v_cvt_f32_f16_e32 v39, v16
	v_cvt_f32_f16_e32 v40, v17
	s_waitcnt lgkmcnt(0)
	v_perm_b32 v17, v42, v33, s54
	v_perm_b32 v16, v32, v27, s54
	v_cvt_f32_f16_e32 v38, v0
	v_cvt_f32_f16_e32 v41, v26
	s_nop 1
	v_mfma_f32_16x16x16_f16 v[24:27], v[16:17], v[24:25], v[38:41]
	ds_read_u16 v32, v189 offset:8928
	ds_read_u16 v33, v189 offset:9200
	s_nop 0
	ds_read_u16 v38, v189 offset:9472
	ds_read_u16 v39, v196 offset:8928
	s_nop 2
	v_cvt_f16_f32_e32 v16, v25
	v_cvt_f16_f32_e32 v17, v26
	;; [unrolled: 1-line block ×4, first 2 shown]
	v_cvt_f32_f16_e32 v25, v16
	v_cvt_f32_f16_e32 v26, v17
	s_waitcnt lgkmcnt(0)
	v_perm_b32 v17, v39, v38, s54
	v_perm_b32 v16, v33, v32, s54
	v_cvt_f32_f16_e32 v24, v0
	v_cvt_f32_f16_e32 v27, v27
	s_nop 1
	v_mfma_f32_16x16x16_f16 v[24:27], v[16:17], v[20:21], v[24:27]
	s_nop 7
	v_cvt_f16_f32_e32 v20, v24
	v_cvt_f16_f32_e32 v21, v25
	;; [unrolled: 1-line block ×4, first 2 shown]
	ds_read_u16 v16, v189 offset:13280
	ds_read_u16 v17, v189 offset:13552
	;; [unrolled: 1-line block ×4, first 2 shown]
	v_cvt_f32_f16_e32 v38, v20
	v_cvt_f32_f16_e32 v39, v21
	s_waitcnt lgkmcnt(2)
	v_perm_b32 v20, v17, v16, s54
	v_cvt_f32_f16_e32 v40, v24
	s_waitcnt lgkmcnt(0)
	v_perm_b32 v21, v27, v26, s54
	v_cvt_f32_f16_e32 v41, v25
	s_barrier
	s_nop 0
	v_mfma_f32_16x16x16_f16 v[16:19], v[20:21], v[18:19], v[38:41]
	s_nop 7
	v_cvt_f16_f32_e32 v0, v18
	v_cvt_f16_f32_e32 v18, v19
	v_perm_b32 v18, v18, v0, s54
	ds_bpermute_b32 v0, v30, v31
	s_waitcnt lgkmcnt(0)
	v_add_f32_e32 v0, v31, v0
	ds_bpermute_b32 v19, v23, v0
	s_waitcnt lgkmcnt(0)
	v_add_f32_e32 v23, v0, v19
	s_cbranch_vccnz .LBB25_589
; %bb.587:                              ;   in Loop: Header=BB25_13 Depth=1
	global_load_dword v0, v[96:97], off
	v_cvt_pk_f16_f32 v2, v2, v3
	v_cvt_pk_f16_f32 v3, v4, v5
	;; [unrolled: 1-line block ×3, first 2 shown]
	v_max_f32_e32 v6, v22, v22
	v_cvt_pk_f16_f32 v19, v10, v11
	v_cvt_pk_f16_f32 v5, v8, v9
	;; [unrolled: 1-line block ×3, first 2 shown]
	s_waitcnt vmcnt(0)
	v_max_f32_e32 v7, v0, v0
	v_max_f32_e32 v10, v6, v7
	v_sub_f32_e32 v6, v22, v10
	v_sub_f32_e32 v0, v0, v10
	v_mul_f32_e32 v7, 0x3fb8aa3b, v6
	v_mul_f32_e32 v8, 0x3fb8aa3b, v0
	v_fma_f32 v9, v6, s56, -v7
	v_rndne_f32_e32 v11, v7
	v_fma_f32 v13, v0, s56, -v8
	v_rndne_f32_e32 v20, v8
	v_fmac_f32_e32 v9, 0x32a5705f, v6
	v_sub_f32_e32 v7, v7, v11
	v_fmac_f32_e32 v13, 0x32a5705f, v0
	v_sub_f32_e32 v8, v8, v20
	v_add_f32_e32 v7, v7, v9
	v_cvt_i32_f32_e32 v11, v11
	v_add_f32_e32 v8, v8, v13
	v_exp_f32_e32 v7, v7
	v_cvt_i32_f32_e32 v20, v20
	v_exp_f32_e32 v8, v8
	v_cmp_ngt_f32_e32 vcc, s33, v6
	v_ldexp_f32 v7, v7, v11
	v_cvt_pk_f16_f32 v13, v14, v15
	v_ldexp_f32 v8, v8, v20
	v_cndmask_b32_e32 v7, 0, v7, vcc
	v_cmp_ngt_f32_e32 vcc, s33, v0
	v_cvt_pk_f16_f32 v14, v16, v17
	s_nop 0
	v_cndmask_b32_e32 v8, 0, v8, vcc
	v_cmp_nlt_f32_e32 vcc, s69, v6
	s_nop 1
	v_cndmask_b32_e32 v7, v213, v7, vcc
	v_cmp_le_f32_e32 vcc, s40, v6
	s_nop 1
	v_cndmask_b32_e32 v6, 0, v7, vcc
	v_cvt_f16_f32_e32 v7, v6
	v_cmp_nlt_f32_e32 vcc, s69, v0
	v_mul_u32_u24_e32 v0, 0x10001, v7
	s_nop 0
	v_cndmask_b32_e32 v11, v213, v8, vcc
	v_fmac_f32_e32 v11, v23, v6
	v_pk_mul_f16 v9, v2, v0
	v_pk_mul_f16 v1, v1, v0
	;; [unrolled: 1-line block ×16, first 2 shown]
	v_mov_b64_e32 v[22:23], v[10:11]
	s_branch .LBB25_590
.LBB25_588:                             ;   in Loop: Header=BB25_13 Depth=1
                                        ; implicit-def: $vgpr2_vgpr3_vgpr4_vgpr5
                                        ; implicit-def: $vgpr6_vgpr7_vgpr8_vgpr9
                                        ; implicit-def: $vgpr10_vgpr11_vgpr12_vgpr13
                                        ; implicit-def: $vgpr14_vgpr15_vgpr16_vgpr17
	s_branch .LBB25_585
.LBB25_589:                             ;   in Loop: Header=BB25_13 Depth=1
	v_cvt_f16_f32_e32 v0, v2
	v_cvt_f16_f32_e32 v19, v3
	;; [unrolled: 1-line block ×16, first 2 shown]
	v_perm_b32 v2, v9, v2, s54
	v_perm_b32 v3, v10, v3, s54
	;; [unrolled: 1-line block ×8, first 2 shown]
.LBB25_590:                             ;   in Loop: Header=BB25_13 Depth=1
	v_readlane_b32 s98, v255, 14
	v_readlane_b32 s99, v255, 15
	;; [unrolled: 1-line block ×4, first 2 shown]
	s_mov_b32 s97, 0xc1a00000
	v_readlane_b32 s95, v255, 17
	s_mov_b64 s[38:39], exec
	v_readlane_b32 s40, v255, 8
	v_readlane_b32 s41, v255, 9
	s_and_b64 s[40:41], s[38:39], s[40:41]
	s_mov_b64 exec, s[40:41]
	s_cbranch_execz .LBB25_592
; %bb.591:                              ;   in Loop: Header=BB25_13 Depth=1
	scratch_load_dword v0, off, off offset:28 ; 4-byte Folded Reload
	s_waitcnt vmcnt(0)
	ds_write2_b32 v0, v22, v23 offset0:64 offset1:65
.LBB25_592:                             ;   in Loop: Header=BB25_13 Depth=1
	s_or_b64 exec, exec, s[38:39]
	s_waitcnt lgkmcnt(0)
	s_barrier
	ds_write2_b32 v190, v9, v1 offset1:1
	ds_write2_b32 v190, v8, v28 offset0:8 offset1:9
	ds_write2_b32 v190, v7, v29 offset0:16 offset1:17
	;; [unrolled: 1-line block ×7, first 2 shown]
	v_mov_b32_e32 v1, 50
	s_waitcnt lgkmcnt(0)
	s_barrier
	s_mov_b64 s[38:39], exec
	v_readlane_b32 s40, v255, 18
	v_readlane_b32 s41, v255, 19
	s_and_b64 s[40:41], s[38:39], s[40:41]
	s_mov_b64 exec, s[40:41]
	s_cbranch_execz .LBB25_594
; %bb.593:                              ;   in Loop: Header=BB25_13 Depth=1
	scratch_load_dword v0, off, off offset:24 ; 4-byte Folded Reload
	ds_read_b32 v4, v207 offset:260
	v_readlane_b32 s40, v255, 2
	s_waitcnt vmcnt(0)
	ds_read_b32 v2, v0
	v_mad_u64_u32 v[0:1], s[40:41], s40, v214, v[50:51]
	v_ashrrev_i32_e32 v1, 31, v0
	v_lshl_add_u64 v[0:1], v[0:1], 3, v[94:95]
	s_waitcnt lgkmcnt(0)
	v_cvt_f32_f16_sdwa v3, v2 dst_sel:DWORD dst_unused:UNUSED_PAD src0_sel:WORD_1
	v_cvt_f32_f16_e32 v2, v2
	v_pk_add_f32 v[2:3], v[2:3], 0 op_sel_hi:[1,0]
	s_nop 0
	v_div_scale_f32 v5, s[40:41], v4, v4, v3
	v_rcp_f32_e32 v6, v5
	s_nop 0
	v_fma_f32 v7, -v5, v6, 1.0
	v_fmac_f32_e32 v6, v7, v6
	v_div_scale_f32 v7, vcc, v3, v4, v3
	v_mul_f32_e32 v8, v7, v6
	v_fma_f32 v9, -v5, v8, v7
	v_fmac_f32_e32 v8, v9, v6
	v_fma_f32 v5, -v5, v8, v7
	v_div_fmas_f32 v5, v5, v6, v8
	v_div_fixup_f32 v3, v5, v4, v3
	v_div_scale_f32 v5, s[40:41], v4, v4, v2
	v_rcp_f32_e32 v6, v5
	s_nop 0
	v_fma_f32 v7, -v5, v6, 1.0
	v_fmac_f32_e32 v6, v7, v6
	v_div_scale_f32 v7, vcc, v2, v4, v2
	v_mul_f32_e32 v8, v7, v6
	v_fma_f32 v9, -v5, v8, v7
	v_fmac_f32_e32 v8, v9, v6
	v_fma_f32 v5, -v5, v8, v7
	v_div_fmas_f32 v5, v5, v6, v8
	v_div_fixup_f32 v2, v5, v4, v2
	global_store_dwordx2 v[0:1], v[2:3], off
	v_mov_b32_e32 v1, 0
.LBB25_594:                             ;   in Loop: Header=BB25_13 Depth=1
	s_or_b64 exec, exec, s[38:39]
	v_cmp_gt_i32_e32 vcc, 50, v1
	s_mov_b64 s[40:41], -1
	s_and_saveexec_b64 s[38:39], vcc
; %bb.595:                              ;   in Loop: Header=BB25_13 Depth=1
	v_cmp_eq_u32_e32 vcc, 0, v1
	s_orn2_b64 s[40:41], vcc, exec
; %bb.596:                              ;   in Loop: Header=BB25_13 Depth=1
	s_or_b64 exec, exec, s[38:39]
                                        ; implicit-def: $vgpr2_vgpr3
	s_and_saveexec_b64 s[38:39], s[40:41]
	s_cbranch_execz .LBB25_684
; %bb.597:                              ;   in Loop: Header=BB25_13 Depth=1
	v_mov_b32_e32 v1, 50
	s_mov_b64 s[40:41], exec
	v_readlane_b32 s42, v255, 20
	v_readlane_b32 s43, v255, 21
	s_and_b64 s[42:43], s[40:41], s[42:43]
	s_mov_b64 exec, s[42:43]
	s_cbranch_execz .LBB25_599
; %bb.598:                              ;   in Loop: Header=BB25_13 Depth=1
	v_add_u32_e32 v0, 0x440, v207
	ds_read_b32 v4, v0 offset:260
	scratch_load_dword v0, off, off offset:96 ; 4-byte Folded Reload
	v_readlane_b32 s42, v255, 2
	s_waitcnt vmcnt(0)
	ds_read_b32 v2, v0
	v_mad_u64_u32 v[0:1], s[42:43], s42, v82, v[50:51]
	v_ashrrev_i32_e32 v1, 31, v0
	v_lshl_add_u64 v[0:1], v[0:1], 3, v[94:95]
	s_waitcnt lgkmcnt(0)
	v_cvt_f32_f16_sdwa v3, v2 dst_sel:DWORD dst_unused:UNUSED_PAD src0_sel:WORD_1
	v_cvt_f32_f16_e32 v2, v2
	v_pk_add_f32 v[2:3], v[2:3], 0 op_sel_hi:[1,0]
	s_nop 0
	v_div_scale_f32 v5, s[42:43], v4, v4, v3
	v_rcp_f32_e32 v6, v5
	s_nop 0
	v_fma_f32 v7, -v5, v6, 1.0
	v_fmac_f32_e32 v6, v7, v6
	v_div_scale_f32 v7, vcc, v3, v4, v3
	v_mul_f32_e32 v8, v7, v6
	v_fma_f32 v9, -v5, v8, v7
	v_fmac_f32_e32 v8, v9, v6
	v_fma_f32 v5, -v5, v8, v7
	v_div_fmas_f32 v5, v5, v6, v8
	v_div_fixup_f32 v3, v5, v4, v3
	v_div_scale_f32 v5, s[42:43], v4, v4, v2
	v_rcp_f32_e32 v6, v5
	s_nop 0
	v_fma_f32 v7, -v5, v6, 1.0
	v_fmac_f32_e32 v6, v7, v6
	v_div_scale_f32 v7, vcc, v2, v4, v2
	v_mul_f32_e32 v8, v7, v6
	v_fma_f32 v9, -v5, v8, v7
	v_fmac_f32_e32 v8, v9, v6
	v_fma_f32 v5, -v5, v8, v7
	v_div_fmas_f32 v5, v5, v6, v8
	v_div_fixup_f32 v2, v5, v4, v2
	global_store_dwordx2 v[0:1], v[2:3], off
	v_mov_b32_e32 v1, 0
.LBB25_599:                             ;   in Loop: Header=BB25_13 Depth=1
	s_or_b64 exec, exec, s[40:41]
	v_cmp_gt_i32_e32 vcc, 50, v1
	s_mov_b64 s[44:45], -1
	s_and_saveexec_b64 s[40:41], vcc
; %bb.600:                              ;   in Loop: Header=BB25_13 Depth=1
	v_cmp_eq_u32_e32 vcc, 0, v1
	s_orn2_b64 s[44:45], vcc, exec
; %bb.601:                              ;   in Loop: Header=BB25_13 Depth=1
	s_or_b64 exec, exec, s[40:41]
	s_mov_b64 s[42:43], s[2:3]
                                        ; implicit-def: $vgpr2_vgpr3
	s_and_saveexec_b64 s[40:41], s[44:45]
	s_cbranch_execz .LBB25_683
; %bb.602:                              ;   in Loop: Header=BB25_13 Depth=1
	v_mov_b32_e32 v1, 50
	s_mov_b64 s[42:43], exec
	v_readlane_b32 s44, v255, 22
	v_readlane_b32 s45, v255, 23
	s_and_b64 s[44:45], s[42:43], s[44:45]
	s_mov_b64 exec, s[44:45]
	s_cbranch_execz .LBB25_604
; %bb.603:                              ;   in Loop: Header=BB25_13 Depth=1
	v_add_u32_e32 v0, 0x880, v207
	ds_read_b32 v4, v0 offset:260
	scratch_load_dword v0, off, off offset:104 ; 4-byte Folded Reload
	v_readlane_b32 s44, v255, 2
	s_waitcnt vmcnt(0)
	ds_read_b32 v2, v0
	v_mad_u64_u32 v[0:1], s[44:45], s44, v81, v[50:51]
	v_ashrrev_i32_e32 v1, 31, v0
	v_lshl_add_u64 v[0:1], v[0:1], 3, v[94:95]
	s_waitcnt lgkmcnt(0)
	v_cvt_f32_f16_sdwa v3, v2 dst_sel:DWORD dst_unused:UNUSED_PAD src0_sel:WORD_1
	v_cvt_f32_f16_e32 v2, v2
	v_pk_add_f32 v[2:3], v[2:3], 0 op_sel_hi:[1,0]
	s_nop 0
	v_div_scale_f32 v5, s[44:45], v4, v4, v3
	v_rcp_f32_e32 v6, v5
	s_nop 0
	v_fma_f32 v7, -v5, v6, 1.0
	v_fmac_f32_e32 v6, v7, v6
	v_div_scale_f32 v7, vcc, v3, v4, v3
	v_mul_f32_e32 v8, v7, v6
	v_fma_f32 v9, -v5, v8, v7
	v_fmac_f32_e32 v8, v9, v6
	v_fma_f32 v5, -v5, v8, v7
	v_div_fmas_f32 v5, v5, v6, v8
	v_div_fixup_f32 v3, v5, v4, v3
	v_div_scale_f32 v5, s[44:45], v4, v4, v2
	v_rcp_f32_e32 v6, v5
	s_nop 0
	v_fma_f32 v7, -v5, v6, 1.0
	v_fmac_f32_e32 v6, v7, v6
	v_div_scale_f32 v7, vcc, v2, v4, v2
	v_mul_f32_e32 v8, v7, v6
	v_fma_f32 v9, -v5, v8, v7
	v_fmac_f32_e32 v8, v9, v6
	v_fma_f32 v5, -v5, v8, v7
	v_div_fmas_f32 v5, v5, v6, v8
	v_div_fixup_f32 v2, v5, v4, v2
	global_store_dwordx2 v[0:1], v[2:3], off
	v_mov_b32_e32 v1, 0
.LBB25_604:                             ;   in Loop: Header=BB25_13 Depth=1
	s_or_b64 exec, exec, s[42:43]
	v_cmp_gt_i32_e32 vcc, 50, v1
	s_mov_b64 s[46:47], -1
	s_and_saveexec_b64 s[42:43], vcc
; %bb.605:                              ;   in Loop: Header=BB25_13 Depth=1
	v_cmp_eq_u32_e32 vcc, 0, v1
	s_orn2_b64 s[46:47], vcc, exec
; %bb.606:                              ;   in Loop: Header=BB25_13 Depth=1
	s_or_b64 exec, exec, s[42:43]
	s_mov_b64 s[44:45], s[2:3]
	;; [unrolled: 63-line block ×3, first 2 shown]
                                        ; implicit-def: $vgpr2_vgpr3
	s_and_saveexec_b64 s[44:45], s[50:51]
	s_cbranch_execz .LBB25_681
; %bb.612:                              ;   in Loop: Header=BB25_13 Depth=1
	v_mov_b32_e32 v1, 50
	s_mov_b64 s[46:47], exec
	v_readlane_b32 s50, v255, 26
	v_readlane_b32 s51, v255, 27
	s_and_b64 s[50:51], s[46:47], s[50:51]
	s_mov_b64 exec, s[50:51]
	s_cbranch_execz .LBB25_614
; %bb.613:                              ;   in Loop: Header=BB25_13 Depth=1
	scratch_load_dword v0, off, off offset:116 ; 4-byte Folded Reload
	v_readlane_b32 s50, v255, 2
	s_waitcnt vmcnt(0)
	ds_read_b32 v4, v0 offset:260
	scratch_load_dword v0, off, off offset:120 ; 4-byte Folded Reload
	s_waitcnt vmcnt(0)
	ds_read_b32 v2, v0
	v_mad_u64_u32 v[0:1], s[50:51], s50, v79, v[50:51]
	v_ashrrev_i32_e32 v1, 31, v0
	v_lshl_add_u64 v[0:1], v[0:1], 3, v[94:95]
	s_waitcnt lgkmcnt(0)
	v_cvt_f32_f16_sdwa v3, v2 dst_sel:DWORD dst_unused:UNUSED_PAD src0_sel:WORD_1
	v_cvt_f32_f16_e32 v2, v2
	v_pk_add_f32 v[2:3], v[2:3], 0 op_sel_hi:[1,0]
	s_nop 0
	v_div_scale_f32 v5, s[50:51], v4, v4, v3
	v_rcp_f32_e32 v6, v5
	s_nop 0
	v_fma_f32 v7, -v5, v6, 1.0
	v_fmac_f32_e32 v6, v7, v6
	v_div_scale_f32 v7, vcc, v3, v4, v3
	v_mul_f32_e32 v8, v7, v6
	v_fma_f32 v9, -v5, v8, v7
	v_fmac_f32_e32 v8, v9, v6
	v_fma_f32 v5, -v5, v8, v7
	v_div_fmas_f32 v5, v5, v6, v8
	v_div_fixup_f32 v3, v5, v4, v3
	v_div_scale_f32 v5, s[50:51], v4, v4, v2
	v_rcp_f32_e32 v6, v5
	s_nop 0
	v_fma_f32 v7, -v5, v6, 1.0
	v_fmac_f32_e32 v6, v7, v6
	v_div_scale_f32 v7, vcc, v2, v4, v2
	v_mul_f32_e32 v8, v7, v6
	v_fma_f32 v9, -v5, v8, v7
	v_fmac_f32_e32 v8, v9, v6
	v_fma_f32 v5, -v5, v8, v7
	v_div_fmas_f32 v5, v5, v6, v8
	v_div_fixup_f32 v2, v5, v4, v2
	global_store_dwordx2 v[0:1], v[2:3], off
	v_mov_b32_e32 v1, 0
.LBB25_614:                             ;   in Loop: Header=BB25_13 Depth=1
	s_or_b64 exec, exec, s[46:47]
	v_cmp_gt_i32_e32 vcc, 50, v1
	s_mov_b64 s[72:73], -1
	s_and_saveexec_b64 s[46:47], vcc
; %bb.615:                              ;   in Loop: Header=BB25_13 Depth=1
	v_cmp_eq_u32_e32 vcc, 0, v1
	s_orn2_b64 s[72:73], vcc, exec
; %bb.616:                              ;   in Loop: Header=BB25_13 Depth=1
	s_or_b64 exec, exec, s[46:47]
	s_mov_b64 s[50:51], s[2:3]
                                        ; implicit-def: $vgpr2_vgpr3
	s_and_saveexec_b64 s[46:47], s[72:73]
	s_cbranch_execz .LBB25_680
; %bb.617:                              ;   in Loop: Header=BB25_13 Depth=1
	v_mov_b32_e32 v1, 50
	s_mov_b64 s[50:51], exec
	v_readlane_b32 s72, v255, 28
	v_readlane_b32 s73, v255, 29
	s_and_b64 s[72:73], s[50:51], s[72:73]
	s_mov_b64 exec, s[72:73]
	s_cbranch_execz .LBB25_619
; %bb.618:                              ;   in Loop: Header=BB25_13 Depth=1
	v_add_u32_e32 v0, 0x1540, v207
	ds_read_b32 v4, v0 offset:260
	scratch_load_dword v0, off, off offset:124 ; 4-byte Folded Reload
	v_readlane_b32 s55, v255, 2
	s_waitcnt vmcnt(0)
	ds_read_b32 v2, v0
	v_mad_u64_u32 v[0:1], s[72:73], s55, v78, v[50:51]
	v_ashrrev_i32_e32 v1, 31, v0
	v_lshl_add_u64 v[0:1], v[0:1], 3, v[94:95]
	s_waitcnt lgkmcnt(0)
	v_cvt_f32_f16_sdwa v3, v2 dst_sel:DWORD dst_unused:UNUSED_PAD src0_sel:WORD_1
	v_cvt_f32_f16_e32 v2, v2
	v_pk_add_f32 v[2:3], v[2:3], 0 op_sel_hi:[1,0]
	s_nop 0
	v_div_scale_f32 v5, s[72:73], v4, v4, v3
	v_rcp_f32_e32 v6, v5
	s_nop 0
	v_fma_f32 v7, -v5, v6, 1.0
	v_fmac_f32_e32 v6, v7, v6
	v_div_scale_f32 v7, vcc, v3, v4, v3
	v_mul_f32_e32 v8, v7, v6
	v_fma_f32 v9, -v5, v8, v7
	v_fmac_f32_e32 v8, v9, v6
	v_fma_f32 v5, -v5, v8, v7
	v_div_fmas_f32 v5, v5, v6, v8
	v_div_fixup_f32 v3, v5, v4, v3
	v_div_scale_f32 v5, s[72:73], v4, v4, v2
	v_rcp_f32_e32 v6, v5
	s_nop 0
	v_fma_f32 v7, -v5, v6, 1.0
	v_fmac_f32_e32 v6, v7, v6
	v_div_scale_f32 v7, vcc, v2, v4, v2
	v_mul_f32_e32 v8, v7, v6
	v_fma_f32 v9, -v5, v8, v7
	v_fmac_f32_e32 v8, v9, v6
	v_fma_f32 v5, -v5, v8, v7
	v_div_fmas_f32 v5, v5, v6, v8
	v_div_fixup_f32 v2, v5, v4, v2
	global_store_dwordx2 v[0:1], v[2:3], off
	v_mov_b32_e32 v1, 0
.LBB25_619:                             ;   in Loop: Header=BB25_13 Depth=1
	s_or_b64 exec, exec, s[50:51]
	v_cmp_gt_i32_e32 vcc, 50, v1
	s_mov_b64 s[74:75], -1
	s_and_saveexec_b64 s[50:51], vcc
; %bb.620:                              ;   in Loop: Header=BB25_13 Depth=1
	v_cmp_eq_u32_e32 vcc, 0, v1
	s_orn2_b64 s[74:75], vcc, exec
; %bb.621:                              ;   in Loop: Header=BB25_13 Depth=1
	s_or_b64 exec, exec, s[50:51]
	s_mov_b64 s[72:73], s[2:3]
                                        ; implicit-def: $vgpr2_vgpr3
	s_and_saveexec_b64 s[50:51], s[74:75]
	s_cbranch_execz .LBB25_679
; %bb.622:                              ;   in Loop: Header=BB25_13 Depth=1
	v_mov_b32_e32 v1, 50
	s_mov_b64 s[72:73], exec
	v_readlane_b32 s74, v255, 30
	v_readlane_b32 s75, v255, 31
	s_and_b64 s[74:75], s[72:73], s[74:75]
	s_mov_b64 exec, s[74:75]
	s_cbranch_execz .LBB25_624
; %bb.623:                              ;   in Loop: Header=BB25_13 Depth=1
	v_add_u32_e32 v0, 0x1980, v207
	ds_read_b32 v4, v0 offset:260
	scratch_load_dword v0, off, off offset:128 ; 4-byte Folded Reload
	v_readlane_b32 s55, v255, 2
	s_waitcnt vmcnt(0)
	ds_read_b32 v2, v0
	v_mad_u64_u32 v[0:1], s[74:75], s55, v239, v[50:51]
	v_ashrrev_i32_e32 v1, 31, v0
	v_lshl_add_u64 v[0:1], v[0:1], 3, v[94:95]
	s_waitcnt lgkmcnt(0)
	v_cvt_f32_f16_sdwa v3, v2 dst_sel:DWORD dst_unused:UNUSED_PAD src0_sel:WORD_1
	v_cvt_f32_f16_e32 v2, v2
	v_pk_add_f32 v[2:3], v[2:3], 0 op_sel_hi:[1,0]
	s_nop 0
	v_div_scale_f32 v5, s[74:75], v4, v4, v3
	v_rcp_f32_e32 v6, v5
	s_nop 0
	v_fma_f32 v7, -v5, v6, 1.0
	v_fmac_f32_e32 v6, v7, v6
	v_div_scale_f32 v7, vcc, v3, v4, v3
	v_mul_f32_e32 v8, v7, v6
	v_fma_f32 v9, -v5, v8, v7
	v_fmac_f32_e32 v8, v9, v6
	v_fma_f32 v5, -v5, v8, v7
	v_div_fmas_f32 v5, v5, v6, v8
	v_div_fixup_f32 v3, v5, v4, v3
	v_div_scale_f32 v5, s[74:75], v4, v4, v2
	v_rcp_f32_e32 v6, v5
	s_nop 0
	v_fma_f32 v7, -v5, v6, 1.0
	v_fmac_f32_e32 v6, v7, v6
	v_div_scale_f32 v7, vcc, v2, v4, v2
	v_mul_f32_e32 v8, v7, v6
	v_fma_f32 v9, -v5, v8, v7
	v_fmac_f32_e32 v8, v9, v6
	v_fma_f32 v5, -v5, v8, v7
	v_div_fmas_f32 v5, v5, v6, v8
	v_div_fixup_f32 v2, v5, v4, v2
	global_store_dwordx2 v[0:1], v[2:3], off
	v_mov_b32_e32 v1, 0
.LBB25_624:                             ;   in Loop: Header=BB25_13 Depth=1
	;; [unrolled: 63-line block ×3, first 2 shown]
	s_or_b64 exec, exec, s[74:75]
	v_cmp_gt_i32_e32 vcc, 50, v1
	s_mov_b64 s[78:79], -1
	s_and_saveexec_b64 s[74:75], vcc
; %bb.630:                              ;   in Loop: Header=BB25_13 Depth=1
	v_cmp_eq_u32_e32 vcc, 0, v1
	s_orn2_b64 s[78:79], vcc, exec
; %bb.631:                              ;   in Loop: Header=BB25_13 Depth=1
	s_or_b64 exec, exec, s[74:75]
	s_mov_b64 s[76:77], s[2:3]
                                        ; implicit-def: $vgpr2_vgpr3
	s_and_saveexec_b64 s[74:75], s[78:79]
	s_cbranch_execz .LBB25_677
; %bb.632:                              ;   in Loop: Header=BB25_13 Depth=1
	v_mov_b32_e32 v1, 50
	s_mov_b64 s[76:77], exec
	v_readlane_b32 s78, v255, 34
	v_readlane_b32 s79, v255, 35
	s_and_b64 s[78:79], s[76:77], s[78:79]
	s_mov_b64 exec, s[78:79]
	s_cbranch_execz .LBB25_634
; %bb.633:                              ;   in Loop: Header=BB25_13 Depth=1
	scratch_load_dword v0, off, off offset:140 ; 4-byte Folded Reload
	v_readlane_b32 s55, v255, 2
	s_waitcnt vmcnt(0)
	ds_read_b32 v4, v0 offset:260
	scratch_load_dword v0, off, off offset:144 ; 4-byte Folded Reload
	s_waitcnt vmcnt(0)
	ds_read_b32 v2, v0
	v_mad_u64_u32 v[0:1], s[78:79], s55, v210, v[50:51]
	v_ashrrev_i32_e32 v1, 31, v0
	v_lshl_add_u64 v[0:1], v[0:1], 3, v[94:95]
	s_waitcnt lgkmcnt(0)
	v_cvt_f32_f16_sdwa v3, v2 dst_sel:DWORD dst_unused:UNUSED_PAD src0_sel:WORD_1
	v_cvt_f32_f16_e32 v2, v2
	v_pk_add_f32 v[2:3], v[2:3], 0 op_sel_hi:[1,0]
	s_nop 0
	v_div_scale_f32 v5, s[78:79], v4, v4, v3
	v_rcp_f32_e32 v6, v5
	s_nop 0
	v_fma_f32 v7, -v5, v6, 1.0
	v_fmac_f32_e32 v6, v7, v6
	v_div_scale_f32 v7, vcc, v3, v4, v3
	v_mul_f32_e32 v8, v7, v6
	v_fma_f32 v9, -v5, v8, v7
	v_fmac_f32_e32 v8, v9, v6
	v_fma_f32 v5, -v5, v8, v7
	v_div_fmas_f32 v5, v5, v6, v8
	v_div_fixup_f32 v3, v5, v4, v3
	v_div_scale_f32 v5, s[78:79], v4, v4, v2
	v_rcp_f32_e32 v6, v5
	s_nop 0
	v_fma_f32 v7, -v5, v6, 1.0
	v_fmac_f32_e32 v6, v7, v6
	v_div_scale_f32 v7, vcc, v2, v4, v2
	v_mul_f32_e32 v8, v7, v6
	v_fma_f32 v9, -v5, v8, v7
	v_fmac_f32_e32 v8, v9, v6
	v_fma_f32 v5, -v5, v8, v7
	v_div_fmas_f32 v5, v5, v6, v8
	v_div_fixup_f32 v2, v5, v4, v2
	global_store_dwordx2 v[0:1], v[2:3], off
	v_mov_b32_e32 v1, 0
.LBB25_634:                             ;   in Loop: Header=BB25_13 Depth=1
	s_or_b64 exec, exec, s[76:77]
	v_cmp_gt_i32_e32 vcc, 50, v1
	s_mov_b64 s[80:81], -1
	s_and_saveexec_b64 s[76:77], vcc
; %bb.635:                              ;   in Loop: Header=BB25_13 Depth=1
	v_cmp_eq_u32_e32 vcc, 0, v1
	s_orn2_b64 s[80:81], vcc, exec
; %bb.636:                              ;   in Loop: Header=BB25_13 Depth=1
	s_or_b64 exec, exec, s[76:77]
	s_mov_b64 s[78:79], s[2:3]
                                        ; implicit-def: $vgpr2_vgpr3
	s_and_saveexec_b64 s[76:77], s[80:81]
	s_cbranch_execz .LBB25_676
; %bb.637:                              ;   in Loop: Header=BB25_13 Depth=1
	v_mov_b32_e32 v1, 50
	s_mov_b64 s[78:79], exec
	v_readlane_b32 s80, v255, 36
	v_readlane_b32 s81, v255, 37
	s_and_b64 s[80:81], s[78:79], s[80:81]
	s_mov_b64 exec, s[80:81]
	s_cbranch_execz .LBB25_639
; %bb.638:                              ;   in Loop: Header=BB25_13 Depth=1
	v_add_u32_e32 v0, 0x2640, v207
	ds_read_b32 v4, v0 offset:260
	scratch_load_dword v0, off, off offset:148 ; 4-byte Folded Reload
	v_readlane_b32 s55, v255, 2
	s_waitcnt vmcnt(0)
	ds_read_b32 v2, v0
	v_mad_u64_u32 v[0:1], s[80:81], s55, v51, v[50:51]
	v_ashrrev_i32_e32 v1, 31, v0
	v_lshl_add_u64 v[0:1], v[0:1], 3, v[94:95]
	s_waitcnt lgkmcnt(0)
	v_cvt_f32_f16_sdwa v3, v2 dst_sel:DWORD dst_unused:UNUSED_PAD src0_sel:WORD_1
	v_cvt_f32_f16_e32 v2, v2
	v_pk_add_f32 v[2:3], v[2:3], 0 op_sel_hi:[1,0]
	s_nop 0
	v_div_scale_f32 v5, s[80:81], v4, v4, v3
	v_rcp_f32_e32 v6, v5
	s_nop 0
	v_fma_f32 v7, -v5, v6, 1.0
	v_fmac_f32_e32 v6, v7, v6
	v_div_scale_f32 v7, vcc, v3, v4, v3
	v_mul_f32_e32 v8, v7, v6
	v_fma_f32 v9, -v5, v8, v7
	v_fmac_f32_e32 v8, v9, v6
	v_fma_f32 v5, -v5, v8, v7
	v_div_fmas_f32 v5, v5, v6, v8
	v_div_fixup_f32 v3, v5, v4, v3
	v_div_scale_f32 v5, s[80:81], v4, v4, v2
	v_rcp_f32_e32 v6, v5
	s_nop 0
	v_fma_f32 v7, -v5, v6, 1.0
	v_fmac_f32_e32 v6, v7, v6
	v_div_scale_f32 v7, vcc, v2, v4, v2
	v_mul_f32_e32 v8, v7, v6
	v_fma_f32 v9, -v5, v8, v7
	v_fmac_f32_e32 v8, v9, v6
	v_fma_f32 v5, -v5, v8, v7
	v_div_fmas_f32 v5, v5, v6, v8
	v_div_fixup_f32 v2, v5, v4, v2
	global_store_dwordx2 v[0:1], v[2:3], off
	v_mov_b32_e32 v1, 0
.LBB25_639:                             ;   in Loop: Header=BB25_13 Depth=1
	s_or_b64 exec, exec, s[78:79]
	v_cmp_gt_i32_e32 vcc, 50, v1
	s_mov_b64 s[82:83], -1
	s_and_saveexec_b64 s[78:79], vcc
; %bb.640:                              ;   in Loop: Header=BB25_13 Depth=1
	v_cmp_eq_u32_e32 vcc, 0, v1
	s_orn2_b64 s[82:83], vcc, exec
; %bb.641:                              ;   in Loop: Header=BB25_13 Depth=1
	s_or_b64 exec, exec, s[78:79]
	s_mov_b64 s[80:81], s[2:3]
                                        ; implicit-def: $vgpr2_vgpr3
	s_and_saveexec_b64 s[78:79], s[82:83]
	s_cbranch_execz .LBB25_675
; %bb.642:                              ;   in Loop: Header=BB25_13 Depth=1
	v_mov_b32_e32 v1, 50
	s_mov_b64 s[80:81], exec
	v_readlane_b32 s82, v255, 38
	v_readlane_b32 s83, v255, 39
	s_and_b64 s[82:83], s[80:81], s[82:83]
	s_mov_b64 exec, s[82:83]
	s_cbranch_execz .LBB25_644
; %bb.643:                              ;   in Loop: Header=BB25_13 Depth=1
	v_add_u32_e32 v0, 0x2a80, v207
	ds_read_b32 v4, v0 offset:260
	scratch_load_dword v0, off, off offset:152 ; 4-byte Folded Reload
	v_readlane_b32 s55, v255, 2
	s_waitcnt vmcnt(0)
	ds_read_b32 v2, v0
	v_mad_u64_u32 v[0:1], s[82:83], s55, v212, v[50:51]
	v_ashrrev_i32_e32 v1, 31, v0
	v_lshl_add_u64 v[0:1], v[0:1], 3, v[94:95]
	s_waitcnt lgkmcnt(0)
	v_cvt_f32_f16_sdwa v3, v2 dst_sel:DWORD dst_unused:UNUSED_PAD src0_sel:WORD_1
	v_cvt_f32_f16_e32 v2, v2
	v_pk_add_f32 v[2:3], v[2:3], 0 op_sel_hi:[1,0]
	s_nop 0
	v_div_scale_f32 v5, s[82:83], v4, v4, v3
	v_rcp_f32_e32 v6, v5
	s_nop 0
	v_fma_f32 v7, -v5, v6, 1.0
	v_fmac_f32_e32 v6, v7, v6
	v_div_scale_f32 v7, vcc, v3, v4, v3
	v_mul_f32_e32 v8, v7, v6
	v_fma_f32 v9, -v5, v8, v7
	v_fmac_f32_e32 v8, v9, v6
	v_fma_f32 v5, -v5, v8, v7
	v_div_fmas_f32 v5, v5, v6, v8
	v_div_fixup_f32 v3, v5, v4, v3
	v_div_scale_f32 v5, s[82:83], v4, v4, v2
	v_rcp_f32_e32 v6, v5
	s_nop 0
	v_fma_f32 v7, -v5, v6, 1.0
	v_fmac_f32_e32 v6, v7, v6
	v_div_scale_f32 v7, vcc, v2, v4, v2
	v_mul_f32_e32 v8, v7, v6
	v_fma_f32 v9, -v5, v8, v7
	v_fmac_f32_e32 v8, v9, v6
	v_fma_f32 v5, -v5, v8, v7
	v_div_fmas_f32 v5, v5, v6, v8
	v_div_fixup_f32 v2, v5, v4, v2
	global_store_dwordx2 v[0:1], v[2:3], off
	v_mov_b32_e32 v1, 0
.LBB25_644:                             ;   in Loop: Header=BB25_13 Depth=1
	;; [unrolled: 63-line block ×3, first 2 shown]
	s_or_b64 exec, exec, s[82:83]
	v_cmp_gt_i32_e32 vcc, 50, v1
	s_mov_b64 s[86:87], -1
	s_and_saveexec_b64 s[82:83], vcc
; %bb.650:                              ;   in Loop: Header=BB25_13 Depth=1
	v_cmp_eq_u32_e32 vcc, 0, v1
	s_orn2_b64 s[86:87], vcc, exec
; %bb.651:                              ;   in Loop: Header=BB25_13 Depth=1
	s_or_b64 exec, exec, s[82:83]
	s_mov_b64 s[84:85], s[2:3]
                                        ; implicit-def: $vgpr2_vgpr3
	s_and_saveexec_b64 s[82:83], s[86:87]
	s_cbranch_execz .LBB25_673
; %bb.652:                              ;   in Loop: Header=BB25_13 Depth=1
	v_mov_b32_e32 v1, 50
	s_mov_b64 s[84:85], exec
	v_readlane_b32 s86, v255, 42
	v_readlane_b32 s87, v255, 43
	s_and_b64 s[86:87], s[84:85], s[86:87]
	s_mov_b64 exec, s[86:87]
	s_cbranch_execz .LBB25_654
; %bb.653:                              ;   in Loop: Header=BB25_13 Depth=1
	scratch_load_dword v0, off, off offset:164 ; 4-byte Folded Reload
	v_readlane_b32 s55, v255, 2
	s_waitcnt vmcnt(0)
	ds_read_b32 v4, v0 offset:260
	scratch_load_dword v0, off, off offset:168 ; 4-byte Folded Reload
	s_waitcnt vmcnt(0)
	ds_read_b32 v2, v0
	v_mad_u64_u32 v[0:1], s[86:87], s55, v203, v[50:51]
	v_ashrrev_i32_e32 v1, 31, v0
	v_lshl_add_u64 v[0:1], v[0:1], 3, v[94:95]
	s_waitcnt lgkmcnt(0)
	v_cvt_f32_f16_sdwa v3, v2 dst_sel:DWORD dst_unused:UNUSED_PAD src0_sel:WORD_1
	v_cvt_f32_f16_e32 v2, v2
	v_pk_add_f32 v[2:3], v[2:3], 0 op_sel_hi:[1,0]
	s_nop 0
	v_div_scale_f32 v5, s[86:87], v4, v4, v3
	v_rcp_f32_e32 v6, v5
	s_nop 0
	v_fma_f32 v7, -v5, v6, 1.0
	v_fmac_f32_e32 v6, v7, v6
	v_div_scale_f32 v7, vcc, v3, v4, v3
	v_mul_f32_e32 v8, v7, v6
	v_fma_f32 v9, -v5, v8, v7
	v_fmac_f32_e32 v8, v9, v6
	v_fma_f32 v5, -v5, v8, v7
	v_div_fmas_f32 v5, v5, v6, v8
	v_div_fixup_f32 v3, v5, v4, v3
	v_div_scale_f32 v5, s[86:87], v4, v4, v2
	v_rcp_f32_e32 v6, v5
	s_nop 0
	v_fma_f32 v7, -v5, v6, 1.0
	v_fmac_f32_e32 v6, v7, v6
	v_div_scale_f32 v7, vcc, v2, v4, v2
	v_mul_f32_e32 v8, v7, v6
	v_fma_f32 v9, -v5, v8, v7
	v_fmac_f32_e32 v8, v9, v6
	v_fma_f32 v5, -v5, v8, v7
	v_div_fmas_f32 v5, v5, v6, v8
	v_div_fixup_f32 v2, v5, v4, v2
	global_store_dwordx2 v[0:1], v[2:3], off
	v_mov_b32_e32 v1, 0
.LBB25_654:                             ;   in Loop: Header=BB25_13 Depth=1
	s_or_b64 exec, exec, s[84:85]
	v_cmp_gt_i32_e32 vcc, 50, v1
	s_mov_b64 s[88:89], -1
	s_and_saveexec_b64 s[84:85], vcc
; %bb.655:                              ;   in Loop: Header=BB25_13 Depth=1
	v_cmp_eq_u32_e32 vcc, 0, v1
	s_orn2_b64 s[88:89], vcc, exec
; %bb.656:                              ;   in Loop: Header=BB25_13 Depth=1
	s_or_b64 exec, exec, s[84:85]
	s_mov_b64 s[86:87], s[2:3]
                                        ; implicit-def: $vgpr2_vgpr3
	s_and_saveexec_b64 s[84:85], s[88:89]
	s_cbranch_execz .LBB25_672
; %bb.657:                              ;   in Loop: Header=BB25_13 Depth=1
	v_mov_b32_e32 v1, 50
	s_mov_b64 s[86:87], exec
	v_readlane_b32 s88, v255, 44
	v_readlane_b32 s89, v255, 45
	s_and_b64 s[88:89], s[86:87], s[88:89]
	s_mov_b64 exec, s[88:89]
	s_cbranch_execz .LBB25_659
; %bb.658:                              ;   in Loop: Header=BB25_13 Depth=1
	v_add_u32_e32 v0, 0x3740, v207
	ds_read_b32 v4, v0 offset:260
	scratch_load_dword v0, off, off offset:172 ; 4-byte Folded Reload
	v_readlane_b32 s55, v255, 2
	s_waitcnt vmcnt(0)
	ds_read_b32 v2, v0
	v_mad_u64_u32 v[0:1], s[88:89], s55, v204, v[50:51]
	v_ashrrev_i32_e32 v1, 31, v0
	v_lshl_add_u64 v[0:1], v[0:1], 3, v[94:95]
	s_waitcnt lgkmcnt(0)
	v_cvt_f32_f16_sdwa v3, v2 dst_sel:DWORD dst_unused:UNUSED_PAD src0_sel:WORD_1
	v_cvt_f32_f16_e32 v2, v2
	v_pk_add_f32 v[2:3], v[2:3], 0 op_sel_hi:[1,0]
	s_nop 0
	v_div_scale_f32 v5, s[88:89], v4, v4, v3
	v_rcp_f32_e32 v6, v5
	s_nop 0
	v_fma_f32 v7, -v5, v6, 1.0
	v_fmac_f32_e32 v6, v7, v6
	v_div_scale_f32 v7, vcc, v3, v4, v3
	v_mul_f32_e32 v8, v7, v6
	v_fma_f32 v9, -v5, v8, v7
	v_fmac_f32_e32 v8, v9, v6
	v_fma_f32 v5, -v5, v8, v7
	v_div_fmas_f32 v5, v5, v6, v8
	v_div_fixup_f32 v3, v5, v4, v3
	v_div_scale_f32 v5, s[88:89], v4, v4, v2
	v_rcp_f32_e32 v6, v5
	s_nop 0
	v_fma_f32 v7, -v5, v6, 1.0
	v_fmac_f32_e32 v6, v7, v6
	v_div_scale_f32 v7, vcc, v2, v4, v2
	v_mul_f32_e32 v8, v7, v6
	v_fma_f32 v9, -v5, v8, v7
	v_fmac_f32_e32 v8, v9, v6
	v_fma_f32 v5, -v5, v8, v7
	v_div_fmas_f32 v5, v5, v6, v8
	v_div_fixup_f32 v2, v5, v4, v2
	global_store_dwordx2 v[0:1], v[2:3], off
	v_mov_b32_e32 v1, 0
.LBB25_659:                             ;   in Loop: Header=BB25_13 Depth=1
	s_or_b64 exec, exec, s[86:87]
	v_cmp_gt_i32_e32 vcc, 50, v1
	s_mov_b64 s[90:91], -1
	s_and_saveexec_b64 s[86:87], vcc
; %bb.660:                              ;   in Loop: Header=BB25_13 Depth=1
	v_cmp_eq_u32_e32 vcc, 0, v1
	s_orn2_b64 s[90:91], vcc, exec
; %bb.661:                              ;   in Loop: Header=BB25_13 Depth=1
	s_or_b64 exec, exec, s[86:87]
	s_mov_b64 s[88:89], s[2:3]
                                        ; implicit-def: $vgpr2_vgpr3
	s_and_saveexec_b64 s[86:87], s[90:91]
	s_cbranch_execz .LBB25_671
; %bb.662:                              ;   in Loop: Header=BB25_13 Depth=1
	v_mov_b32_e32 v1, 50
	s_mov_b64 s[88:89], exec
	v_readlane_b32 s90, v255, 46
	v_readlane_b32 s91, v255, 47
	s_and_b64 s[90:91], s[88:89], s[90:91]
	s_mov_b64 exec, s[90:91]
	s_cbranch_execz .LBB25_664
; %bb.663:                              ;   in Loop: Header=BB25_13 Depth=1
	v_add_u32_e32 v0, 0x3b80, v207
	ds_read_b32 v4, v0 offset:260
	scratch_load_dword v0, off, off offset:176 ; 4-byte Folded Reload
	v_readlane_b32 s55, v255, 2
	s_waitcnt vmcnt(0)
	ds_read_b32 v2, v0
	v_mad_u64_u32 v[0:1], s[90:91], s55, v205, v[50:51]
	v_ashrrev_i32_e32 v1, 31, v0
	v_lshl_add_u64 v[0:1], v[0:1], 3, v[94:95]
	s_waitcnt lgkmcnt(0)
	v_cvt_f32_f16_sdwa v3, v2 dst_sel:DWORD dst_unused:UNUSED_PAD src0_sel:WORD_1
	v_cvt_f32_f16_e32 v2, v2
	v_pk_add_f32 v[2:3], v[2:3], 0 op_sel_hi:[1,0]
	s_nop 0
	v_div_scale_f32 v5, s[90:91], v4, v4, v3
	v_rcp_f32_e32 v6, v5
	s_nop 0
	v_fma_f32 v7, -v5, v6, 1.0
	v_fmac_f32_e32 v6, v7, v6
	v_div_scale_f32 v7, vcc, v3, v4, v3
	v_mul_f32_e32 v8, v7, v6
	v_fma_f32 v9, -v5, v8, v7
	v_fmac_f32_e32 v8, v9, v6
	v_fma_f32 v5, -v5, v8, v7
	v_div_fmas_f32 v5, v5, v6, v8
	v_div_fixup_f32 v3, v5, v4, v3
	v_div_scale_f32 v5, s[90:91], v4, v4, v2
	v_rcp_f32_e32 v6, v5
	s_nop 0
	v_fma_f32 v7, -v5, v6, 1.0
	v_fmac_f32_e32 v6, v7, v6
	v_div_scale_f32 v7, vcc, v2, v4, v2
	v_mul_f32_e32 v8, v7, v6
	v_fma_f32 v9, -v5, v8, v7
	v_fmac_f32_e32 v8, v9, v6
	v_fma_f32 v5, -v5, v8, v7
	v_div_fmas_f32 v5, v5, v6, v8
	v_div_fixup_f32 v2, v5, v4, v2
	global_store_dwordx2 v[0:1], v[2:3], off
	v_mov_b32_e32 v1, 0
.LBB25_664:                             ;   in Loop: Header=BB25_13 Depth=1
	s_or_b64 exec, exec, s[88:89]
	v_cmp_gt_i32_e32 vcc, 50, v1
	s_mov_b64 s[92:93], -1
	s_and_saveexec_b64 s[88:89], vcc
; %bb.665:                              ;   in Loop: Header=BB25_13 Depth=1
	v_cmp_eq_u32_e32 vcc, 0, v1
	s_orn2_b64 s[92:93], vcc, exec
; %bb.666:                              ;   in Loop: Header=BB25_13 Depth=1
	s_or_b64 exec, exec, s[88:89]
	s_mov_b64 s[90:91], s[2:3]
                                        ; implicit-def: $vgpr2_vgpr3
	s_and_saveexec_b64 s[88:89], s[92:93]
	s_cbranch_execz .LBB25_670
; %bb.667:                              ;   in Loop: Header=BB25_13 Depth=1
	s_mov_b64 s[92:93], s[2:3]
                                        ; implicit-def: $vgpr2_vgpr3
	s_mov_b64 s[90:91], exec
	v_readlane_b32 s94, v255, 48
	v_readlane_b32 s95, v255, 49
	s_and_b64 s[94:95], s[90:91], s[94:95]
	s_mov_b64 exec, s[94:95]
	s_cbranch_execz .LBB25_669
; %bb.668:                              ;   in Loop: Header=BB25_13 Depth=1
	v_add_u32_e32 v0, 0x3fc0, v207
	ds_read_b32 v2, v0 offset:260
	scratch_load_dword v0, off, off offset:180 ; 4-byte Folded Reload
	s_waitcnt vmcnt(0)
	ds_read_b32 v0, v0
	s_waitcnt lgkmcnt(0)
	v_cvt_f32_f16_sdwa v1, v0 dst_sel:DWORD dst_unused:UNUSED_PAD src0_sel:WORD_1
	v_cvt_f32_f16_e32 v0, v0
	v_pk_add_f32 v[0:1], v[0:1], 0 op_sel_hi:[1,0]
	s_nop 0
	v_div_scale_f32 v3, s[92:93], v2, v2, v1
	v_rcp_f32_e32 v4, v3
	s_nop 0
	v_fma_f32 v5, -v3, v4, 1.0
	v_fmac_f32_e32 v4, v5, v4
	v_div_scale_f32 v5, vcc, v1, v2, v1
	v_mul_f32_e32 v6, v5, v4
	v_fma_f32 v7, -v3, v6, v5
	v_fmac_f32_e32 v6, v7, v4
	v_fma_f32 v3, -v3, v6, v5
	v_div_fmas_f32 v3, v3, v4, v6
	v_div_fixup_f32 v3, v3, v2, v1
	v_div_scale_f32 v1, s[92:93], v2, v2, v0
	v_rcp_f32_e32 v4, v1
	s_or_b64 s[92:93], s[2:3], exec
	v_fma_f32 v5, -v1, v4, 1.0
	v_fmac_f32_e32 v4, v5, v4
	v_div_scale_f32 v5, vcc, v0, v2, v0
	v_mul_f32_e32 v6, v5, v4
	v_fma_f32 v7, -v1, v6, v5
	v_fmac_f32_e32 v6, v7, v4
	v_fma_f32 v1, -v1, v6, v5
	v_div_fmas_f32 v1, v1, v4, v6
	v_div_fixup_f32 v2, v1, v2, v0
.LBB25_669:                             ;   in Loop: Header=BB25_13 Depth=1
	s_or_b64 exec, exec, s[90:91]
	s_andn2_b64 s[90:91], s[2:3], exec
	s_and_b64 s[92:93], s[92:93], exec
	s_or_b64 s[90:91], s[90:91], s[92:93]
	v_readlane_b32 s94, v255, 16
	v_readlane_b32 s95, v255, 17
.LBB25_670:                             ;   in Loop: Header=BB25_13 Depth=1
	s_or_b64 exec, exec, s[88:89]
	s_andn2_b64 s[88:89], s[2:3], exec
	s_and_b64 s[90:91], s[90:91], exec
	s_or_b64 s[88:89], s[88:89], s[90:91]
.LBB25_671:                             ;   in Loop: Header=BB25_13 Depth=1
	s_or_b64 exec, exec, s[86:87]
	s_andn2_b64 s[86:87], s[2:3], exec
	s_and_b64 s[88:89], s[88:89], exec
	s_or_b64 s[86:87], s[86:87], s[88:89]
.LBB25_672:                             ;   in Loop: Header=BB25_13 Depth=1
	s_or_b64 exec, exec, s[84:85]
	s_andn2_b64 s[84:85], s[2:3], exec
	s_and_b64 s[86:87], s[86:87], exec
	s_or_b64 s[84:85], s[84:85], s[86:87]
.LBB25_673:                             ;   in Loop: Header=BB25_13 Depth=1
	s_or_b64 exec, exec, s[82:83]
	s_andn2_b64 s[82:83], s[2:3], exec
	s_and_b64 s[84:85], s[84:85], exec
	s_or_b64 s[82:83], s[82:83], s[84:85]
.LBB25_674:                             ;   in Loop: Header=BB25_13 Depth=1
	s_or_b64 exec, exec, s[80:81]
	s_andn2_b64 s[80:81], s[2:3], exec
	s_and_b64 s[82:83], s[82:83], exec
	s_or_b64 s[80:81], s[80:81], s[82:83]
.LBB25_675:                             ;   in Loop: Header=BB25_13 Depth=1
	s_or_b64 exec, exec, s[78:79]
	s_andn2_b64 s[78:79], s[2:3], exec
	s_and_b64 s[80:81], s[80:81], exec
	s_or_b64 s[78:79], s[78:79], s[80:81]
.LBB25_676:                             ;   in Loop: Header=BB25_13 Depth=1
	s_or_b64 exec, exec, s[76:77]
	s_andn2_b64 s[76:77], s[2:3], exec
	s_and_b64 s[78:79], s[78:79], exec
	s_or_b64 s[76:77], s[76:77], s[78:79]
.LBB25_677:                             ;   in Loop: Header=BB25_13 Depth=1
	s_or_b64 exec, exec, s[74:75]
	s_andn2_b64 s[74:75], s[2:3], exec
	s_and_b64 s[76:77], s[76:77], exec
	s_or_b64 s[74:75], s[74:75], s[76:77]
.LBB25_678:                             ;   in Loop: Header=BB25_13 Depth=1
	s_or_b64 exec, exec, s[72:73]
	s_andn2_b64 s[72:73], s[2:3], exec
	s_and_b64 s[74:75], s[74:75], exec
	s_or_b64 s[72:73], s[72:73], s[74:75]
.LBB25_679:                             ;   in Loop: Header=BB25_13 Depth=1
	s_or_b64 exec, exec, s[50:51]
	s_andn2_b64 s[50:51], s[2:3], exec
	s_and_b64 s[72:73], s[72:73], exec
	s_or_b64 s[50:51], s[50:51], s[72:73]
.LBB25_680:                             ;   in Loop: Header=BB25_13 Depth=1
	s_or_b64 exec, exec, s[46:47]
	s_andn2_b64 s[46:47], s[2:3], exec
	s_and_b64 s[50:51], s[50:51], exec
	s_or_b64 s[46:47], s[46:47], s[50:51]
.LBB25_681:                             ;   in Loop: Header=BB25_13 Depth=1
	s_or_b64 exec, exec, s[44:45]
	s_andn2_b64 s[44:45], s[2:3], exec
	s_and_b64 s[46:47], s[46:47], exec
	s_or_b64 s[44:45], s[44:45], s[46:47]
.LBB25_682:                             ;   in Loop: Header=BB25_13 Depth=1
	s_or_b64 exec, exec, s[42:43]
	s_andn2_b64 s[42:43], s[2:3], exec
	s_and_b64 s[44:45], s[44:45], exec
	s_or_b64 s[42:43], s[42:43], s[44:45]
.LBB25_683:                             ;   in Loop: Header=BB25_13 Depth=1
	s_or_b64 exec, exec, s[40:41]
	s_andn2_b64 s[2:3], s[2:3], exec
	s_and_b64 s[40:41], s[42:43], exec
	s_or_b64 s[2:3], s[2:3], s[40:41]
.LBB25_684:                             ;   in Loop: Header=BB25_13 Depth=1
	s_or_b64 exec, exec, s[38:39]
.LBB25_685:                             ;   in Loop: Header=BB25_13 Depth=1
	s_and_saveexec_b64 s[38:39], s[2:3]
	s_cbranch_execz .LBB25_12
; %bb.686:                              ;   in Loop: Header=BB25_13 Depth=1
	v_readlane_b32 s2, v255, 2
	s_nop 1
	v_mad_u64_u32 v[0:1], s[2:3], s2, v211, v[50:51]
	v_ashrrev_i32_e32 v1, 31, v0
	v_lshl_add_u64 v[0:1], v[0:1], 3, v[94:95]
	global_store_dwordx2 v[0:1], v[2:3], off
	s_branch .LBB25_12
.LBB25_687:
	s_andn2_b64 vcc, exec, s[2:3]
	s_cbranch_vccnz .LBB25_948
; %bb.688:
	v_readlane_b32 s6, v254, 7
	s_abs_i32 s0, s6
	v_cvt_f32_u32_e32 v0, s0
	v_readlane_b32 s2, v254, 12
	v_readlane_b32 s3, v254, 13
	s_sub_i32 s3, 0, s0
	v_rcp_iflag_f32_e32 v0, v0
	s_mov_b32 s10, s2
	s_xor_b32 s1, s2, s6
	s_abs_i32 s2, s2
	v_mul_f32_e32 v0, 0x4f7ffffe, v0
	v_cvt_u32_f32_e32 v0, v0
	s_ashr_i32 s1, s1, 31
	v_readlane_b32 s8, v254, 6
	v_readlane_b32 s9, v254, 3
	v_readfirstlane_b32 s4, v0
	s_mul_i32 s3, s3, s4
	s_mul_hi_u32 s3, s4, s3
	s_add_i32 s4, s4, s3
	s_mul_hi_u32 s3, s2, s4
	s_mul_i32 s4, s3, s0
	s_sub_i32 s2, s2, s4
	s_add_i32 s5, s3, 1
	s_sub_i32 s4, s2, s0
	s_cmp_ge_u32 s2, s0
	s_cselect_b32 s3, s5, s3
	s_cselect_b32 s2, s4, s2
	s_add_i32 s4, s3, 1
	s_cmp_ge_u32 s2, s0
	s_cselect_b32 s0, s4, s3
	s_abs_i32 s2, s8
	v_cvt_f32_u32_e32 v0, s2
	s_xor_b32 s0, s0, s1
	s_sub_i32 s4, s0, s1
	s_sub_i32 s3, 0, s2
	v_rcp_iflag_f32_e32 v0, v0
	s_mul_i32 s0, s4, s6
	s_sub_i32 s0, s10, s0
	s_abs_i32 s5, s0
	v_mul_f32_e32 v0, 0x4f7ffffe, v0
	v_cvt_u32_f32_e32 v0, v0
	s_xor_b32 s1, s0, s8
	s_ashr_i32 s1, s1, 31
	v_readlane_b32 s12, v254, 31
	v_readfirstlane_b32 s6, v0
	s_mul_i32 s3, s3, s6
	s_mul_hi_u32 s3, s6, s3
	s_add_i32 s6, s6, s3
	s_mul_hi_u32 s3, s5, s6
	s_mul_i32 s6, s3, s2
	s_sub_i32 s5, s5, s6
	s_add_i32 s7, s3, 1
	s_sub_i32 s6, s5, s2
	s_cmp_ge_u32 s5, s2
	s_cselect_b32 s3, s7, s3
	s_cselect_b32 s5, s6, s5
	s_add_i32 s6, s3, 1
	s_cmp_ge_u32 s5, s2
	s_cselect_b32 s2, s6, s3
	s_abs_i32 s3, s9
	v_cvt_f32_u32_e32 v0, s3
	s_xor_b32 s2, s2, s1
	s_sub_i32 s6, 0, s3
	s_sub_i32 s5, s2, s1
	v_rcp_iflag_f32_e32 v0, v0
	s_mul_i32 s1, s5, s8
	s_sub_i32 s1, s0, s1
	s_abs_i32 s2, s1
	v_mul_f32_e32 v0, 0x4f7ffffe, v0
	v_cvt_u32_f32_e32 v0, v0
	s_xor_b32 s0, s1, s9
	s_ashr_i32 s0, s0, 31
	v_readlane_b32 s18, v254, 37
	v_readfirstlane_b32 s7, v0
	s_mul_i32 s6, s6, s7
	s_mul_hi_u32 s6, s7, s6
	s_add_i32 s7, s7, s6
	s_mul_hi_u32 s6, s2, s7
	s_mul_i32 s7, s6, s3
	s_sub_i32 s2, s2, s7
	s_add_i32 s8, s6, 1
	s_sub_i32 s7, s2, s3
	s_cmp_ge_u32 s2, s3
	s_cselect_b32 s6, s8, s6
	s_cselect_b32 s2, s7, s2
	s_add_i32 s7, s6, 1
	s_cmp_ge_u32 s2, s3
	s_cselect_b32 s2, s7, s6
	s_xor_b32 s2, s2, s0
	s_sub_i32 s0, s2, s0
	s_mul_i32 s2, s0, s9
	s_sub_i32 s1, s1, s2
	s_abs_i32 s8, s1
	v_readlane_b32 s2, v254, 29
	s_ashr_i32 s6, s4, 31
	v_readlane_b32 s19, v254, 38
	s_mul_hi_u32 s7, s8, s2
	s_cmp_eq_u64 s[18:19], 0
	s_mov_b64 s[40:41], 0
	v_readlane_b32 s13, v254, 32
	v_readlane_b32 s14, v254, 33
	;; [unrolled: 1-line block ×13, first 2 shown]
	s_cbranch_scc1 .LBB25_690
; %bb.689:
	v_readlane_b32 s2, v254, 51
	s_abs_i32 s2, s2
	s_sub_i32 s9, 0, s2
	v_cvt_f32_u32_e32 v0, s2
	v_readlane_b32 s3, v254, 52
	s_abs_i32 s3, s4
	v_readlane_b32 s12, v254, 20
	v_rcp_iflag_f32_e32 v0, v0
	v_readlane_b32 s13, v254, 21
	v_mul_f32_e32 v0, 0x4f7ffffe, v0
	v_cvt_u32_f32_e32 v0, v0
	s_nop 0
	v_readfirstlane_b32 s10, v0
	s_mul_i32 s9, s9, s10
	s_mul_hi_u32 s9, s10, s9
	s_add_i32 s10, s10, s9
	s_mul_hi_u32 s9, s3, s10
	s_mul_i32 s9, s9, s2
	s_sub_i32 s3, s3, s9
	s_sub_i32 s9, s3, s2
	s_cmp_ge_u32 s3, s2
	s_cselect_b32 s3, s9, s3
	s_sub_i32 s9, s3, s2
	s_cmp_ge_u32 s3, s2
	s_cselect_b32 s2, s9, s3
	s_xor_b32 s2, s2, s6
	s_sub_i32 s2, s2, s6
	s_ashr_i32 s3, s2, 31
	s_mul_hi_u32 s9, s12, s2
	s_mul_i32 s3, s12, s3
	s_mul_i32 s10, s13, s2
	s_add_i32 s3, s9, s3
	s_add_i32 s3, s3, s10
	s_mul_i32 s2, s12, s2
	s_add_u32 s40, s18, s2
	s_addc_u32 s41, s19, s3
.LBB25_690:
	s_ashr_i32 s10, s1, 31
	v_readlane_b32 s1, v254, 2
	s_mul_i32 s9, s5, s1
	s_add_i32 s9, s9, s0
	v_readlane_b32 s0, v254, 47
	v_readlane_b32 s1, v254, 48
	;; [unrolled: 1-line block ×4, first 2 shown]
	v_cmp_le_f32_e64 s[0:1], s1, 0
	s_and_b64 vcc, exec, s[0:1]
	v_mov_b32_e32 v50, 1.0
	s_cbranch_vccnz .LBB25_692
; %bb.691:
	v_mov_b32_e32 v0, s52
	v_sub_co_u32_e32 v0, vcc, s9, v0
	v_mov_b32_e32 v1, s3
	v_mov_b32_e32 v2, s2
	s_add_i32 s0, s9, 1
	v_lshlrev_b32_e32 v0, 1, v0
	v_cndmask_b32_e32 v1, v1, v2, vcc
	v_or_b32_e32 v0, 1, v0
	v_mov_b32_e32 v2, s0
	v_cndmask_b32_e32 v0, v0, v2, vcc
	v_cvt_f32_i32_e32 v0, v0
	v_cmp_neq_f32_e32 vcc, 1.0, v1
	s_mov_b32 s0, 0x3f2aaaab
	s_movk_i32 s2, 0x204
	v_cndmask_b32_e32 v16, 1.0, v0, vcc
	v_cmp_neq_f32_e32 vcc, 0, v16
	s_mov_b32 s1, 0x42b17218
	s_mov_b32 s3, 0x3fb8aa3b
	v_cndmask_b32_e32 v17, 1.0, v1, vcc
	v_frexp_mant_f32_e64 v0, |v17|
	v_cmp_gt_f32_e32 vcc, s0, v0
	s_mov_b32 s0, 0x3f317218
	s_brev_b32 s11, -2
	v_cndmask_b32_e64 v1, 1.0, 2.0, vcc
	v_mul_f32_e32 v0, v0, v1
	v_add_f32_e32 v3, 1.0, v0
	v_rcp_f32_e32 v8, v3
	v_add_f32_e32 v1, -1.0, v3
	v_sub_f32_e32 v5, v0, v1
	v_add_f32_e32 v1, -1.0, v0
	v_mul_f32_e32 v9, v1, v8
	v_mul_f32_e32 v2, v3, v9
	v_fma_f32 v4, v9, v3, -v2
	v_fmac_f32_e32 v4, v9, v5
	v_add_f32_e32 v0, v2, v4
	v_sub_f32_e32 v3, v1, v0
	v_pk_add_f32 v[6:7], v[0:1], v[2:3] neg_lo:[0,1] neg_hi:[0,1]
	v_mov_b32_e32 v5, v0
	v_pk_add_f32 v[0:1], v[6:7], v[4:5] neg_lo:[0,1] neg_hi:[0,1]
	v_mov_b32_e32 v4, 0x3e91f4c4
	v_add_f32_e32 v0, v0, v1
	v_add_f32_e32 v0, v3, v0
	v_mul_f32_e32 v1, v8, v0
	v_add_f32_e32 v0, v9, v1
	v_sub_f32_e32 v2, v0, v9
	v_sub_f32_e32 v10, v1, v2
	v_mul_f32_e32 v1, v0, v0
	v_fma_f32 v3, v0, v0, -v1
	v_add_f32_e32 v2, v10, v10
	v_fmac_f32_e32 v3, v0, v2
	v_add_f32_e32 v2, v1, v3
	v_fmac_f32_e32 v4, 0x3e76c4e1, v2
	v_fmaak_f32 v4, v2, v4, 0x3ecccdef
	v_sub_f32_e32 v1, v2, v1
	v_sub_f32_e32 v11, v3, v1
	v_mul_f32_e32 v1, v2, v4
	v_fma_f32 v3, v2, v4, -v1
	v_fmac_f32_e32 v3, v11, v4
	v_add_f32_e32 v4, v1, v3
	v_add_f32_e32 v5, 0x3f2aaaaa, v4
	v_sub_f32_e32 v1, v4, v1
	v_sub_f32_e32 v1, v3, v1
	v_add_f32_e32 v3, 0xbf2aaaaa, v5
	v_add_f32_e32 v1, 0x31739010, v1
	v_sub_f32_e32 v3, v4, v3
	v_pk_mul_f32 v[6:7], v[0:1], v[2:3]
	v_pk_add_f32 v[8:9], v[0:1], v[2:3]
	v_fma_f32 v4, v2, v0, -v6
	v_fmac_f32_e32 v4, v2, v10
	v_mov_b32_e32 v7, v9
	v_fmac_f32_e32 v4, v11, v0
	v_pk_add_f32 v[2:3], v[6:7], v[4:5]
	v_ldexp_f32 v12, v10, 1
	v_sub_f32_e32 v1, v2, v6
	v_sub_f32_e32 v1, v4, v1
	;; [unrolled: 1-line block ×3, first 2 shown]
	v_add_f32_e32 v7, v9, v4
	v_pk_mul_f32 v[4:5], v[2:3], v[2:3] op_sel:[0,1] op_sel_hi:[1,0]
	v_cvt_f64_f32_e64 v[8:9], |v17|
	v_frexp_exp_i32_f64_e32 v5, v[8:9]
	v_subbrev_co_u32_e32 v5, vcc, 0, v5, vcc
	v_cvt_f32_i32_e32 v5, v5
	v_fma_f32 v6, v2, v3, -v4
	v_fmac_f32_e32 v6, v2, v7
	v_fmac_f32_e32 v6, v1, v3
	v_mul_f32_e32 v2, 0x3f317218, v5
	v_fma_f32 v1, v5, s0, -v2
	v_fmamk_f32 v8, v5, 0xb102e308, v1
	v_ldexp_f32 v9, v0, 1
	v_add_f32_e32 v3, v4, v6
	v_pk_add_f32 v[0:1], v[2:3], v[8:9]
	v_mov_b32_e32 v10, v3
	v_mov_b32_e32 v11, v1
	;; [unrolled: 1-line block ×3, first 2 shown]
	v_pk_add_f32 v[4:5], v[10:11], v[4:5] neg_lo:[0,1] neg_hi:[0,1]
	v_mov_b32_e32 v7, v3
	v_pk_add_f32 v[4:5], v[6:7], v[4:5] neg_lo:[0,1] neg_hi:[0,1]
	v_mov_b32_e32 v9, v0
	v_add_f32_e32 v3, v12, v4
	v_add_f32_e32 v3, v3, v5
	v_pk_add_f32 v[4:5], v[0:1], v[2:3] neg_lo:[0,1] neg_hi:[0,1]
	v_pk_add_f32 v[6:7], v[0:1], v[2:3]
	v_mov_b32_e32 v14, v1
	v_mov_b32_e32 v5, v7
	v_pk_add_f32 v[10:11], v[8:9], v[4:5] neg_lo:[0,1] neg_hi:[0,1]
	v_pk_add_f32 v[4:5], v[8:9], v[4:5]
	v_mov_b32_e32 v2, v3
	v_pk_add_f32 v[8:9], v[4:5], v[0:1] op_sel:[1,0] op_sel_hi:[0,1] neg_lo:[0,1] neg_hi:[0,1]
	v_pk_add_f32 v[12:13], v[6:7], v[8:9] op_sel_hi:[1,0] neg_lo:[0,1] neg_hi:[0,1]
	v_mov_b32_e32 v6, v7
	v_mov_b32_e32 v7, v5
	v_mov_b32_e32 v15, v8
	v_pk_add_f32 v[6:7], v[6:7], v[14:15] neg_lo:[0,1] neg_hi:[0,1]
	v_mov_b32_e32 v3, v0
	v_pk_add_f32 v[0:1], v[2:3], v[6:7] neg_lo:[0,1] neg_hi:[0,1]
	v_mov_b32_e32 v12, v10
	v_pk_add_f32 v[2:3], v[12:13], v[0:1]
	v_mov_b32_e32 v11, v5
	v_pk_add_f32 v[6:7], v[2:3], v[2:3] op_sel:[0,1] op_sel_hi:[1,0]
	s_mov_b32 s0, 0x7f800000
	v_pk_add_f32 v[4:5], v[4:5], v[6:7] op_sel:[1,0] op_sel_hi:[0,1]
	v_mov_b32_e32 v3, v4
	v_pk_add_f32 v[8:9], v[2:3], v[10:11] neg_lo:[0,1] neg_hi:[0,1]
	v_mov_b32_e32 v1, v6
	v_sub_f32_e32 v2, v2, v8
	v_pk_add_f32 v[0:1], v[0:1], v[8:9] neg_lo:[0,1] neg_hi:[0,1]
	v_sub_f32_e32 v2, v10, v2
	v_add_f32_e32 v0, v0, v2
	v_add_f32_e32 v0, v0, v1
	;; [unrolled: 1-line block ×3, first 2 shown]
	v_sub_f32_e32 v2, v1, v4
	v_sub_f32_e32 v0, v0, v2
	v_mul_f32_e32 v2, v16, v1
	v_fma_f32 v1, v16, v1, -v2
	v_fmac_f32_e32 v1, v16, v0
	v_add_f32_e32 v0, v2, v1
	v_cmp_class_f32_e64 vcc, v2, s2
	v_sub_f32_e32 v3, v0, v2
	v_sub_f32_e32 v1, v1, v3
	v_cndmask_b32_e32 v0, v0, v2, vcc
	v_mov_b32_e32 v2, 0x37000000
	v_cmp_eq_f32_e32 vcc, s1, v0
	v_cmp_class_f32_e64 s[12:13], v17, s2
	s_nop 0
	v_cndmask_b32_e32 v2, 0, v2, vcc
	v_sub_f32_e32 v3, v0, v2
	v_mul_f32_e32 v4, 0x3fb8aa3b, v3
	v_fma_f32 v5, v3, s3, -v4
	v_rndne_f32_e32 v6, v4
	v_fmamk_f32 v5, v3, 0x32a5705f, v5
	v_sub_f32_e32 v4, v4, v6
	v_add_f32_e32 v4, v4, v5
	v_exp_f32_e32 v4, v4
	v_cvt_i32_f32_e32 v5, v6
	v_cmp_neq_f32_e64 vcc, |v0|, s0
	s_mov_b32 s0, 0xc2ce8ed0
	s_nop 0
	v_cndmask_b32_e32 v0, 0, v1, vcc
	v_ldexp_f32 v1, v4, v5
	v_cmp_ngt_f32_e32 vcc, s0, v3
	v_add_f32_e32 v0, v2, v0
	v_mov_b32_e32 v2, 0x7f800000
	v_cndmask_b32_e32 v1, 0, v1, vcc
	v_cmp_nlt_f32_e32 vcc, s1, v3
	v_mov_b32_e32 v3, 0x7fc00000
	s_nop 0
	v_cndmask_b32_e32 v1, v2, v1, vcc
	v_fma_f32 v0, v1, v0, v1
	v_cmp_class_f32_e64 vcc, v1, s2
	v_cmp_gt_f32_e64 s[2:3], 0, v16
	s_nop 0
	v_cndmask_b32_e32 v0, v0, v1, vcc
	v_trunc_f32_e32 v1, v16
	v_cmp_eq_f32_e32 vcc, v1, v16
	v_mul_f32_e32 v1, 0.5, v16
	v_trunc_f32_e32 v4, v1
	v_cmp_neq_f32_e64 s[0:1], v4, v1
	s_and_b64 s[0:1], vcc, s[0:1]
	s_nop 0
	v_cndmask_b32_e64 v1, 1.0, v17, s[0:1]
	v_bfi_b32 v0, s11, v0, v1
	v_cndmask_b32_e32 v1, v3, v0, vcc
	v_cmp_gt_f32_e32 vcc, 0, v17
	s_nop 1
	v_cndmask_b32_e32 v0, v0, v1, vcc
	v_cmp_eq_f32_e32 vcc, 0, v17
	s_xor_b64 s[2:3], s[2:3], vcc
	v_cndmask_b32_e64 v1, v2, 0, s[2:3]
	v_cndmask_b32_e64 v2, 0, v17, s[0:1]
	v_bfi_b32 v1, s11, v1, v2
	s_or_b64 vcc, vcc, s[12:13]
	v_cndmask_b32_e32 v0, v0, v1, vcc
	v_cmp_o_f32_e32 vcc, v17, v17
	s_nop 1
	v_cndmask_b32_e32 v50, v3, v0, vcc
.LBB25_692:
	v_readlane_b32 s0, v254, 28
	s_xor_b32 s0, s10, s0
	v_readlane_b32 s10, v254, 30
	s_mul_i32 s1, s7, s10
	s_sub_i32 s1, s8, s1
	s_add_i32 s2, s7, 1
	s_sub_i32 s3, s1, s10
	s_cmp_ge_u32 s1, s10
	s_cselect_b32 s2, s2, s7
	s_cselect_b32 s1, s3, s1
	s_add_i32 s3, s2, 1
	s_cmp_ge_u32 s1, s10
	s_cselect_b32 s1, s3, s2
	s_xor_b32 s1, s1, s0
	v_readlane_b32 s12, v254, 31
	s_sub_i32 s2, s1, s0
	v_readlane_b32 s22, v254, 41
	v_readlane_b32 s23, v254, 42
	;; [unrolled: 1-line block ×3, first 2 shown]
	s_cmp_eq_u64 s[22:23], 0
	v_mov_b32_e32 v16, s55
	v_readlane_b32 s14, v254, 33
	v_readlane_b32 s15, v254, 34
	;; [unrolled: 1-line block ×12, first 2 shown]
	s_cbranch_scc1 .LBB25_694
; %bb.693:
	v_readlane_b32 s0, v254, 0
	s_mul_i32 s0, s4, s0
	s_add_i32 s0, s2, s0
	s_ashr_i32 s1, s0, 31
	s_lshl_b64 s[0:1], s[0:1], 2
	s_add_u32 s0, s22, s0
	s_addc_u32 s1, s23, s1
	v_mov_b32_e32 v0, 0
	global_load_dword v0, v0, s[0:1]
	s_waitcnt vmcnt(0)
	v_ashrrev_i32_e32 v1, 31, v0
	v_lshrrev_b32_e32 v1, 26, v1
	v_add_u32_e32 v0, v0, v1
	v_ashrrev_i32_e32 v0, 6, v0
	v_min_i32_e32 v16, s55, v0
.LBB25_694:
	scratch_load_dword v0, off, off offset:100 ; 4-byte Folded Reload
	v_readlane_b32 s10, v254, 10
	v_readlane_b32 s11, v254, 11
	s_mul_i32 s0, s4, s11
	s_ashr_i32 s1, s0, 31
	s_add_u32 s0, s12, s0
	s_mul_i32 s9, s9, s10
	s_addc_u32 s1, s13, s1
	s_ashr_i32 s3, s9, 31
	s_add_u32 s0, s0, s9
	s_addc_u32 s1, s1, s3
	s_lshl_b32 s7, s2, 6
	v_add_u32_e32 v130, s7, v172
	s_mov_b32 s8, 0x10001
	v_cmp_le_i32_e32 vcc, s68, v130
	s_waitcnt vmcnt(0)
	v_and_b32_e32 v48, 0x3ff, v0
	v_lshl_add_u32 v49, v48, 2, 0
	s_and_saveexec_b64 s[2:3], vcc
	s_xor_b64 s[2:3], exec, s[2:3]
; %bb.695:
	s_movk_i32 s9, 0x110
	v_mad_u32_u24 v0, v172, s9, v49
	v_mov_b32_e32 v1, 0
	ds_write_b32 v0, v1
; %bb.696:
	s_or_saveexec_b64 s[2:3], s[2:3]
	v_mul_lo_u32 v0, v118, s8
	s_xor_b64 exec, exec, s[2:3]
	s_cbranch_execz .LBB25_698
; %bb.697:
	v_mad_u64_u32 v[2:3], s[8:9], v130, s66, v[48:49]
	v_ashrrev_i32_e32 v3, 31, v2
	v_lshl_add_u64 v[2:3], v[2:3], 3, s[0:1]
	global_load_dwordx2 v[2:3], v[2:3], off
	s_movk_i32 s8, 0x110
	s_waitcnt vmcnt(0)
	v_cvt_pk_f16_f32 v1, v2, v3
	v_pk_mul_f16 v1, v1, v0
	v_mad_u32_u24 v2, v172, s8, v49
	ds_write_b32 v2, v1
.LBB25_698:
	s_or_b64 exec, exec, s[2:3]
	v_add_u32_e32 v131, s7, v117
	v_cmp_le_i32_e32 vcc, s68, v131
	s_and_saveexec_b64 s[2:3], vcc
	s_xor_b64 s[2:3], exec, s[2:3]
; %bb.699:
	s_movk_i32 s8, 0x110
	v_mad_u32_u24 v1, v117, s8, v49
	v_mov_b32_e32 v2, 0
	ds_write_b32 v1, v2
; %bb.700:
	s_andn2_saveexec_b64 s[2:3], s[2:3]
	s_cbranch_execz .LBB25_702
; %bb.701:
	v_mad_u64_u32 v[2:3], s[8:9], v131, s66, v[48:49]
	v_ashrrev_i32_e32 v3, 31, v2
	v_lshl_add_u64 v[2:3], v[2:3], 3, s[0:1]
	global_load_dwordx2 v[2:3], v[2:3], off
	s_movk_i32 s8, 0x110
	s_waitcnt vmcnt(0)
	v_cvt_pk_f16_f32 v1, v2, v3
	v_pk_mul_f16 v1, v1, v0
	v_mad_u32_u24 v2, v117, s8, v49
	ds_write_b32 v2, v1
.LBB25_702:
	s_or_b64 exec, exec, s[2:3]
	v_add_u32_e32 v132, s7, v116
	v_cmp_le_i32_e32 vcc, s68, v132
	s_and_saveexec_b64 s[2:3], vcc
	s_xor_b64 s[2:3], exec, s[2:3]
; %bb.703:
	s_movk_i32 s8, 0x110
	v_mad_u32_u24 v1, v116, s8, v49
	v_mov_b32_e32 v2, 0
	ds_write_b32 v1, v2
; %bb.704:
	s_andn2_saveexec_b64 s[2:3], s[2:3]
	;; [unrolled: 25-line block ×14, first 2 shown]
	s_cbranch_execz .LBB25_754
; %bb.753:
	v_mad_u64_u32 v[2:3], s[8:9], v145, s66, v[48:49]
	v_ashrrev_i32_e32 v3, 31, v2
	v_lshl_add_u64 v[2:3], v[2:3], 3, s[0:1]
	global_load_dwordx2 v[2:3], v[2:3], off
	s_movk_i32 s8, 0x110
	s_waitcnt vmcnt(0)
	v_cvt_pk_f16_f32 v1, v2, v3
	v_pk_mul_f16 v1, v1, v0
	v_mad_u32_u24 v2, v161, s8, v49
	ds_write_b32 v2, v1
.LBB25_754:
	s_or_b64 exec, exec, s[2:3]
	v_add_u32_e32 v146, s7, v160
	v_cmp_le_i32_e32 vcc, s68, v146
	s_and_saveexec_b64 s[2:3], vcc
	s_xor_b64 s[2:3], exec, s[2:3]
; %bb.755:
	s_movk_i32 s7, 0x110
	v_mad_u32_u24 v0, v160, s7, v49
	v_mov_b32_e32 v1, 0
	ds_write_b32 v0, v1
                                        ; implicit-def: $vgpr0
; %bb.756:
	s_andn2_saveexec_b64 s[2:3], s[2:3]
	s_cbranch_execz .LBB25_758
; %bb.757:
	v_mad_u64_u32 v[2:3], s[8:9], v146, s66, v[48:49]
	v_ashrrev_i32_e32 v3, 31, v2
	v_lshl_add_u64 v[2:3], v[2:3], 3, s[0:1]
	global_load_dwordx2 v[2:3], v[2:3], off
	s_movk_i32 s0, 0x110
	s_waitcnt vmcnt(0)
	v_cvt_pk_f16_f32 v1, v2, v3
	v_pk_mul_f16 v0, v1, v0
	v_mad_u32_u24 v1, v160, s0, v49
	ds_write_b32 v1, v0
.LBB25_758:
	s_or_b64 exec, exec, s[2:3]
	v_readlane_b32 s2, v254, 18
	v_readlane_b32 s3, v254, 19
	s_mul_i32 s0, s2, s6
	s_mul_hi_u32 s1, s2, s4
	s_add_i32 s0, s1, s0
	s_mul_i32 s1, s3, s4
	v_readlane_b32 s8, v254, 31
	s_add_i32 s0, s0, s1
	s_mul_i32 s1, s2, s4
	v_readlane_b32 s12, v254, 35
	v_readlane_b32 s13, v254, 36
	;; [unrolled: 1-line block ×4, first 2 shown]
	s_add_u32 s1, s12, s1
	s_addc_u32 s0, s13, s0
	v_readlane_b32 s12, v254, 24
	v_readlane_b32 s15, v254, 27
	s_mul_i32 s2, s5, s15
	s_ashr_i32 s3, s2, 31
	s_add_u32 s33, s1, s2
	v_readlane_b32 s13, v254, 25
	s_addc_u32 s48, s0, s3
	s_mul_i32 s0, s12, s6
	s_mul_hi_u32 s1, s12, s4
	s_add_i32 s0, s1, s0
	s_mul_i32 s1, s13, s4
	v_readlane_b32 s2, v254, 22
	v_readlane_b32 s10, v254, 33
	s_add_i32 s0, s0, s1
	s_mul_i32 s1, s12, s4
	v_readlane_b32 s3, v254, 23
	v_readlane_b32 s11, v254, 34
	s_add_u32 s1, s10, s1
	s_mul_i32 s5, s5, s3
	s_addc_u32 s0, s11, s0
	s_ashr_i32 s2, s5, 31
	s_add_u32 s49, s1, s5
	v_lshrrev_b32_e32 v18, 3, v48
	s_addc_u32 s51, s0, s2
	s_movk_i32 s0, 0x1100
	v_and_b32_e32 v113, 15, v48
	v_and_b32_e32 v0, 0x7e, v18
	v_mad_u32_u24 v17, v172, s0, 0
	v_mul_u32_u24_e32 v143, 0x110, v113
	v_lshlrev_b32_e32 v112, 2, v0
	v_add3_u32 v0, v17, v143, v112
	s_waitcnt lgkmcnt(0)
	s_barrier
	ds_read2_b64 v[12:15], v0 offset1:4
	ds_read2_b64 v[8:11], v0 offset0:8 offset1:12
	ds_read2_b64 v[4:7], v0 offset0:16 offset1:20
	;; [unrolled: 1-line block ×3, first 2 shown]
	v_add_u32_e32 v149, -1, v16
	v_cmp_ge_i32_e32 vcc, s50, v149
	s_movk_i32 s2, 0x110
	s_mov_b32 s52, 0
	s_and_b64 vcc, exec, vcc
	v_lshlrev_b32_e32 v52, 1, v48
	v_mbcnt_lo_u32_b32 v114, -1, 0
	v_lshrrev_b32_e32 v148, 4, v48
	v_lshlrev_b32_e32 v147, 2, v48
	v_lshrrev_b32_e32 v119, 2, v48
	v_lshl_or_b32 v123, v172, 4, v113
	v_lshl_or_b32 v122, v18, 2, 4
	v_readlane_b32 s9, v254, 32
	v_readlane_b32 s16, v254, 39
	;; [unrolled: 1-line block ×10, first 2 shown]
	s_waitcnt lgkmcnt(0)
	s_barrier
	s_cbranch_vccnz .LBB25_839
; %bb.759:
	v_mov_b32_e32 v55, 0
	v_mov_b32_e32 v53, v55
	v_mul_i32_i24_e32 v16, 0xffffef90, v172
	v_lshl_add_u64 v[56:57], s[40:41], 0, v[52:53]
	v_add3_u32 v53, v17, v16, v52
	v_mul_hi_u32 v16, s58, v130
	v_add_u32_e32 v16, v130, v16
	v_lshrrev_b32_e32 v16, s59, v16
	v_mul_lo_u32 v16, v16, s68
	v_sub_u32_e32 v16, v130, v16
	v_mad_i64_i32 v[58:59], s[4:5], v16, s94, 0
	v_mul_hi_u32 v16, s58, v131
	v_add_u32_e32 v16, v131, v16
	v_lshrrev_b32_e32 v16, s59, v16
	v_mul_lo_u32 v16, v16, s68
	v_sub_u32_e32 v16, v131, v16
	v_mad_i64_i32 v[60:61], s[4:5], v16, s94, 0
	;; [unrolled: 6-line block ×16, first 2 shown]
	v_mbcnt_hi_u32_b32 v16, -1, v114
	v_and_b32_e32 v17, 64, v16
	v_add_u32_e32 v17, 64, v17
	v_xor_b32_e32 v18, 32, v16
	v_cmp_lt_i32_e32 vcc, v18, v17
	s_cmp_lg_u64 s[40:41], 0
	s_cselect_b64 s[44:45], -1, 0
	v_cndmask_b32_e32 v18, v16, v18, vcc
	v_lshlrev_b32_e32 v181, 2, v18
	v_xor_b32_e32 v18, 16, v16
	v_cmp_lt_i32_e32 vcc, v18, v17
	v_lshl_add_u32 v17, v172, 2, v148
	v_mul_lo_u32 v90, s98, v17
	s_lshl_b32 s3, s98, 4
	v_add_u32_e32 v92, s3, v90
	v_add_u32_e32 v94, s3, v92
	v_cndmask_b32_e32 v16, v16, v18, vcc
	v_add_u32_e32 v96, s3, v94
	s_movk_i32 s3, 0x90
	v_lshlrev_b32_e32 v182, 2, v16
	v_and_b32_e32 v16, 60, v147
	v_mad_u32_u24 v20, v123, s3, 0
	v_mul_lo_u32 v98, s96, v17
	s_lshl_b32 s3, s96, 4
	v_mul_u32_u24_e32 v18, 0x110, v17
	v_lshlrev_b32_e32 v19, 2, v16
	v_add_u32_e32 v100, s3, v98
	v_add3_u32 v183, 0, v18, v19
	v_lshrrev_b32_e32 v18, 2, v48
	v_add_u32_e32 v102, s3, v100
	v_and_b32_e32 v19, 0xfc, v18
	v_add_u32_e32 v104, s3, v102
	s_movk_i32 s3, 0x100
	v_lshl_add_u32 v188, v19, 1, v20
	v_cmp_gt_u32_e64 s[12:13], s3, v48
	s_movk_i32 s3, 0xc0
	v_or_b32_e32 v18, 3, v18
	s_mov_b64 s[42:43], src_private_base
	v_cmp_gt_u32_e64 s[4:5], 64, v17
	v_cmp_gt_u32_e64 s[6:7], 48, v17
	;; [unrolled: 1-line block ×4, first 2 shown]
	v_add_u32_e32 v189, v20, v122
	v_add_u32_e32 v20, 32, v188
	;; [unrolled: 1-line block ×4, first 2 shown]
	v_lshl_add_u32 v17, v113, 1, 0
	v_cmp_gt_u32_e64 s[14:15], s3, v48
	s_movk_i32 s3, 0x80
	v_mul_u32_u24_e32 v18, 0x110, v18
	v_cmp_gt_u32_e64 s[0:1], 64, v48
	v_cmp_lt_u32_e64 s[38:39], 63, v48
	v_add_u32_e32 v150, 0x240, v53
	v_add_u32_e32 v151, 0x480, v53
	;; [unrolled: 1-line block ×15, first 2 shown]
	v_ashrrev_i32_e32 v91, 31, v90
	v_add_u32_e32 v184, 0x1100, v183
	v_ashrrev_i32_e32 v93, 31, v92
	v_add_u32_e32 v185, 0x2200, v183
	;; [unrolled: 2-line block ×3, first 2 shown]
	v_ashrrev_i32_e32 v97, 31, v96
	v_add3_u32 v187, 0, v143, v112
	v_ashrrev_i32_e32 v99, 31, v98
	v_ashrrev_i32_e32 v101, 31, v100
	;; [unrolled: 1-line block ×4, first 2 shown]
	v_cmp_gt_u32_e64 s[16:17], 47, v19
	v_cmp_gt_u32_e64 s[18:19], 46, v19
	;; [unrolled: 1-line block ×10, first 2 shown]
	v_mad_u32_u24 v190, v19, s2, v17
	v_mov_b32_e32 v106, v50
	v_mov_b32_e32 v107, v50
	s_lshl_b32 s46, s50, 6
	v_mov_b32_e32 v173, 0xfeffffff
	v_lshlrev_b32_e32 v54, 2, v16
	s_mov_b32 s42, 0x3f200000
	s_mov_b32 s54, 0x3fb8aa3b
	;; [unrolled: 1-line block ×4, first 2 shown]
	v_mov_b32_e32 v191, 0x3ca908c9
	s_brev_b32 s57, -2
	v_add_u32_e32 v192, 0x4400, v20
	v_add_u32_e32 v193, 0x4400, v21
	;; [unrolled: 1-line block ×3, first 2 shown]
	s_mov_b32 s60, 0xc1a00000
	v_add_u32_e32 v195, v17, v18
	s_mov_b32 s61, 0x5040100
	v_mov_b32_e32 v196, 0
	v_mov_b32_e32 v206, v55
	;; [unrolled: 1-line block ×23, first 2 shown]
                                        ; implicit-def: $vgpr16
                                        ; implicit-def: $vgpr16
	;; [unrolled: 1-line block ×3, first 2 shown]
	s_andn2_b64 vcc, exec, s[44:45]
	s_ashr_i32 s47, s46, 31
	s_cbranch_vccnz .LBB25_769
.LBB25_760:
	s_and_saveexec_b64 s[2:3], s[38:39]
	s_xor_b64 s[2:3], exec, s[2:3]
	s_cbranch_execz .LBB25_762
; %bb.761:
	ds_write_b16 v53, v55 offset:17408
	ds_write_b16 v150, v55 offset:17408
	;; [unrolled: 1-line block ×4, first 2 shown]
.LBB25_762:
	s_or_saveexec_b64 s[2:3], s[2:3]
	v_lshl_add_u64 v[16:17], s[46:47], 1, v[56:57]
	v_mov_b32_e32 v18, 0
	v_mov_b32_e32 v19, 0
	;; [unrolled: 1-line block ×4, first 2 shown]
	s_xor_b64 exec, exec, s[2:3]
	s_cbranch_execz .LBB25_764
; %bb.763:
	v_lshl_add_u64 v[18:19], v[58:59], 1, v[16:17]
	v_lshl_add_u64 v[20:21], v[60:61], 1, v[16:17]
	;; [unrolled: 1-line block ×8, first 2 shown]
	global_load_ushort v34, v[18:19], off
	global_load_ushort v35, v[20:21], off
	s_nop 0
	global_load_ushort v22, v[22:23], off
	s_nop 0
	global_load_ushort v23, v[24:25], off
	global_load_ushort v18, v[26:27], off
	global_load_ushort v19, v[28:29], off
	global_load_ushort v20, v[30:31], off
	global_load_ushort v21, v[32:33], off
	s_waitcnt vmcnt(7)
	ds_write_b16 v53, v34 offset:17408
	s_waitcnt vmcnt(6)
	ds_write_b16 v150, v35 offset:17408
	;; [unrolled: 2-line block ×4, first 2 shown]
.LBB25_764:
	s_or_b64 exec, exec, s[2:3]
	s_waitcnt vmcnt(3)
	ds_write_b16 v153, v18 offset:17408
	s_waitcnt vmcnt(2)
	ds_write_b16 v154, v19 offset:17408
	;; [unrolled: 2-line block ×4, first 2 shown]
	s_and_saveexec_b64 s[2:3], s[38:39]
	s_xor_b64 s[2:3], exec, s[2:3]
	s_cbranch_execz .LBB25_766
; %bb.765:
	ds_write_b16 v157, v55 offset:17408
	ds_write_b16 v158, v55 offset:17408
	;; [unrolled: 1-line block ×4, first 2 shown]
                                        ; implicit-def: $vgpr16_vgpr17
.LBB25_766:
	s_or_saveexec_b64 s[2:3], s[2:3]
	v_mov_b32_e32 v18, 0
	v_mov_b32_e32 v19, 0
	;; [unrolled: 1-line block ×4, first 2 shown]
	s_xor_b64 exec, exec, s[2:3]
	s_cbranch_execz .LBB25_768
; %bb.767:
	v_lshl_add_u64 v[18:19], v[74:75], 1, v[16:17]
	v_lshl_add_u64 v[20:21], v[76:77], 1, v[16:17]
	;; [unrolled: 1-line block ×8, first 2 shown]
	global_load_ushort v32, v[18:19], off
	global_load_ushort v33, v[20:21], off
	s_nop 0
	global_load_ushort v22, v[22:23], off
	s_nop 0
	global_load_ushort v23, v[24:25], off
	global_load_ushort v18, v[26:27], off
	;; [unrolled: 1-line block ×5, first 2 shown]
	s_waitcnt vmcnt(7)
	ds_write_b16 v157, v32 offset:17408
	s_waitcnt vmcnt(6)
	ds_write_b16 v158, v33 offset:17408
	s_waitcnt vmcnt(5)
	ds_write_b16 v159, v22 offset:17408
	s_waitcnt vmcnt(4)
	ds_write_b16 v176, v23 offset:17408
.LBB25_768:
	s_or_b64 exec, exec, s[2:3]
	s_waitcnt vmcnt(3)
	ds_write_b16 v177, v18 offset:17408
	s_waitcnt vmcnt(2)
	ds_write_b16 v178, v19 offset:17408
	;; [unrolled: 2-line block ×4, first 2 shown]
.LBB25_769:                             ; =>This Inner Loop Header: Depth=1
	s_mul_hi_i32 s3, s46, s98
	s_mul_i32 s2, s46, s98
	s_lshl_b64 s[2:3], s[2:3], 2
	s_add_u32 s2, s49, s2
	s_addc_u32 s3, s51, s3
	v_lshl_add_u64 v[16:17], v[90:91], 2, s[2:3]
	v_lshl_add_u64 v[16:17], v[16:17], 0, v[54:55]
	v_mov_b32_e32 v22, s43
	v_cndmask_b32_e64 v17, v22, v17, s[4:5]
	v_cndmask_b32_e64 v16, v196, v16, s[4:5]
	scratch_store_dwordx4 off, v[206:209], off
	flat_load_dwordx4 v[16:19], v[16:17]
	v_lshl_add_u64 v[20:21], v[92:93], 2, s[2:3]
	v_lshl_add_u64 v[20:21], v[20:21], 0, v[54:55]
	v_cndmask_b32_e64 v21, v22, v21, s[6:7]
	v_cndmask_b32_e64 v20, v196, v20, s[6:7]
	v_add_u32_e32 v51, 0x1000, v187
	v_add_u32_e32 v174, 0x2000, v187
	;; [unrolled: 1-line block ×3, first 2 shown]
	s_waitcnt vmcnt(0) lgkmcnt(0)
	ds_write_b128 v183, v[16:19]
	flat_load_dwordx4 v[16:19], v[20:21]
	v_lshl_add_u64 v[20:21], v[94:95], 2, s[2:3]
	v_lshl_add_u64 v[20:21], v[20:21], 0, v[54:55]
	v_cndmask_b32_e64 v21, v22, v21, s[8:9]
	v_cndmask_b32_e64 v20, v196, v20, s[8:9]
	s_waitcnt vmcnt(0) lgkmcnt(0)
	ds_write_b128 v184, v[16:19]
	flat_load_dwordx4 v[16:19], v[20:21]
	v_lshl_add_u64 v[20:21], v[96:97], 2, s[2:3]
	v_lshl_add_u64 v[20:21], v[20:21], 0, v[54:55]
	v_cndmask_b32_e64 v21, v22, v21, s[10:11]
	v_cndmask_b32_e64 v20, v196, v20, s[10:11]
	s_waitcnt vmcnt(0) lgkmcnt(0)
	ds_write_b128 v185, v[16:19]
	flat_load_dwordx4 v[16:19], v[20:21]
	s_waitcnt vmcnt(0) lgkmcnt(0)
	ds_write_b128 v186, v[16:19]
	s_waitcnt lgkmcnt(0)
	s_barrier
	ds_read2_b64 v[16:19], v187 offset1:4
	ds_read2_b64 v[24:27], v51 offset0:32 offset1:36
	ds_read2_b64 v[32:35], v174 offset0:64 offset1:68
	;; [unrolled: 1-line block ×3, first 2 shown]
	s_waitcnt lgkmcnt(3)
	v_mfma_f32_16x16x16_f16 v[20:23], v[16:17], v[12:13], 0
	ds_read2_b64 v[200:203], v175 offset0:120 offset1:124
	s_waitcnt lgkmcnt(3)
	v_mfma_f32_16x16x16_f16 v[28:31], v[24:25], v[12:13], 0
	s_waitcnt lgkmcnt(2)
	v_mfma_f32_16x16x16_f16 v[36:39], v[32:33], v[12:13], 0
	;; [unrolled: 2-line block ×3, first 2 shown]
	v_mfma_f32_16x16x16_f16 v[16:19], v[18:19], v[14:15], v[20:23]
	v_mfma_f32_16x16x16_f16 v[20:23], v[26:27], v[14:15], v[28:31]
	;; [unrolled: 1-line block ×3, first 2 shown]
	ds_read2_b64 v[32:35], v187 offset0:8 offset1:12
	v_mfma_f32_16x16x16_f16 v[28:31], v[42:43], v[14:15], v[44:47]
	s_nop 0
	ds_read2_b64 v[36:39], v51 offset0:40 offset1:44
	ds_read2_b64 v[40:43], v174 offset0:72 offset1:76
	ds_read2_b64 v[44:47], v175 offset0:104 offset1:108
	s_waitcnt lgkmcnt(3)
	v_mfma_f32_16x16x16_f16 v[16:19], v[32:33], v[8:9], v[16:19]
	s_waitcnt lgkmcnt(2)
	v_mfma_f32_16x16x16_f16 v[20:23], v[36:37], v[8:9], v[20:23]
	;; [unrolled: 2-line block ×3, first 2 shown]
	v_mfma_f32_16x16x16_f16 v[16:19], v[34:35], v[10:11], v[16:19]
	ds_read2_b64 v[32:35], v187 offset0:16 offset1:20
	v_mfma_f32_16x16x16_f16 v[20:23], v[38:39], v[10:11], v[20:23]
	ds_read2_b64 v[36:39], v51 offset0:48 offset1:52
	;; [unrolled: 2-line block ×3, first 2 shown]
	s_waitcnt lgkmcnt(3)
	v_mfma_f32_16x16x16_f16 v[28:31], v[44:45], v[8:9], v[28:31]
	v_mfma_f32_16x16x16_f16 v[28:31], v[46:47], v[10:11], v[28:31]
	ds_read2_b64 v[44:47], v175 offset0:112 offset1:116
	s_waitcnt lgkmcnt(3)
	v_mfma_f32_16x16x16_f16 v[16:19], v[32:33], v[4:5], v[16:19]
	s_waitcnt lgkmcnt(2)
	v_mfma_f32_16x16x16_f16 v[20:23], v[36:37], v[4:5], v[20:23]
	;; [unrolled: 2-line block ×3, first 2 shown]
	v_mfma_f32_16x16x16_f16 v[16:19], v[34:35], v[6:7], v[16:19]
	ds_read2_b64 v[32:35], v187 offset0:24 offset1:28
	v_mfma_f32_16x16x16_f16 v[20:23], v[38:39], v[6:7], v[20:23]
	ds_read2_b64 v[36:39], v51 offset0:56 offset1:60
	;; [unrolled: 2-line block ×3, first 2 shown]
	s_waitcnt lgkmcnt(0)
	s_barrier
	v_mfma_f32_16x16x16_f16 v[28:31], v[44:45], v[4:5], v[28:31]
	v_mfma_f32_16x16x16_f16 v[28:31], v[46:47], v[6:7], v[28:31]
	;; [unrolled: 1-line block ×7, first 2 shown]
                                        ; implicit-def: $vgpr35
	v_mfma_f32_16x16x16_f16 v[24:27], v[38:39], v[2:3], v[20:23]
	v_mfma_f32_16x16x16_f16 v[28:31], v[42:43], v[2:3], v[44:47]
	s_nop 5
	v_cmp_nlt_f32_e64 s[2:3], |v16|, s42
	v_mfma_f32_16x16x16_f16 v[20:23], v[202:203], v[2:3], v[210:213]
	s_and_saveexec_b64 s[62:63], s[2:3]
	s_xor_b64 s[2:3], exec, s[62:63]
	s_cbranch_execz .LBB25_771
; %bb.770:                              ;   in Loop: Header=BB25_769 Depth=1
	v_add_f32_e64 v32, |v16|, |v16|
	v_mul_f32_e32 v33, 0x3fb8aa3b, v32
	v_rndne_f32_e32 v34, v33
	v_sub_f32_e32 v35, v33, v34
	v_fma_f32 v33, v32, s54, -v33
	v_fmac_f32_e32 v33, 0x32a5705f, v32
	v_add_f32_e32 v33, v35, v33
	v_cvt_i32_f32_e32 v34, v34
	v_exp_f32_e32 v33, v33
	v_cmp_ngt_f32_e32 vcc, s55, v32
	v_ldexp_f32 v33, v33, v34
	s_nop 0
	v_cndmask_b32_e32 v33, 0, v33, vcc
	v_cmp_nlt_f32_e32 vcc, s56, v32
	s_nop 1
	v_cndmask_b32_e32 v32, v197, v33, vcc
	v_add_f32_e32 v32, 1.0, v32
	v_rcp_f32_e32 v32, v32
	s_nop 0
	v_fma_f32 v35, v32, -2.0, 1.0
.LBB25_771:                             ;   in Loop: Header=BB25_769 Depth=1
	s_andn2_saveexec_b64 s[2:3], s[2:3]
; %bb.772:                              ;   in Loop: Header=BB25_769 Depth=1
	v_mul_f32_e32 v32, v16, v16
	v_fmamk_f32 v33, v32, 0xbbbac73d, v191
	v_fmaak_f32 v33, v32, v33, 0xbd5c1c4e
	v_fmaak_f32 v33, v32, v33, 0x3e088382
	;; [unrolled: 1-line block ×3, first 2 shown]
	v_mul_f32_e64 v33, |v16|, v33
	v_fma_f32 v35, v32, v33, |v16|
; %bb.773:                              ;   in Loop: Header=BB25_769 Depth=1
	s_or_b64 exec, exec, s[2:3]
	v_cmp_nlt_f32_e64 s[2:3], |v17|, s42
                                        ; implicit-def: $vgpr45
	s_and_saveexec_b64 s[62:63], s[2:3]
	s_xor_b64 s[2:3], exec, s[62:63]
	s_cbranch_execz .LBB25_775
; %bb.774:                              ;   in Loop: Header=BB25_769 Depth=1
	v_add_f32_e64 v32, |v17|, |v17|
	v_mul_f32_e32 v33, 0x3fb8aa3b, v32
	v_rndne_f32_e32 v34, v33
	v_sub_f32_e32 v36, v33, v34
	v_fma_f32 v33, v32, s54, -v33
	v_fmac_f32_e32 v33, 0x32a5705f, v32
	v_add_f32_e32 v33, v36, v33
	v_cvt_i32_f32_e32 v34, v34
	v_exp_f32_e32 v33, v33
	v_cmp_ngt_f32_e32 vcc, s55, v32
	v_ldexp_f32 v33, v33, v34
	s_nop 0
	v_cndmask_b32_e32 v33, 0, v33, vcc
	v_cmp_nlt_f32_e32 vcc, s56, v32
	s_nop 1
	v_cndmask_b32_e32 v32, v197, v33, vcc
	v_add_f32_e32 v32, 1.0, v32
	v_rcp_f32_e32 v32, v32
	s_nop 0
	v_fma_f32 v45, v32, -2.0, 1.0
.LBB25_775:                             ;   in Loop: Header=BB25_769 Depth=1
	s_andn2_saveexec_b64 s[2:3], s[2:3]
; %bb.776:                              ;   in Loop: Header=BB25_769 Depth=1
	v_mul_f32_e32 v32, v17, v17
	v_fmamk_f32 v33, v32, 0xbbbac73d, v191
	v_fmaak_f32 v33, v32, v33, 0xbd5c1c4e
	v_fmaak_f32 v33, v32, v33, 0x3e088382
	v_fmaak_f32 v33, v32, v33, 0xbeaaaa99
	v_mul_f32_e64 v33, |v17|, v33
	v_fma_f32 v45, v32, v33, |v17|
; %bb.777:                              ;   in Loop: Header=BB25_769 Depth=1
	s_or_b64 exec, exec, s[2:3]
	v_cmp_nlt_f32_e64 s[2:3], |v18|, s42
                                        ; implicit-def: $vgpr46
	s_and_saveexec_b64 s[62:63], s[2:3]
	s_xor_b64 s[2:3], exec, s[62:63]
	s_cbranch_execz .LBB25_779
; %bb.778:                              ;   in Loop: Header=BB25_769 Depth=1
	v_add_f32_e64 v32, |v18|, |v18|
	v_mul_f32_e32 v33, 0x3fb8aa3b, v32
	v_rndne_f32_e32 v34, v33
	v_sub_f32_e32 v36, v33, v34
	v_fma_f32 v33, v32, s54, -v33
	v_fmac_f32_e32 v33, 0x32a5705f, v32
	v_add_f32_e32 v33, v36, v33
	v_cvt_i32_f32_e32 v34, v34
	v_exp_f32_e32 v33, v33
	v_cmp_ngt_f32_e32 vcc, s55, v32
	v_ldexp_f32 v33, v33, v34
	s_nop 0
	v_cndmask_b32_e32 v33, 0, v33, vcc
	v_cmp_nlt_f32_e32 vcc, s56, v32
	s_nop 1
	v_cndmask_b32_e32 v32, v197, v33, vcc
	v_add_f32_e32 v32, 1.0, v32
	v_rcp_f32_e32 v32, v32
	s_nop 0
	v_fma_f32 v46, v32, -2.0, 1.0
.LBB25_779:                             ;   in Loop: Header=BB25_769 Depth=1
	s_andn2_saveexec_b64 s[2:3], s[2:3]
; %bb.780:                              ;   in Loop: Header=BB25_769 Depth=1
	v_mul_f32_e32 v32, v18, v18
	v_fmamk_f32 v33, v32, 0xbbbac73d, v191
	v_fmaak_f32 v33, v32, v33, 0xbd5c1c4e
	v_fmaak_f32 v33, v32, v33, 0x3e088382
	;; [unrolled: 1-line block ×3, first 2 shown]
	v_mul_f32_e64 v33, |v18|, v33
	v_fma_f32 v46, v32, v33, |v18|
; %bb.781:                              ;   in Loop: Header=BB25_769 Depth=1
	s_or_b64 exec, exec, s[2:3]
	v_cmp_nlt_f32_e64 s[2:3], |v19|, s42
                                        ; implicit-def: $vgpr47
	s_and_saveexec_b64 s[62:63], s[2:3]
	s_xor_b64 s[2:3], exec, s[62:63]
	s_cbranch_execz .LBB25_783
; %bb.782:                              ;   in Loop: Header=BB25_769 Depth=1
	v_add_f32_e64 v32, |v19|, |v19|
	v_mul_f32_e32 v33, 0x3fb8aa3b, v32
	v_rndne_f32_e32 v34, v33
	v_sub_f32_e32 v36, v33, v34
	v_fma_f32 v33, v32, s54, -v33
	v_fmac_f32_e32 v33, 0x32a5705f, v32
	v_add_f32_e32 v33, v36, v33
	v_cvt_i32_f32_e32 v34, v34
	v_exp_f32_e32 v33, v33
	v_cmp_ngt_f32_e32 vcc, s55, v32
	v_ldexp_f32 v33, v33, v34
	s_nop 0
	v_cndmask_b32_e32 v33, 0, v33, vcc
	v_cmp_nlt_f32_e32 vcc, s56, v32
	s_nop 1
	v_cndmask_b32_e32 v32, v197, v33, vcc
	v_add_f32_e32 v32, 1.0, v32
	v_rcp_f32_e32 v32, v32
	s_nop 0
	v_fma_f32 v47, v32, -2.0, 1.0
.LBB25_783:                             ;   in Loop: Header=BB25_769 Depth=1
	s_andn2_saveexec_b64 s[2:3], s[2:3]
; %bb.784:                              ;   in Loop: Header=BB25_769 Depth=1
	v_mul_f32_e32 v32, v19, v19
	v_fmamk_f32 v33, v32, 0xbbbac73d, v191
	v_fmaak_f32 v33, v32, v33, 0xbd5c1c4e
	v_fmaak_f32 v33, v32, v33, 0x3e088382
	;; [unrolled: 1-line block ×3, first 2 shown]
	v_mul_f32_e64 v33, |v19|, v33
	v_fma_f32 v47, v32, v33, |v19|
; %bb.785:                              ;   in Loop: Header=BB25_769 Depth=1
	s_or_b64 exec, exec, s[2:3]
	v_cmp_nlt_f32_e64 s[2:3], |v24|, s42
                                        ; implicit-def: $vgpr40
	s_and_saveexec_b64 s[62:63], s[2:3]
	s_xor_b64 s[2:3], exec, s[62:63]
	s_cbranch_execz .LBB25_787
; %bb.786:                              ;   in Loop: Header=BB25_769 Depth=1
	v_add_f32_e64 v32, |v24|, |v24|
	v_mul_f32_e32 v33, 0x3fb8aa3b, v32
	v_rndne_f32_e32 v34, v33
	v_sub_f32_e32 v36, v33, v34
	v_fma_f32 v33, v32, s54, -v33
	v_fmac_f32_e32 v33, 0x32a5705f, v32
	v_add_f32_e32 v33, v36, v33
	v_cvt_i32_f32_e32 v34, v34
	v_exp_f32_e32 v33, v33
	v_cmp_ngt_f32_e32 vcc, s55, v32
	v_ldexp_f32 v33, v33, v34
	s_nop 0
	v_cndmask_b32_e32 v33, 0, v33, vcc
	v_cmp_nlt_f32_e32 vcc, s56, v32
	s_nop 1
	v_cndmask_b32_e32 v32, v197, v33, vcc
	v_add_f32_e32 v32, 1.0, v32
	v_rcp_f32_e32 v32, v32
	s_nop 0
	v_fma_f32 v40, v32, -2.0, 1.0
.LBB25_787:                             ;   in Loop: Header=BB25_769 Depth=1
	s_andn2_saveexec_b64 s[2:3], s[2:3]
; %bb.788:                              ;   in Loop: Header=BB25_769 Depth=1
	v_mul_f32_e32 v32, v24, v24
	v_fmamk_f32 v33, v32, 0xbbbac73d, v191
	v_fmaak_f32 v33, v32, v33, 0xbd5c1c4e
	v_fmaak_f32 v33, v32, v33, 0x3e088382
	;; [unrolled: 1-line block ×3, first 2 shown]
	v_mul_f32_e64 v33, |v24|, v33
	v_fma_f32 v40, v32, v33, |v24|
; %bb.789:                              ;   in Loop: Header=BB25_769 Depth=1
	s_or_b64 exec, exec, s[2:3]
	v_cmp_nlt_f32_e64 s[2:3], |v25|, s42
                                        ; implicit-def: $vgpr41
	s_and_saveexec_b64 s[62:63], s[2:3]
	s_xor_b64 s[2:3], exec, s[62:63]
	s_cbranch_execz .LBB25_791
; %bb.790:                              ;   in Loop: Header=BB25_769 Depth=1
	v_add_f32_e64 v32, |v25|, |v25|
	v_mul_f32_e32 v33, 0x3fb8aa3b, v32
	v_rndne_f32_e32 v34, v33
	v_sub_f32_e32 v36, v33, v34
	v_fma_f32 v33, v32, s54, -v33
	v_fmac_f32_e32 v33, 0x32a5705f, v32
	v_add_f32_e32 v33, v36, v33
	v_cvt_i32_f32_e32 v34, v34
	v_exp_f32_e32 v33, v33
	v_cmp_ngt_f32_e32 vcc, s55, v32
	v_ldexp_f32 v33, v33, v34
	s_nop 0
	v_cndmask_b32_e32 v33, 0, v33, vcc
	v_cmp_nlt_f32_e32 vcc, s56, v32
	s_nop 1
	v_cndmask_b32_e32 v32, v197, v33, vcc
	v_add_f32_e32 v32, 1.0, v32
	v_rcp_f32_e32 v32, v32
	s_nop 0
	v_fma_f32 v41, v32, -2.0, 1.0
.LBB25_791:                             ;   in Loop: Header=BB25_769 Depth=1
	s_andn2_saveexec_b64 s[2:3], s[2:3]
; %bb.792:                              ;   in Loop: Header=BB25_769 Depth=1
	v_mul_f32_e32 v32, v25, v25
	v_fmamk_f32 v33, v32, 0xbbbac73d, v191
	v_fmaak_f32 v33, v32, v33, 0xbd5c1c4e
	v_fmaak_f32 v33, v32, v33, 0x3e088382
	;; [unrolled: 1-line block ×3, first 2 shown]
	v_mul_f32_e64 v33, |v25|, v33
	v_fma_f32 v41, v32, v33, |v25|
; %bb.793:                              ;   in Loop: Header=BB25_769 Depth=1
	s_or_b64 exec, exec, s[2:3]
	v_cmp_nlt_f32_e64 s[2:3], |v26|, s42
                                        ; implicit-def: $vgpr42
	s_and_saveexec_b64 s[62:63], s[2:3]
	s_xor_b64 s[2:3], exec, s[62:63]
	s_cbranch_execz .LBB25_795
; %bb.794:                              ;   in Loop: Header=BB25_769 Depth=1
	v_add_f32_e64 v32, |v26|, |v26|
	v_mul_f32_e32 v33, 0x3fb8aa3b, v32
	v_rndne_f32_e32 v34, v33
	v_sub_f32_e32 v36, v33, v34
	v_fma_f32 v33, v32, s54, -v33
	v_fmac_f32_e32 v33, 0x32a5705f, v32
	v_add_f32_e32 v33, v36, v33
	v_cvt_i32_f32_e32 v34, v34
	v_exp_f32_e32 v33, v33
	v_cmp_ngt_f32_e32 vcc, s55, v32
	v_ldexp_f32 v33, v33, v34
	s_nop 0
	v_cndmask_b32_e32 v33, 0, v33, vcc
	v_cmp_nlt_f32_e32 vcc, s56, v32
	s_nop 1
	v_cndmask_b32_e32 v32, v197, v33, vcc
	v_add_f32_e32 v32, 1.0, v32
	v_rcp_f32_e32 v32, v32
	s_nop 0
	v_fma_f32 v42, v32, -2.0, 1.0
.LBB25_795:                             ;   in Loop: Header=BB25_769 Depth=1
	s_andn2_saveexec_b64 s[2:3], s[2:3]
; %bb.796:                              ;   in Loop: Header=BB25_769 Depth=1
	v_mul_f32_e32 v32, v26, v26
	v_fmamk_f32 v33, v32, 0xbbbac73d, v191
	v_fmaak_f32 v33, v32, v33, 0xbd5c1c4e
	v_fmaak_f32 v33, v32, v33, 0x3e088382
	;; [unrolled: 1-line block ×3, first 2 shown]
	v_mul_f32_e64 v33, |v26|, v33
	v_fma_f32 v42, v32, v33, |v26|
; %bb.797:                              ;   in Loop: Header=BB25_769 Depth=1
	s_or_b64 exec, exec, s[2:3]
	v_cmp_nlt_f32_e64 s[2:3], |v27|, s42
                                        ; implicit-def: $vgpr43
	s_and_saveexec_b64 s[62:63], s[2:3]
	s_xor_b64 s[2:3], exec, s[62:63]
	s_cbranch_execz .LBB25_799
; %bb.798:                              ;   in Loop: Header=BB25_769 Depth=1
	v_add_f32_e64 v32, |v27|, |v27|
	v_mul_f32_e32 v33, 0x3fb8aa3b, v32
	v_rndne_f32_e32 v34, v33
	v_sub_f32_e32 v36, v33, v34
	v_fma_f32 v33, v32, s54, -v33
	v_fmac_f32_e32 v33, 0x32a5705f, v32
	v_add_f32_e32 v33, v36, v33
	v_cvt_i32_f32_e32 v34, v34
	v_exp_f32_e32 v33, v33
	v_cmp_ngt_f32_e32 vcc, s55, v32
	v_ldexp_f32 v33, v33, v34
	s_nop 0
	v_cndmask_b32_e32 v33, 0, v33, vcc
	v_cmp_nlt_f32_e32 vcc, s56, v32
	s_nop 1
	v_cndmask_b32_e32 v32, v197, v33, vcc
	v_add_f32_e32 v32, 1.0, v32
	v_rcp_f32_e32 v32, v32
	s_nop 0
	v_fma_f32 v43, v32, -2.0, 1.0
.LBB25_799:                             ;   in Loop: Header=BB25_769 Depth=1
	s_andn2_saveexec_b64 s[2:3], s[2:3]
; %bb.800:                              ;   in Loop: Header=BB25_769 Depth=1
	v_mul_f32_e32 v32, v27, v27
	v_fmamk_f32 v33, v32, 0xbbbac73d, v191
	v_fmaak_f32 v33, v32, v33, 0xbd5c1c4e
	v_fmaak_f32 v33, v32, v33, 0x3e088382
	;; [unrolled: 1-line block ×3, first 2 shown]
	v_mul_f32_e64 v33, |v27|, v33
	v_fma_f32 v43, v32, v33, |v27|
; %bb.801:                              ;   in Loop: Header=BB25_769 Depth=1
	s_or_b64 exec, exec, s[2:3]
	v_cmp_nlt_f32_e64 s[2:3], |v28|, s42
                                        ; implicit-def: $vgpr36
	s_and_saveexec_b64 s[62:63], s[2:3]
	s_xor_b64 s[2:3], exec, s[62:63]
	s_cbranch_execz .LBB25_803
; %bb.802:                              ;   in Loop: Header=BB25_769 Depth=1
	v_add_f32_e64 v32, |v28|, |v28|
	v_mul_f32_e32 v33, 0x3fb8aa3b, v32
	v_rndne_f32_e32 v34, v33
	v_sub_f32_e32 v36, v33, v34
	v_fma_f32 v33, v32, s54, -v33
	v_fmac_f32_e32 v33, 0x32a5705f, v32
	v_add_f32_e32 v33, v36, v33
	v_cvt_i32_f32_e32 v34, v34
	v_exp_f32_e32 v33, v33
	v_cmp_ngt_f32_e32 vcc, s55, v32
	v_ldexp_f32 v33, v33, v34
	s_nop 0
	v_cndmask_b32_e32 v33, 0, v33, vcc
	v_cmp_nlt_f32_e32 vcc, s56, v32
	s_nop 1
	v_cndmask_b32_e32 v32, v197, v33, vcc
	v_add_f32_e32 v32, 1.0, v32
	v_rcp_f32_e32 v32, v32
	s_nop 0
	v_fma_f32 v36, v32, -2.0, 1.0
.LBB25_803:                             ;   in Loop: Header=BB25_769 Depth=1
	s_andn2_saveexec_b64 s[2:3], s[2:3]
; %bb.804:                              ;   in Loop: Header=BB25_769 Depth=1
	v_mul_f32_e32 v32, v28, v28
	v_fmamk_f32 v33, v32, 0xbbbac73d, v191
	v_fmaak_f32 v33, v32, v33, 0xbd5c1c4e
	v_fmaak_f32 v33, v32, v33, 0x3e088382
	;; [unrolled: 1-line block ×3, first 2 shown]
	v_mul_f32_e64 v33, |v28|, v33
	v_fma_f32 v36, v32, v33, |v28|
; %bb.805:                              ;   in Loop: Header=BB25_769 Depth=1
	s_or_b64 exec, exec, s[2:3]
	v_cmp_nlt_f32_e64 s[2:3], |v29|, s42
                                        ; implicit-def: $vgpr37
	s_and_saveexec_b64 s[62:63], s[2:3]
	s_xor_b64 s[2:3], exec, s[62:63]
	s_cbranch_execz .LBB25_807
; %bb.806:                              ;   in Loop: Header=BB25_769 Depth=1
	v_add_f32_e64 v32, |v29|, |v29|
	v_mul_f32_e32 v33, 0x3fb8aa3b, v32
	v_rndne_f32_e32 v34, v33
	v_sub_f32_e32 v37, v33, v34
	v_fma_f32 v33, v32, s54, -v33
	v_fmac_f32_e32 v33, 0x32a5705f, v32
	v_add_f32_e32 v33, v37, v33
	v_cvt_i32_f32_e32 v34, v34
	v_exp_f32_e32 v33, v33
	v_cmp_ngt_f32_e32 vcc, s55, v32
	v_ldexp_f32 v33, v33, v34
	s_nop 0
	v_cndmask_b32_e32 v33, 0, v33, vcc
	v_cmp_nlt_f32_e32 vcc, s56, v32
	s_nop 1
	v_cndmask_b32_e32 v32, v197, v33, vcc
	v_add_f32_e32 v32, 1.0, v32
	v_rcp_f32_e32 v32, v32
	s_nop 0
	v_fma_f32 v37, v32, -2.0, 1.0
.LBB25_807:                             ;   in Loop: Header=BB25_769 Depth=1
	s_andn2_saveexec_b64 s[2:3], s[2:3]
; %bb.808:                              ;   in Loop: Header=BB25_769 Depth=1
	v_mul_f32_e32 v32, v29, v29
	v_fmamk_f32 v33, v32, 0xbbbac73d, v191
	v_fmaak_f32 v33, v32, v33, 0xbd5c1c4e
	v_fmaak_f32 v33, v32, v33, 0x3e088382
	;; [unrolled: 1-line block ×3, first 2 shown]
	v_mul_f32_e64 v33, |v29|, v33
	v_fma_f32 v37, v32, v33, |v29|
; %bb.809:                              ;   in Loop: Header=BB25_769 Depth=1
	s_or_b64 exec, exec, s[2:3]
	v_cmp_nlt_f32_e64 s[2:3], |v30|, s42
                                        ; implicit-def: $vgpr38
	s_and_saveexec_b64 s[62:63], s[2:3]
	s_xor_b64 s[2:3], exec, s[62:63]
	s_cbranch_execz .LBB25_811
; %bb.810:                              ;   in Loop: Header=BB25_769 Depth=1
	v_add_f32_e64 v32, |v30|, |v30|
	v_mul_f32_e32 v33, 0x3fb8aa3b, v32
	v_rndne_f32_e32 v34, v33
	v_sub_f32_e32 v38, v33, v34
	v_fma_f32 v33, v32, s54, -v33
	v_fmac_f32_e32 v33, 0x32a5705f, v32
	v_add_f32_e32 v33, v38, v33
	v_cvt_i32_f32_e32 v34, v34
	v_exp_f32_e32 v33, v33
	v_cmp_ngt_f32_e32 vcc, s55, v32
	v_ldexp_f32 v33, v33, v34
	s_nop 0
	v_cndmask_b32_e32 v33, 0, v33, vcc
	v_cmp_nlt_f32_e32 vcc, s56, v32
	s_nop 1
	v_cndmask_b32_e32 v32, v197, v33, vcc
	v_add_f32_e32 v32, 1.0, v32
	v_rcp_f32_e32 v32, v32
	s_nop 0
	v_fma_f32 v38, v32, -2.0, 1.0
.LBB25_811:                             ;   in Loop: Header=BB25_769 Depth=1
	s_andn2_saveexec_b64 s[2:3], s[2:3]
; %bb.812:                              ;   in Loop: Header=BB25_769 Depth=1
	v_mul_f32_e32 v32, v30, v30
	v_fmamk_f32 v33, v32, 0xbbbac73d, v191
	v_fmaak_f32 v33, v32, v33, 0xbd5c1c4e
	v_fmaak_f32 v33, v32, v33, 0x3e088382
	;; [unrolled: 1-line block ×3, first 2 shown]
	v_mul_f32_e64 v33, |v30|, v33
	v_fma_f32 v38, v32, v33, |v30|
; %bb.813:                              ;   in Loop: Header=BB25_769 Depth=1
	s_or_b64 exec, exec, s[2:3]
	v_cmp_nlt_f32_e64 s[2:3], |v31|, s42
                                        ; implicit-def: $vgpr39
	s_and_saveexec_b64 s[62:63], s[2:3]
	s_xor_b64 s[2:3], exec, s[62:63]
	s_cbranch_execz .LBB25_815
; %bb.814:                              ;   in Loop: Header=BB25_769 Depth=1
	v_add_f32_e64 v32, |v31|, |v31|
	v_mul_f32_e32 v33, 0x3fb8aa3b, v32
	v_rndne_f32_e32 v34, v33
	v_sub_f32_e32 v39, v33, v34
	v_fma_f32 v33, v32, s54, -v33
	v_fmac_f32_e32 v33, 0x32a5705f, v32
	v_add_f32_e32 v33, v39, v33
	v_cvt_i32_f32_e32 v34, v34
	v_exp_f32_e32 v33, v33
	v_cmp_ngt_f32_e32 vcc, s55, v32
	v_ldexp_f32 v33, v33, v34
	s_nop 0
	v_cndmask_b32_e32 v33, 0, v33, vcc
	v_cmp_nlt_f32_e32 vcc, s56, v32
	s_nop 1
	v_cndmask_b32_e32 v32, v197, v33, vcc
	v_add_f32_e32 v32, 1.0, v32
	v_rcp_f32_e32 v32, v32
	s_nop 0
	v_fma_f32 v39, v32, -2.0, 1.0
.LBB25_815:                             ;   in Loop: Header=BB25_769 Depth=1
	s_andn2_saveexec_b64 s[2:3], s[2:3]
; %bb.816:                              ;   in Loop: Header=BB25_769 Depth=1
	v_mul_f32_e32 v32, v31, v31
	v_fmamk_f32 v33, v32, 0xbbbac73d, v191
	v_fmaak_f32 v33, v32, v33, 0xbd5c1c4e
	v_fmaak_f32 v33, v32, v33, 0x3e088382
	;; [unrolled: 1-line block ×3, first 2 shown]
	v_mul_f32_e64 v33, |v31|, v33
	v_fma_f32 v39, v32, v33, |v31|
; %bb.817:                              ;   in Loop: Header=BB25_769 Depth=1
	s_or_b64 exec, exec, s[2:3]
	v_cmp_nlt_f32_e64 s[2:3], |v20|, s42
                                        ; implicit-def: $vgpr32
	s_and_saveexec_b64 s[62:63], s[2:3]
	s_xor_b64 s[2:3], exec, s[62:63]
	s_cbranch_execz .LBB25_819
; %bb.818:                              ;   in Loop: Header=BB25_769 Depth=1
	v_add_f32_e64 v32, |v20|, |v20|
	v_mul_f32_e32 v33, 0x3fb8aa3b, v32
	v_rndne_f32_e32 v34, v33
	v_sub_f32_e32 v44, v33, v34
	v_fma_f32 v33, v32, s54, -v33
	v_fmac_f32_e32 v33, 0x32a5705f, v32
	v_add_f32_e32 v33, v44, v33
	v_cvt_i32_f32_e32 v34, v34
	v_exp_f32_e32 v33, v33
	v_cmp_ngt_f32_e32 vcc, s55, v32
	v_ldexp_f32 v33, v33, v34
	s_nop 0
	v_cndmask_b32_e32 v33, 0, v33, vcc
	v_cmp_nlt_f32_e32 vcc, s56, v32
	s_nop 1
	v_cndmask_b32_e32 v32, v197, v33, vcc
	v_add_f32_e32 v32, 1.0, v32
	v_rcp_f32_e32 v32, v32
	s_nop 0
	v_fma_f32 v32, v32, -2.0, 1.0
.LBB25_819:                             ;   in Loop: Header=BB25_769 Depth=1
	s_andn2_saveexec_b64 s[2:3], s[2:3]
; %bb.820:                              ;   in Loop: Header=BB25_769 Depth=1
	v_mul_f32_e32 v32, v20, v20
	v_fmamk_f32 v33, v32, 0xbbbac73d, v191
	v_fmaak_f32 v33, v32, v33, 0xbd5c1c4e
	v_fmaak_f32 v33, v32, v33, 0x3e088382
	;; [unrolled: 1-line block ×3, first 2 shown]
	v_mul_f32_e64 v33, |v20|, v33
	v_fma_f32 v32, v32, v33, |v20|
; %bb.821:                              ;   in Loop: Header=BB25_769 Depth=1
	s_or_b64 exec, exec, s[2:3]
	v_cmp_nlt_f32_e64 s[2:3], |v21|, s42
                                        ; implicit-def: $vgpr33
	s_and_saveexec_b64 s[62:63], s[2:3]
	s_xor_b64 s[2:3], exec, s[62:63]
	s_cbranch_execz .LBB25_823
; %bb.822:                              ;   in Loop: Header=BB25_769 Depth=1
	v_add_f32_e64 v33, |v21|, |v21|
	v_mul_f32_e32 v34, 0x3fb8aa3b, v33
	v_rndne_f32_e32 v44, v34
	v_sub_f32_e32 v51, v34, v44
	v_fma_f32 v34, v33, s54, -v34
	v_fmac_f32_e32 v34, 0x32a5705f, v33
	v_add_f32_e32 v34, v51, v34
	v_cvt_i32_f32_e32 v44, v44
	v_exp_f32_e32 v34, v34
	v_cmp_ngt_f32_e32 vcc, s55, v33
	v_ldexp_f32 v34, v34, v44
	s_nop 0
	v_cndmask_b32_e32 v34, 0, v34, vcc
	v_cmp_nlt_f32_e32 vcc, s56, v33
	s_nop 1
	v_cndmask_b32_e32 v33, v197, v34, vcc
	v_add_f32_e32 v33, 1.0, v33
	v_rcp_f32_e32 v33, v33
	s_nop 0
	v_fma_f32 v33, v33, -2.0, 1.0
.LBB25_823:                             ;   in Loop: Header=BB25_769 Depth=1
	s_andn2_saveexec_b64 s[2:3], s[2:3]
; %bb.824:                              ;   in Loop: Header=BB25_769 Depth=1
	v_mul_f32_e32 v33, v21, v21
	v_fmamk_f32 v34, v33, 0xbbbac73d, v191
	v_fmaak_f32 v34, v33, v34, 0xbd5c1c4e
	v_fmaak_f32 v34, v33, v34, 0x3e088382
	;; [unrolled: 1-line block ×3, first 2 shown]
	v_mul_f32_e64 v34, |v21|, v34
	v_fma_f32 v33, v33, v34, |v21|
; %bb.825:                              ;   in Loop: Header=BB25_769 Depth=1
	s_or_b64 exec, exec, s[2:3]
	v_cmp_nlt_f32_e64 s[2:3], |v22|, s42
                                        ; implicit-def: $vgpr34
	s_and_saveexec_b64 s[62:63], s[2:3]
	s_xor_b64 s[2:3], exec, s[62:63]
	s_cbranch_execz .LBB25_827
; %bb.826:                              ;   in Loop: Header=BB25_769 Depth=1
	v_add_f32_e64 v34, |v22|, |v22|
	v_mul_f32_e32 v44, 0x3fb8aa3b, v34
	v_rndne_f32_e32 v51, v44
	v_sub_f32_e32 v174, v44, v51
	v_fma_f32 v44, v34, s54, -v44
	v_fmac_f32_e32 v44, 0x32a5705f, v34
	v_add_f32_e32 v44, v174, v44
	v_cvt_i32_f32_e32 v51, v51
	v_exp_f32_e32 v44, v44
	v_cmp_ngt_f32_e32 vcc, s55, v34
	v_ldexp_f32 v44, v44, v51
	s_nop 0
	v_cndmask_b32_e32 v44, 0, v44, vcc
	v_cmp_nlt_f32_e32 vcc, s56, v34
	s_nop 1
	v_cndmask_b32_e32 v34, v197, v44, vcc
	v_add_f32_e32 v34, 1.0, v34
	v_rcp_f32_e32 v34, v34
	s_nop 0
	v_fma_f32 v34, v34, -2.0, 1.0
.LBB25_827:                             ;   in Loop: Header=BB25_769 Depth=1
	s_andn2_saveexec_b64 s[2:3], s[2:3]
; %bb.828:                              ;   in Loop: Header=BB25_769 Depth=1
	v_mul_f32_e32 v34, v22, v22
	v_fmamk_f32 v44, v34, 0xbbbac73d, v191
	v_fmaak_f32 v44, v34, v44, 0xbd5c1c4e
	v_fmaak_f32 v44, v34, v44, 0x3e088382
	;; [unrolled: 1-line block ×3, first 2 shown]
	v_mul_f32_e64 v44, |v22|, v44
	v_fma_f32 v34, v34, v44, |v22|
; %bb.829:                              ;   in Loop: Header=BB25_769 Depth=1
	s_or_b64 exec, exec, s[2:3]
	v_cmp_nlt_f32_e64 s[2:3], |v23|, s42
                                        ; implicit-def: $vgpr51
	s_and_saveexec_b64 s[62:63], s[2:3]
	s_xor_b64 s[2:3], exec, s[62:63]
	s_cbranch_execz .LBB25_831
; %bb.830:                              ;   in Loop: Header=BB25_769 Depth=1
	v_add_f32_e64 v44, |v23|, |v23|
	v_mul_f32_e32 v51, 0x3fb8aa3b, v44
	v_rndne_f32_e32 v174, v51
	v_sub_f32_e32 v175, v51, v174
	v_fma_f32 v51, v44, s54, -v51
	v_fmac_f32_e32 v51, 0x32a5705f, v44
	v_add_f32_e32 v51, v175, v51
	v_cvt_i32_f32_e32 v174, v174
	v_exp_f32_e32 v51, v51
	v_cmp_ngt_f32_e32 vcc, s55, v44
	v_ldexp_f32 v51, v51, v174
	s_nop 0
	v_cndmask_b32_e32 v51, 0, v51, vcc
	v_cmp_nlt_f32_e32 vcc, s56, v44
	s_nop 1
	v_cndmask_b32_e32 v44, v197, v51, vcc
	v_add_f32_e32 v44, 1.0, v44
	v_rcp_f32_e32 v44, v44
	s_nop 0
	v_fma_f32 v51, v44, -2.0, 1.0
.LBB25_831:                             ;   in Loop: Header=BB25_769 Depth=1
	s_andn2_saveexec_b64 s[2:3], s[2:3]
; %bb.832:                              ;   in Loop: Header=BB25_769 Depth=1
	v_mul_f32_e32 v44, v23, v23
	v_fmamk_f32 v51, v44, 0xbbbac73d, v191
	v_fmaak_f32 v51, v44, v51, 0xbd5c1c4e
	v_fmaak_f32 v51, v44, v51, 0x3e088382
	v_fmaak_f32 v51, v44, v51, 0xbeaaaa99
	v_mul_f32_e64 v51, |v23|, v51
	v_fma_f32 v51, v44, v51, |v23|
; %bb.833:                              ;   in Loop: Header=BB25_769 Depth=1
	s_or_b64 exec, exec, s[2:3]
	v_bfi_b32 v20, s57, v32, v20
	v_mul_f32_e32 v32, s53, v20
	v_bfi_b32 v20, s57, v33, v21
	v_mul_f32_e32 v33, s53, v20
	;; [unrolled: 2-line block ×6, first 2 shown]
	v_bfi_b32 v20, s57, v39, v31
	v_bfi_b32 v16, s57, v35, v16
	v_mul_f32_e32 v39, s53, v20
	v_bfi_b32 v20, s57, v40, v24
	v_mul_f32_e32 v44, s53, v16
	;; [unrolled: 2-line block ×9, first 2 shown]
	v_mul_f32_e32 v35, s53, v16
	s_and_b64 vcc, exec, s[44:45]
	s_cbranch_vccz .LBB25_838
; %bb.834:                              ;   in Loop: Header=BB25_769 Depth=1
	ds_read_b32 v20, v188 offset:17408
	ds_read_b32 v22, v189 offset:17408
	ds_read2_b32 v[16:17], v192 offset1:1
	ds_read2_b32 v[18:19], v193 offset1:1
	v_mov_b32_e32 v51, v50
	s_waitcnt lgkmcnt(3)
	v_cvt_f32_f16_sdwa v21, v20 dst_sel:DWORD dst_unused:UNUSED_PAD src0_sel:WORD_1
	v_cvt_f32_f16_e32 v20, v20
	s_waitcnt lgkmcnt(1)
	v_cvt_f32_f16_e32 v24, v16
	v_cvt_f32_f16_e32 v26, v17
	v_cvt_f32_f16_sdwa v27, v17 dst_sel:DWORD dst_unused:UNUSED_PAD src0_sel:WORD_1
	v_cvt_f32_f16_sdwa v25, v16 dst_sel:DWORD dst_unused:UNUSED_PAD src0_sel:WORD_1
	ds_read2_b32 v[16:17], v194 offset1:1
	v_cvt_f32_f16_sdwa v23, v22 dst_sel:DWORD dst_unused:UNUSED_PAD src0_sel:WORD_1
	v_cvt_f32_f16_e32 v22, v22
	v_pk_fma_f32 v[28:29], v[106:107], v[20:21], v[44:45]
	s_waitcnt lgkmcnt(1)
	v_cvt_f32_f16_e32 v20, v18
	v_cvt_f32_f16_sdwa v21, v18 dst_sel:DWORD dst_unused:UNUSED_PAD src0_sel:WORD_1
	v_cvt_f32_f16_e32 v18, v19
	v_cvt_f32_f16_sdwa v19, v19 dst_sel:DWORD dst_unused:UNUSED_PAD src0_sel:WORD_1
	s_waitcnt lgkmcnt(0)
	v_cvt_f32_f16_e32 v174, v16
	v_cvt_f32_f16_e32 v200, v17
	v_cvt_f32_f16_sdwa v201, v17 dst_sel:DWORD dst_unused:UNUSED_PAD src0_sel:WORD_1
	v_cvt_f32_f16_sdwa v175, v16 dst_sel:DWORD dst_unused:UNUSED_PAD src0_sel:WORD_1
	v_pk_fma_f32 v[30:31], v[50:51], v[22:23], v[46:47]
	v_pk_fma_f32 v[26:27], v[50:51], v[26:27], v[42:43]
	;; [unrolled: 1-line block ×7, first 2 shown]
	s_cbranch_execnz .LBB25_836
.LBB25_835:                             ;   in Loop: Header=BB25_769 Depth=1
	v_mov_b64_e32 v[16:17], v[32:33]
	v_mov_b64_e32 v[20:21], v[36:37]
	;; [unrolled: 1-line block ×8, first 2 shown]
.LBB25_836:                             ;   in Loop: Header=BB25_769 Depth=1
	v_add_f32_e32 v32, 0x40051340, v28
	v_max_f32_e32 v33, v173, v173
	v_max_f32_e32 v32, v33, v32
	v_cndmask_b32_e64 v32, v173, v32, s[12:13]
	v_add_f32_e32 v33, 0x40051340, v29
	v_max_f32_e32 v32, v32, v32
	v_max_f32_e32 v32, v32, v33
	v_cndmask_b32_e64 v32, v173, v32, s[12:13]
	;; [unrolled: 4-line block ×11, first 2 shown]
	v_add_f32_e32 v33, 0x40051340, v23
	v_max_f32_e32 v34, v32, v32
	s_mul_hi_i32 s3, s46, s96
	s_mul_i32 s2, s46, s96
	v_max_f32_e32 v33, v34, v33
	s_lshl_b64 s[2:3], s[2:3], 2
	v_cndmask_b32_e64 v32, v32, v33, s[28:29]
	s_add_u32 s2, s33, s2
	v_add_f32_e32 v33, 0x40051340, v16
	v_max_f32_e32 v34, v32, v32
	s_addc_u32 s3, s48, s3
	v_max_f32_e32 v33, v34, v33
	v_lshl_add_u64 v[34:35], v[98:99], 2, s[2:3]
	v_lshl_add_u64 v[34:35], v[34:35], 0, v[54:55]
	v_mov_b32_e32 v46, s43
	v_cndmask_b32_e64 v35, v46, v35, s[4:5]
	v_cndmask_b32_e64 v34, v196, v34, s[4:5]
	scratch_store_dwordx4 off, v[206:209], off
	flat_load_dwordx4 v[38:41], v[34:35]
	v_cndmask_b32_e64 v32, v32, v33, s[0:1]
	v_add_f32_e32 v33, 0x40051340, v17
	v_max_f32_e32 v34, v32, v32
	v_max_f32_e32 v33, v34, v33
	v_cndmask_b32_e64 v32, v32, v33, s[30:31]
	v_add_f32_e32 v33, 0x40051340, v18
	v_max_f32_e32 v34, v32, v32
	v_max_f32_e32 v33, v34, v33
	;; [unrolled: 4-line block ×3, first 2 shown]
	v_cndmask_b32_e64 v32, v32, v33, s[36:37]
	ds_bpermute_b32 v33, v181, v32
	v_max_f32_e32 v32, v32, v32
	s_add_i32 s50, s50, 1
	s_add_i32 s46, s46, 64
	s_waitcnt lgkmcnt(0)
	v_max_f32_e32 v33, v33, v33
	v_max_f32_e32 v32, v32, v33
	ds_bpermute_b32 v33, v182, v32
	s_waitcnt lgkmcnt(0)
	v_max_f32_e32 v33, v33, v33
	v_max_f32_e32 v51, v32, v33
	v_sub_f32_e32 v28, v28, v51
	v_mul_f32_e32 v32, 0x3fb8aa3b, v28
	v_fma_f32 v33, v28, s54, -v32
	v_rndne_f32_e32 v34, v32
	v_fmac_f32_e32 v33, 0x32a5705f, v28
	v_sub_f32_e32 v32, v32, v34
	v_add_f32_e32 v32, v32, v33
	v_exp_f32_e32 v32, v32
	v_cvt_i32_f32_e32 v33, v34
	v_sub_f32_e32 v29, v29, v51
	v_cmp_ngt_f32_e32 vcc, s55, v28
	v_sub_f32_e32 v30, v30, v51
	v_ldexp_f32 v32, v32, v33
	v_mul_f32_e32 v33, 0x3fb8aa3b, v29
	v_fma_f32 v34, v29, s54, -v33
	v_rndne_f32_e32 v35, v33
	v_fmac_f32_e32 v34, 0x32a5705f, v29
	v_sub_f32_e32 v33, v33, v35
	v_add_f32_e32 v33, v33, v34
	v_exp_f32_e32 v33, v33
	v_cvt_i32_f32_e32 v34, v35
	v_cndmask_b32_e32 v32, 0, v32, vcc
	v_cmp_nlt_f32_e32 vcc, s56, v28
	v_sub_f32_e32 v43, v31, v51
	v_mul_f32_e32 v44, 0x3fb8aa3b, v43
	v_cndmask_b32_e32 v36, v197, v32, vcc
	v_ldexp_f32 v32, v33, v34
	v_cmp_ngt_f32_e32 vcc, s55, v29
	v_sub_f32_e32 v24, v24, v51
	v_sub_f32_e32 v25, v25, v51
	v_cndmask_b32_e32 v32, 0, v32, vcc
	v_cmp_nlt_f32_e32 vcc, s56, v29
	v_mul_f32_e32 v29, 0x3fb8aa3b, v30
	v_fma_f32 v33, v30, s54, -v29
	v_rndne_f32_e32 v34, v29
	v_fmac_f32_e32 v33, 0x32a5705f, v30
	v_sub_f32_e32 v29, v29, v34
	v_add_f32_e32 v29, v29, v33
	v_exp_f32_e32 v33, v29
	v_cvt_i32_f32_e32 v34, v34
	v_cndmask_b32_e32 v37, v197, v32, vcc
	v_cmp_ngt_f32_e32 vcc, s55, v30
	v_sub_f32_e32 v26, v26, v51
	v_ldexp_f32 v32, v33, v34
	v_cndmask_b32_e32 v42, 0, v32, vcc
	v_cmp_nlt_f32_e32 vcc, s56, v30
	v_lshl_add_u64 v[30:31], v[100:101], 2, s[2:3]
	v_lshl_add_u64 v[30:31], v[30:31], 0, v[54:55]
	v_cndmask_b32_e64 v31, v46, v31, s[6:7]
	v_cndmask_b32_e64 v30, v196, v30, s[6:7]
	v_sub_f32_e32 v27, v27, v51
	v_sub_f32_e32 v20, v20, v51
	s_waitcnt vmcnt(0)
	ds_write_b128 v183, v[38:41]
	flat_load_dwordx4 v[32:35], v[30:31]
	v_fma_f32 v30, v43, s54, -v44
	v_rndne_f32_e32 v31, v44
	v_fmac_f32_e32 v30, 0x32a5705f, v43
	v_sub_f32_e32 v38, v44, v31
	v_add_f32_e32 v30, v38, v30
	v_exp_f32_e32 v39, v30
	v_cvt_i32_f32_e32 v31, v31
	v_cndmask_b32_e32 v38, v197, v42, vcc
	v_cmp_ngt_f32_e32 vcc, s55, v43
	v_sub_f32_e32 v21, v21, v51
	v_ldexp_f32 v31, v39, v31
	v_mul_f32_e32 v39, 0x3fb8aa3b, v24
	v_fma_f32 v40, v24, s54, -v39
	v_rndne_f32_e32 v41, v39
	v_fmac_f32_e32 v40, 0x32a5705f, v24
	v_sub_f32_e32 v39, v39, v41
	v_add_f32_e32 v39, v39, v40
	v_exp_f32_e32 v40, v39
	v_cvt_i32_f32_e32 v41, v41
	v_cndmask_b32_e32 v31, 0, v31, vcc
	v_cmp_nlt_f32_e32 vcc, s56, v43
	v_sub_f32_e32 v22, v22, v51
	v_ldexp_f32 v40, v40, v41
	v_cndmask_b32_e32 v39, v197, v31, vcc
	v_cmp_ngt_f32_e32 vcc, s55, v24
	v_sub_f32_e32 v23, v23, v51
	v_sub_f32_e32 v16, v16, v51
	v_cndmask_b32_e32 v40, 0, v40, vcc
	v_cmp_nlt_f32_e32 vcc, s56, v24
	v_mul_f32_e32 v24, 0x3fb8aa3b, v25
	v_fma_f32 v41, v25, s54, -v24
	v_rndne_f32_e32 v42, v24
	v_fmac_f32_e32 v41, 0x32a5705f, v25
	v_sub_f32_e32 v24, v24, v42
	v_add_f32_e32 v24, v24, v41
	v_exp_f32_e32 v41, v24
	v_cvt_i32_f32_e32 v42, v42
	v_cndmask_b32_e32 v203, v197, v40, vcc
	v_cmp_ngt_f32_e32 vcc, s55, v25
	v_sub_f32_e32 v17, v17, v51
	v_ldexp_f32 v40, v41, v42
	v_cndmask_b32_e32 v40, 0, v40, vcc
	v_cmp_nlt_f32_e32 vcc, s56, v25
	v_mul_f32_e32 v25, 0x3fb8aa3b, v26
	v_fma_f32 v41, v26, s54, -v25
	v_rndne_f32_e32 v42, v25
	v_fmac_f32_e32 v41, 0x32a5705f, v26
	v_sub_f32_e32 v25, v25, v42
	v_add_f32_e32 v25, v25, v41
	v_exp_f32_e32 v41, v25
	v_cvt_i32_f32_e32 v42, v42
	v_cndmask_b32_e32 v204, v197, v40, vcc
	v_cmp_ngt_f32_e32 vcc, s55, v26
	v_sub_f32_e32 v18, v18, v51
	v_ldexp_f32 v40, v41, v42
	;; [unrolled: 14-line block ×3, first 2 shown]
	v_lshl_add_u64 v[42:43], v[102:103], 2, s[2:3]
	v_lshl_add_u64 v[42:43], v[42:43], 0, v[54:55]
	v_cndmask_b32_e64 v43, v46, v43, s[8:9]
	v_cndmask_b32_e64 v42, v196, v42, s[8:9]
	v_cndmask_b32_e32 v41, 0, v41, vcc
	v_cmp_nlt_f32_e32 vcc, s56, v27
	v_mul_f32_e32 v27, 0x3fb8aa3b, v20
	v_mov_b32_e32 v29, s52
	v_cndmask_b32_e32 v41, v197, v41, vcc
	v_cmp_ngt_f32_e32 vcc, s55, v20
	s_waitcnt vmcnt(0) lgkmcnt(0)
	ds_write_b128 v184, v[32:35]
	flat_load_dwordx4 v[32:35], v[42:43]
	v_fma_f32 v42, v20, s54, -v27
	v_rndne_f32_e32 v43, v27
	v_fmac_f32_e32 v42, 0x32a5705f, v20
	v_sub_f32_e32 v27, v27, v43
	v_add_f32_e32 v27, v27, v42
	v_exp_f32_e32 v42, v27
	v_cvt_i32_f32_e32 v43, v43
	v_mov_b32_e32 v30, s52
	v_mov_b32_e32 v31, s52
	v_cndmask_b32_e64 v28, 0, v36, s[12:13]
	v_ldexp_f32 v42, v42, v43
	v_cndmask_b32_e32 v42, 0, v42, vcc
	v_cmp_nlt_f32_e32 vcc, s56, v20
	v_mul_f32_e32 v20, 0x3fb8aa3b, v21
	v_fma_f32 v43, v21, s54, -v20
	v_rndne_f32_e32 v44, v20
	v_fmac_f32_e32 v43, 0x32a5705f, v21
	v_sub_f32_e32 v20, v20, v44
	v_add_f32_e32 v20, v20, v43
	v_exp_f32_e32 v43, v20
	v_cvt_i32_f32_e32 v44, v44
	v_cndmask_b32_e32 v42, v197, v42, vcc
	v_cmp_ngt_f32_e32 vcc, s55, v21
	v_cndmask_b32_e64 v29, v29, v37, s[12:13]
	v_ldexp_f32 v43, v43, v44
	v_cndmask_b32_e32 v43, 0, v43, vcc
	v_cmp_nlt_f32_e32 vcc, s56, v21
	v_mul_f32_e32 v21, 0x3fb8aa3b, v22
	v_fma_f32 v44, v22, s54, -v21
	v_rndne_f32_e32 v45, v21
	v_fmac_f32_e32 v44, 0x32a5705f, v22
	v_sub_f32_e32 v21, v21, v45
	v_add_f32_e32 v21, v21, v44
	v_exp_f32_e32 v44, v21
	v_cvt_i32_f32_e32 v45, v45
	v_cndmask_b32_e32 v43, v197, v43, vcc
	v_cmp_ngt_f32_e32 vcc, s55, v22
	;; [unrolled: 14-line block ×3, first 2 shown]
	v_cndmask_b32_e64 v31, v31, v39, s[12:13]
	v_ldexp_f32 v44, v45, v47
	v_cndmask_b32_e32 v47, 0, v44, vcc
	v_cmp_nlt_f32_e32 vcc, s56, v23
	v_mul_f32_e32 v23, 0x3fb8aa3b, v16
	v_fma_f32 v44, v16, s54, -v23
	v_rndne_f32_e32 v174, v23
	v_fmac_f32_e32 v44, 0x32a5705f, v16
	v_sub_f32_e32 v23, v23, v174
	v_add_f32_e32 v23, v23, v44
	v_lshl_add_u64 v[44:45], v[104:105], 2, s[2:3]
	v_lshl_add_u64 v[44:45], v[44:45], 0, v[54:55]
	v_cndmask_b32_e64 v45, v46, v45, s[10:11]
	v_cndmask_b32_e64 v44, v196, v44, s[10:11]
	v_exp_f32_e32 v175, v23
	v_cndmask_b32_e32 v201, v197, v47, vcc
	v_cmp_ngt_f32_e32 vcc, s55, v16
	v_mov_b32_e32 v24, s52
	v_mov_b32_e32 v25, s52
	;; [unrolled: 1-line block ×4, first 2 shown]
	v_cndmask_b32_e64 v24, v24, v203, s[14:15]
	v_cndmask_b32_e64 v25, v25, v204, s[16:17]
	;; [unrolled: 1-line block ×4, first 2 shown]
	v_mov_b32_e32 v20, s52
	v_mov_b32_e32 v21, s52
	;; [unrolled: 1-line block ×3, first 2 shown]
	s_waitcnt vmcnt(0) lgkmcnt(0)
	ds_write_b128 v185, v[32:35]
	flat_load_dwordx4 v[32:35], v[44:45]
	v_cvt_i32_f32_e32 v44, v174
	v_mov_b32_e32 v23, s52
	v_cndmask_b32_e64 v20, v20, v42, s[22:23]
	v_cndmask_b32_e64 v21, v21, v43, s[24:25]
	v_ldexp_f32 v44, v175, v44
	v_cndmask_b32_e32 v44, 0, v44, vcc
	v_cmp_nlt_f32_e32 vcc, s56, v16
	v_mul_f32_e32 v16, 0x3fb8aa3b, v17
	v_fma_f32 v45, v17, s54, -v16
	v_rndne_f32_e32 v46, v16
	v_fmac_f32_e32 v45, 0x32a5705f, v17
	v_sub_f32_e32 v16, v16, v46
	v_add_f32_e32 v16, v16, v45
	v_exp_f32_e32 v45, v16
	v_cvt_i32_f32_e32 v46, v46
	v_cndmask_b32_e32 v199, v197, v44, vcc
	v_cmp_ngt_f32_e32 vcc, s55, v17
	v_cndmask_b32_e64 v22, v22, v202, s[26:27]
	v_ldexp_f32 v44, v45, v46
	v_cndmask_b32_e32 v44, 0, v44, vcc
	v_cmp_nlt_f32_e32 vcc, s56, v17
	v_mul_f32_e32 v17, 0x3fb8aa3b, v18
	v_fma_f32 v45, v18, s54, -v17
	v_rndne_f32_e32 v46, v17
	v_fmac_f32_e32 v45, 0x32a5705f, v18
	v_sub_f32_e32 v17, v17, v46
	v_add_f32_e32 v17, v17, v45
	v_exp_f32_e32 v45, v17
	v_cvt_i32_f32_e32 v46, v46
	v_cndmask_b32_e32 v200, v197, v44, vcc
	v_cmp_ngt_f32_e32 vcc, s55, v18
	;; [unrolled: 14-line block ×3, first 2 shown]
	v_mov_b32_e32 v16, s52
	v_ldexp_f32 v44, v45, v46
	v_sub_f32_e32 v45, v173, v51
	v_mul_f32_e32 v46, 0x3fb8aa3b, v45
	v_fma_f32 v47, v45, s54, -v46
	v_rndne_f32_e32 v173, v46
	v_fmac_f32_e32 v47, 0x32a5705f, v45
	v_sub_f32_e32 v46, v46, v173
	v_add_f32_e32 v46, v46, v47
	v_exp_f32_e32 v46, v46
	v_cvt_i32_f32_e32 v47, v173
	v_cndmask_b32_e32 v44, 0, v44, vcc
	v_cmp_nlt_f32_e32 vcc, s56, v19
	v_cmp_ngt_f32_e64 s[2:3], s55, v45
	v_ldexp_f32 v19, v46, v47
	v_cndmask_b32_e32 v174, v197, v44, vcc
	v_cndmask_b32_e64 v19, 0, v19, s[2:3]
	v_cmp_nlt_f32_e64 s[2:3], s56, v45
	v_mov_b32_e32 v17, s52
	v_mov_b32_e32 v18, s52
	v_cndmask_b32_e64 v19, v197, v19, s[2:3]
	v_cmp_le_f32_e64 s[2:3], s60, v45
	v_cndmask_b32_e64 v16, v16, v199, s[0:1]
	v_cndmask_b32_e64 v17, v17, v200, s[30:31]
	;; [unrolled: 1-line block ×3, first 2 shown]
	v_cvt_f16_f32_e32 v45, v173
	v_mov_b32_e32 v19, s52
	v_cndmask_b32_e64 v18, v18, v175, s[34:35]
	v_cndmask_b32_e64 v19, v19, v174, s[36:37]
	v_mul_u32_u24_e32 v205, 0x10001, v45
	v_pk_mul_f16 v46, v110, v205
	v_pk_mul_f16 v44, v111, v205
	v_cvt_pk_f16_f32 v111, v30, v31
	v_pk_mul_f16 v210, v109, v205
	s_waitcnt vmcnt(0) lgkmcnt(0)
	ds_write_b128 v186, v[32:35]
	s_waitcnt lgkmcnt(0)
	s_barrier
	ds_read_u16 v35, v190 offset:272
	ds_read_u16 v45, v190 offset:544
	ds_read_u16 v47, v190
	ds_read_u16 v110, v195
	v_cvt_f32_f16_e32 v32, v44
	v_cvt_f32_f16_sdwa v33, v44 dst_sel:DWORD dst_unused:UNUSED_PAD src0_sel:WORD_1
	v_cvt_f32_f16_e32 v34, v46
	s_waitcnt lgkmcnt(1)
	v_perm_b32 v44, v35, v47, s61
	s_waitcnt lgkmcnt(0)
	v_perm_b32 v45, v110, v45, s61
	v_cvt_f32_f16_sdwa v35, v46 dst_sel:DWORD dst_unused:UNUSED_PAD src0_sel:WORD_1
	v_cvt_pk_f16_f32 v110, v28, v29
	v_cvt_pk_f16_f32 v109, v26, v27
	;; [unrolled: 1-line block ×3, first 2 shown]
	v_mfma_f32_16x16x16_f16 v[28:31], v[44:45], v[110:111], v[32:35]
	s_nop 2
	ds_read_u16 v32, v190 offset:4352
	ds_read_u16 v33, v190 offset:4624
	;; [unrolled: 1-line block ×4, first 2 shown]
	v_cvt_pk_f16_f32 v46, v20, v21
	v_cvt_pk_f16_f32 v45, v18, v19
	v_cvt_f16_f32_e32 v28, v28
	v_cvt_f16_f32_e32 v29, v29
	;; [unrolled: 1-line block ×4, first 2 shown]
	s_waitcnt lgkmcnt(2)
	v_perm_b32 v32, v33, v32, s61
	s_waitcnt lgkmcnt(0)
	v_perm_b32 v33, v35, v34, s61
	v_cvt_f32_f16_e32 v28, v28
	v_cvt_f32_f16_e32 v29, v29
	;; [unrolled: 1-line block ×4, first 2 shown]
	v_pk_mul_f16 v34, v108, v205
	v_cvt_pk_f16_f32 v108, v24, v25
	v_cvt_pk_f16_f32 v44, v16, v17
	v_pk_mul_f16 v121, v121, v205
	v_mfma_f32_16x16x16_f16 v[24:27], v[32:33], v[108:109], v[28:31]
	s_nop 2
	ds_read_u16 v28, v190 offset:8704
	ds_read_u16 v29, v190 offset:8976
	;; [unrolled: 1-line block ×4, first 2 shown]
	v_add_f32_e32 v36, v36, v37
	v_add_f32_e32 v36, v36, v38
	v_cvt_f16_f32_e32 v24, v24
	v_cvt_f16_f32_e32 v25, v25
	;; [unrolled: 1-line block ×4, first 2 shown]
	s_waitcnt lgkmcnt(2)
	v_perm_b32 v28, v29, v28, s61
	s_waitcnt lgkmcnt(0)
	v_perm_b32 v29, v31, v30, s61
	v_cvt_f32_f16_e32 v24, v24
	v_cvt_f32_f16_e32 v25, v25
	;; [unrolled: 1-line block ×4, first 2 shown]
	ds_read_u16 v30, v190 offset:32
	v_pk_mul_f16 v118, v118, v205
	v_mfma_f32_16x16x16_f16 v[20:23], v[28:29], v[46:47], v[24:27]
	s_nop 2
	ds_read_u16 v24, v190 offset:13056
	ds_read_u16 v25, v190 offset:13328
	;; [unrolled: 1-line block ×4, first 2 shown]
	v_pk_mul_f16 v117, v117, v205
	v_pk_mul_f16 v116, v116, v205
	v_cvt_f16_f32_e32 v20, v20
	v_cvt_f16_f32_e32 v21, v21
	;; [unrolled: 1-line block ×4, first 2 shown]
	s_waitcnt lgkmcnt(2)
	v_perm_b32 v24, v25, v24, s61
	s_waitcnt lgkmcnt(0)
	v_perm_b32 v25, v27, v26, s61
	v_cvt_f32_f16_e32 v20, v20
	v_cvt_f32_f16_e32 v21, v21
	;; [unrolled: 1-line block ×4, first 2 shown]
	ds_read_u16 v26, v195 offset:32
	v_pk_mul_f16 v115, v115, v205
	v_mfma_f32_16x16x16_f16 v[16:19], v[24:25], v[44:45], v[20:23]
	s_nop 2
	ds_read_u16 v23, v190 offset:304
	ds_read_u16 v25, v190 offset:576
	v_cvt_f32_f16_e32 v20, v210
	v_cvt_f32_f16_sdwa v21, v210 dst_sel:DWORD dst_unused:UNUSED_PAD src0_sel:WORD_1
	v_cvt_f32_f16_e32 v22, v34
	s_waitcnt lgkmcnt(1)
	v_perm_b32 v24, v23, v30, s61
	s_waitcnt lgkmcnt(0)
	v_perm_b32 v25, v26, v25, s61
	v_cvt_f32_f16_sdwa v23, v34 dst_sel:DWORD dst_unused:UNUSED_PAD src0_sel:WORD_1
	v_cmp_lt_i32_e32 vcc, s50, v149
	s_and_b64 vcc, exec, vcc
	v_mfma_f32_16x16x16_f16 v[20:23], v[24:25], v[110:111], v[20:23]
	ds_read_u16 v24, v190 offset:4384
	ds_read_u16 v25, v190 offset:4656
	;; [unrolled: 1-line block ×4, first 2 shown]
	s_nop 3
	v_cvt_f16_f32_e32 v20, v20
	v_cvt_f16_f32_e32 v21, v21
	;; [unrolled: 1-line block ×4, first 2 shown]
	s_waitcnt lgkmcnt(2)
	v_perm_b32 v24, v25, v24, s61
	s_waitcnt lgkmcnt(0)
	v_perm_b32 v25, v27, v26, s61
	v_cvt_f32_f16_e32 v20, v20
	v_cvt_f32_f16_e32 v21, v21
	;; [unrolled: 1-line block ×4, first 2 shown]
	s_nop 1
	v_mfma_f32_16x16x16_f16 v[20:23], v[24:25], v[108:109], v[20:23]
	ds_read_u16 v24, v190 offset:8736
	ds_read_u16 v25, v190 offset:9008
	;; [unrolled: 1-line block ×4, first 2 shown]
	s_nop 3
	v_cvt_f16_f32_e32 v20, v20
	v_cvt_f16_f32_e32 v21, v21
	;; [unrolled: 1-line block ×4, first 2 shown]
	s_waitcnt lgkmcnt(2)
	v_perm_b32 v24, v25, v24, s61
	s_waitcnt lgkmcnt(0)
	v_perm_b32 v25, v27, v26, s61
	v_cvt_f32_f16_e32 v20, v20
	v_cvt_f32_f16_e32 v21, v21
	;; [unrolled: 1-line block ×4, first 2 shown]
	s_nop 1
	v_mfma_f32_16x16x16_f16 v[20:23], v[24:25], v[46:47], v[20:23]
	ds_read_u16 v24, v190 offset:13088
	ds_read_u16 v25, v190 offset:13360
	;; [unrolled: 1-line block ×8, first 2 shown]
	v_cvt_f16_f32_e32 v20, v20
	v_cvt_f16_f32_e32 v21, v21
	;; [unrolled: 1-line block ×4, first 2 shown]
	s_waitcnt lgkmcnt(6)
	v_perm_b32 v24, v25, v24, s61
	s_waitcnt lgkmcnt(4)
	v_perm_b32 v25, v27, v26, s61
	v_cvt_f32_f16_e32 v20, v20
	v_cvt_f32_f16_e32 v21, v21
	v_cvt_f32_f16_e32 v22, v22
	v_cvt_f32_f16_e32 v23, v23
	v_pk_mul_f16 v26, v129, v205
	v_pk_mul_f16 v27, v128, v205
	s_waitcnt lgkmcnt(2)
	v_perm_b32 v28, v29, v28, s61
	s_waitcnt lgkmcnt(0)
	v_perm_b32 v29, v31, v30, s61
	v_mfma_f32_16x16x16_f16 v[20:23], v[24:25], v[44:45], v[20:23]
	v_cvt_f32_f16_e32 v24, v26
	v_cvt_f32_f16_sdwa v25, v26 dst_sel:DWORD dst_unused:UNUSED_PAD src0_sel:WORD_1
	v_cvt_f32_f16_e32 v26, v27
	v_cvt_f32_f16_sdwa v27, v27 dst_sel:DWORD dst_unused:UNUSED_PAD src0_sel:WORD_1
	s_nop 1
	v_mfma_f32_16x16x16_f16 v[24:27], v[28:29], v[110:111], v[24:27]
	ds_read_u16 v28, v190 offset:4416
	ds_read_u16 v29, v190 offset:4688
	ds_read_u16 v30, v190 offset:4960
	ds_read_u16 v31, v195 offset:4416
	s_nop 3
	v_cvt_f16_f32_e32 v24, v24
	v_cvt_f16_f32_e32 v25, v25
	;; [unrolled: 1-line block ×4, first 2 shown]
	s_waitcnt lgkmcnt(2)
	v_perm_b32 v28, v29, v28, s61
	s_waitcnt lgkmcnt(0)
	v_perm_b32 v29, v31, v30, s61
	v_cvt_f32_f16_e32 v24, v24
	v_cvt_f32_f16_e32 v25, v25
	v_cvt_f32_f16_e32 v26, v26
	v_cvt_f32_f16_e32 v27, v27
	s_nop 1
	v_mfma_f32_16x16x16_f16 v[24:27], v[28:29], v[108:109], v[24:27]
	ds_read_u16 v28, v190 offset:8768
	ds_read_u16 v29, v190 offset:9040
	;; [unrolled: 1-line block ×4, first 2 shown]
	s_nop 3
	v_cvt_f16_f32_e32 v24, v24
	v_cvt_f16_f32_e32 v25, v25
	v_cvt_f16_f32_e32 v26, v26
	v_cvt_f16_f32_e32 v27, v27
	s_waitcnt lgkmcnt(2)
	v_perm_b32 v28, v29, v28, s61
	s_waitcnt lgkmcnt(0)
	v_perm_b32 v29, v31, v30, s61
	v_cvt_f32_f16_e32 v24, v24
	v_cvt_f32_f16_e32 v25, v25
	;; [unrolled: 1-line block ×4, first 2 shown]
	s_nop 1
	v_mfma_f32_16x16x16_f16 v[24:27], v[28:29], v[46:47], v[24:27]
	ds_read_u16 v28, v190 offset:13120
	ds_read_u16 v29, v190 offset:13392
	;; [unrolled: 1-line block ×8, first 2 shown]
	v_cvt_f16_f32_e32 v24, v24
	v_cvt_f16_f32_e32 v25, v25
	;; [unrolled: 1-line block ×4, first 2 shown]
	s_waitcnt lgkmcnt(6)
	v_perm_b32 v28, v29, v28, s61
	s_waitcnt lgkmcnt(4)
	v_perm_b32 v29, v31, v30, s61
	v_cvt_f32_f16_e32 v24, v24
	v_cvt_f32_f16_e32 v25, v25
	;; [unrolled: 1-line block ×4, first 2 shown]
	v_pk_mul_f16 v30, v127, v205
	v_pk_mul_f16 v31, v126, v205
	s_waitcnt lgkmcnt(2)
	v_perm_b32 v32, v33, v32, s61
	s_waitcnt lgkmcnt(0)
	v_perm_b32 v33, v35, v34, s61
	v_mfma_f32_16x16x16_f16 v[24:27], v[28:29], v[44:45], v[24:27]
	v_cvt_f32_f16_e32 v28, v30
	v_cvt_f32_f16_sdwa v29, v30 dst_sel:DWORD dst_unused:UNUSED_PAD src0_sel:WORD_1
	v_cvt_f32_f16_e32 v30, v31
	v_cvt_f32_f16_sdwa v31, v31 dst_sel:DWORD dst_unused:UNUSED_PAD src0_sel:WORD_1
	s_nop 1
	v_mfma_f32_16x16x16_f16 v[28:31], v[32:33], v[110:111], v[28:31]
	ds_read_u16 v32, v190 offset:4448
	ds_read_u16 v33, v190 offset:4720
	;; [unrolled: 1-line block ×4, first 2 shown]
	s_nop 3
	v_cvt_f16_f32_e32 v28, v28
	v_cvt_f16_f32_e32 v29, v29
	v_cvt_f16_f32_e32 v30, v30
	v_cvt_f16_f32_e32 v31, v31
	s_waitcnt lgkmcnt(2)
	v_perm_b32 v32, v33, v32, s61
	s_waitcnt lgkmcnt(0)
	v_perm_b32 v33, v35, v34, s61
	v_cvt_f32_f16_e32 v28, v28
	v_cvt_f32_f16_e32 v29, v29
	;; [unrolled: 1-line block ×4, first 2 shown]
	s_nop 1
	v_mfma_f32_16x16x16_f16 v[28:31], v[32:33], v[108:109], v[28:31]
	ds_read_u16 v32, v190 offset:8800
	ds_read_u16 v33, v190 offset:9072
	;; [unrolled: 1-line block ×4, first 2 shown]
	s_nop 3
	v_cvt_f16_f32_e32 v28, v28
	v_cvt_f16_f32_e32 v29, v29
	;; [unrolled: 1-line block ×4, first 2 shown]
	s_waitcnt lgkmcnt(2)
	v_perm_b32 v32, v33, v32, s61
	s_waitcnt lgkmcnt(0)
	v_perm_b32 v33, v35, v34, s61
	v_cvt_f32_f16_e32 v28, v28
	v_cvt_f32_f16_e32 v29, v29
	v_cvt_f32_f16_e32 v30, v30
	v_cvt_f32_f16_e32 v31, v31
	s_nop 1
	v_mfma_f32_16x16x16_f16 v[28:31], v[32:33], v[46:47], v[28:31]
	ds_read_u16 v32, v190 offset:13152
	ds_read_u16 v33, v190 offset:13424
	ds_read_u16 v34, v190 offset:13696
	ds_read_u16 v35, v195 offset:13152
	s_nop 3
	v_cvt_f16_f32_e32 v28, v28
	v_cvt_f16_f32_e32 v29, v29
	;; [unrolled: 1-line block ×4, first 2 shown]
	s_waitcnt lgkmcnt(2)
	v_perm_b32 v32, v33, v32, s61
	s_waitcnt lgkmcnt(0)
	v_perm_b32 v33, v35, v34, s61
	v_pk_mul_f16 v34, v125, v205
	v_pk_mul_f16 v35, v124, v205
	ds_read_u16 v124, v190 offset:128
	ds_read_u16 v125, v190 offset:400
	;; [unrolled: 1-line block ×4, first 2 shown]
	v_cvt_f32_f16_e32 v28, v28
	v_cvt_f32_f16_e32 v29, v29
	;; [unrolled: 1-line block ×4, first 2 shown]
	s_waitcnt lgkmcnt(2)
	v_perm_b32 v124, v125, v124, s61
	s_waitcnt lgkmcnt(0)
	v_perm_b32 v125, v127, v126, s61
	v_mfma_f32_16x16x16_f16 v[28:31], v[32:33], v[44:45], v[28:31]
	v_cvt_f32_f16_e32 v32, v34
	v_cvt_f32_f16_sdwa v33, v34 dst_sel:DWORD dst_unused:UNUSED_PAD src0_sel:WORD_1
	v_cvt_f32_f16_e32 v34, v35
	v_cvt_f32_f16_sdwa v35, v35 dst_sel:DWORD dst_unused:UNUSED_PAD src0_sel:WORD_1
	s_nop 1
	v_mfma_f32_16x16x16_f16 v[32:35], v[124:125], v[110:111], v[32:35]
	ds_read_u16 v124, v190 offset:4480
	ds_read_u16 v125, v190 offset:4752
	ds_read_u16 v126, v190 offset:5024
	ds_read_u16 v127, v195 offset:4480
	s_nop 3
	v_cvt_f16_f32_e32 v32, v32
	v_cvt_f16_f32_e32 v33, v33
	;; [unrolled: 1-line block ×4, first 2 shown]
	s_waitcnt lgkmcnt(2)
	v_perm_b32 v124, v125, v124, s61
	s_waitcnt lgkmcnt(0)
	v_perm_b32 v125, v127, v126, s61
	v_cvt_f32_f16_e32 v32, v32
	v_cvt_f32_f16_e32 v33, v33
	v_cvt_f32_f16_e32 v34, v34
	v_cvt_f32_f16_e32 v35, v35
	s_nop 1
	v_mfma_f32_16x16x16_f16 v[32:35], v[124:125], v[108:109], v[32:35]
	ds_read_u16 v124, v190 offset:8832
	ds_read_u16 v125, v190 offset:9104
	;; [unrolled: 1-line block ×4, first 2 shown]
	s_nop 3
	v_cvt_f16_f32_e32 v32, v32
	v_cvt_f16_f32_e32 v33, v33
	;; [unrolled: 1-line block ×4, first 2 shown]
	s_waitcnt lgkmcnt(2)
	v_perm_b32 v124, v125, v124, s61
	s_waitcnt lgkmcnt(0)
	v_perm_b32 v125, v127, v126, s61
	v_cvt_f32_f16_e32 v32, v32
	v_cvt_f32_f16_e32 v33, v33
	;; [unrolled: 1-line block ×4, first 2 shown]
	s_nop 1
	v_mfma_f32_16x16x16_f16 v[32:35], v[124:125], v[46:47], v[32:35]
	ds_read_u16 v124, v190 offset:13184
	ds_read_u16 v125, v190 offset:13456
	;; [unrolled: 1-line block ×4, first 2 shown]
	s_nop 3
	v_cvt_f16_f32_e32 v32, v32
	v_cvt_f16_f32_e32 v33, v33
	;; [unrolled: 1-line block ×4, first 2 shown]
	s_waitcnt lgkmcnt(2)
	v_perm_b32 v124, v125, v124, s61
	s_waitcnt lgkmcnt(0)
	v_perm_b32 v125, v127, v126, s61
	v_pk_mul_f16 v127, v120, v205
	ds_read_u16 v120, v190 offset:160
	ds_read_u16 v128, v190 offset:432
	;; [unrolled: 1-line block ×4, first 2 shown]
	v_cvt_f32_f16_e32 v32, v32
	v_cvt_f32_f16_e32 v33, v33
	;; [unrolled: 1-line block ×4, first 2 shown]
	s_waitcnt lgkmcnt(2)
	v_perm_b32 v120, v128, v120, s61
	v_cvt_f32_f16_e32 v126, v127
	v_mfma_f32_16x16x16_f16 v[32:35], v[124:125], v[44:45], v[32:35]
	v_cvt_f32_f16_e32 v124, v121
	v_cvt_f32_f16_sdwa v125, v121 dst_sel:DWORD dst_unused:UNUSED_PAD src0_sel:WORD_1
	s_waitcnt lgkmcnt(0)
	v_perm_b32 v121, v210, v129, s61
	v_cvt_f32_f16_sdwa v127, v127 dst_sel:DWORD dst_unused:UNUSED_PAD src0_sel:WORD_1
	ds_read_u16 v128, v190 offset:4512
	ds_read_u16 v129, v190 offset:4784
	;; [unrolled: 1-line block ×4, first 2 shown]
	v_mfma_f32_16x16x16_f16 v[124:127], v[120:121], v[110:111], v[124:127]
	s_nop 7
	v_cvt_f16_f32_e32 v120, v124
	v_cvt_f16_f32_e32 v121, v125
	;; [unrolled: 1-line block ×4, first 2 shown]
	v_cvt_f32_f16_e32 v124, v120
	v_cvt_f32_f16_e32 v125, v121
	s_waitcnt lgkmcnt(2)
	v_perm_b32 v120, v129, v128, s61
	s_waitcnt lgkmcnt(0)
	v_perm_b32 v121, v211, v210, s61
	v_cvt_f32_f16_e32 v126, v126
	v_cvt_f32_f16_e32 v127, v127
	v_add_f32_e32 v128, v36, v39
	s_nop 0
	v_mfma_f32_16x16x16_f16 v[36:39], v[120:121], v[108:109], v[124:127]
	ds_read_u16 v120, v190 offset:8864
	ds_read_u16 v121, v190 offset:9136
	s_nop 0
	ds_read_u16 v124, v190 offset:9408
	ds_read_u16 v125, v195 offset:8864
	v_cvt_f32_f16_e32 v126, v117
	s_nop 1
	v_cvt_f16_f32_e32 v36, v36
	v_cvt_f16_f32_e32 v37, v37
	;; [unrolled: 1-line block ×4, first 2 shown]
	s_waitcnt lgkmcnt(2)
	v_perm_b32 v120, v121, v120, s61
	s_waitcnt lgkmcnt(0)
	v_perm_b32 v121, v125, v124, s61
	v_cvt_f32_f16_e32 v36, v36
	v_cvt_f32_f16_e32 v37, v37
	;; [unrolled: 1-line block ×4, first 2 shown]
	v_cndmask_b32_e64 v124, 0, v128, s[12:13]
	v_add_f32_e32 v125, v203, v124
	v_mfma_f32_16x16x16_f16 v[36:39], v[120:121], v[46:47], v[36:39]
	v_cndmask_b32_e64 v128, v124, v125, s[14:15]
	ds_read_u16 v120, v190 offset:13216
	ds_read_u16 v121, v190 offset:13488
	;; [unrolled: 1-line block ×4, first 2 shown]
	v_add_f32_e32 v129, v204, v128
	s_nop 1
	v_cvt_f16_f32_e32 v36, v36
	v_cvt_f16_f32_e32 v37, v37
	v_cvt_f16_f32_e32 v38, v38
	v_cvt_f16_f32_e32 v39, v39
	s_waitcnt lgkmcnt(2)
	v_perm_b32 v120, v121, v120, s61
	s_waitcnt lgkmcnt(0)
	v_perm_b32 v121, v125, v124, s61
	v_cvt_f32_f16_e32 v36, v36
	v_cvt_f32_f16_e32 v37, v37
	;; [unrolled: 1-line block ×5, first 2 shown]
	v_cvt_f32_f16_sdwa v125, v118 dst_sel:DWORD dst_unused:UNUSED_PAD src0_sel:WORD_1
	v_mfma_f32_16x16x16_f16 v[36:39], v[120:121], v[44:45], v[36:39]
	ds_read_u16 v120, v190 offset:192
	ds_read_u16 v121, v190 offset:464
	;; [unrolled: 1-line block ×4, first 2 shown]
	s_waitcnt lgkmcnt(2)
	v_perm_b32 v120, v121, v120, s61
	s_waitcnt lgkmcnt(0)
	v_perm_b32 v121, v203, v127, s61
	v_cvt_f32_f16_sdwa v127, v117 dst_sel:DWORD dst_unused:UNUSED_PAD src0_sel:WORD_1
	v_cndmask_b32_e64 v117, v128, v129, s[16:17]
	v_add_f32_e32 v40, v40, v117
	v_mfma_f32_16x16x16_f16 v[124:127], v[120:121], v[110:111], v[124:127]
	ds_read_u16 v121, v190 offset:4544
	ds_read_u16 v128, v190 offset:4816
	;; [unrolled: 1-line block ×4, first 2 shown]
	v_cndmask_b32_e64 v40, v117, v40, s[18:19]
	v_add_f32_e32 v41, v41, v40
	s_nop 1
	v_cvt_f16_f32_e32 v120, v126
	v_cvt_f16_f32_e32 v117, v124
	;; [unrolled: 1-line block ×4, first 2 shown]
	v_cvt_f32_f16_e32 v126, v120
	s_waitcnt lgkmcnt(2)
	v_perm_b32 v120, v128, v121, s61
	s_waitcnt lgkmcnt(0)
	v_perm_b32 v121, v203, v129, s61
	v_cvt_f32_f16_e32 v124, v117
	v_cvt_f32_f16_e32 v125, v118
	;; [unrolled: 1-line block ×3, first 2 shown]
	v_cndmask_b32_e64 v117, v40, v41, s[20:21]
	v_add_f32_e32 v42, v42, v117
	v_mfma_f32_16x16x16_f16 v[124:127], v[120:121], v[108:109], v[124:127]
	v_cndmask_b32_e64 v42, v117, v42, s[22:23]
	v_add_f32_e32 v43, v43, v42
	s_nop 5
	v_cvt_f16_f32_e32 v120, v127
	ds_read_u16 v121, v190 offset:8896
	ds_read_u16 v127, v190 offset:9168
	;; [unrolled: 1-line block ×4, first 2 shown]
	v_cvt_f16_f32_e32 v40, v124
	v_cvt_f16_f32_e32 v41, v125
	;; [unrolled: 1-line block ×3, first 2 shown]
	v_cvt_f32_f16_e32 v124, v40
	v_cvt_f32_f16_e32 v125, v41
	s_waitcnt lgkmcnt(2)
	v_perm_b32 v40, v127, v121, s61
	s_waitcnt lgkmcnt(0)
	v_perm_b32 v41, v129, v128, s61
	v_cvt_f32_f16_e32 v126, v118
	v_cvt_f32_f16_e32 v127, v120
	v_cndmask_b32_e64 v118, v42, v43, s[24:25]
	v_add_f32_e32 v128, v202, v118
	v_mfma_f32_16x16x16_f16 v[40:43], v[40:41], v[46:47], v[124:127]
	ds_read_u16 v117, v190 offset:13248
	ds_read_u16 v120, v190 offset:13520
	;; [unrolled: 1-line block ×4, first 2 shown]
	v_cvt_f32_f16_sdwa v125, v116 dst_sel:DWORD dst_unused:UNUSED_PAD src0_sel:WORD_1
	v_cvt_f32_f16_e32 v126, v115
	s_nop 1
	v_cvt_f16_f32_e32 v40, v40
	v_cvt_f16_f32_e32 v41, v41
	;; [unrolled: 1-line block ×4, first 2 shown]
	s_waitcnt lgkmcnt(2)
	v_perm_b32 v120, v120, v117, s61
	s_waitcnt lgkmcnt(0)
	v_perm_b32 v121, v124, v121, s61
	v_cvt_f32_f16_e32 v40, v40
	v_cvt_f32_f16_e32 v41, v41
	;; [unrolled: 1-line block ×5, first 2 shown]
	v_cvt_pk_f16_f32 v129, v24, v25
	v_mfma_f32_16x16x16_f16 v[40:43], v[120:121], v[44:45], v[40:43]
	ds_read_u16 v117, v190 offset:224
	ds_read_u16 v120, v190 offset:496
	;; [unrolled: 1-line block ×4, first 2 shown]
	s_waitcnt lgkmcnt(2)
	v_perm_b32 v116, v120, v117, s61
	s_waitcnt lgkmcnt(0)
	v_perm_b32 v117, v127, v121, s61
	v_cvt_f32_f16_sdwa v127, v115 dst_sel:DWORD dst_unused:UNUSED_PAD src0_sel:WORD_1
	v_cndmask_b32_e64 v115, v118, v128, s[26:27]
	v_add_f32_e32 v118, v201, v115
	v_mfma_f32_16x16x16_f16 v[124:127], v[116:117], v[110:111], v[124:127]
	v_cndmask_b32_e64 v115, v115, v118, s[28:29]
	v_cvt_pk_f16_f32 v128, v26, v27
	s_nop 5
	v_cvt_f16_f32_e32 v117, v127
	ds_read_u16 v118, v190 offset:4576
	ds_read_u16 v120, v190 offset:4848
	;; [unrolled: 1-line block ×4, first 2 shown]
	v_cvt_f16_f32_e32 v110, v124
	v_cvt_f16_f32_e32 v111, v125
	;; [unrolled: 1-line block ×3, first 2 shown]
	v_cvt_f32_f16_e32 v124, v110
	v_cvt_f32_f16_e32 v125, v111
	s_waitcnt lgkmcnt(2)
	v_perm_b32 v110, v120, v118, s61
	s_waitcnt lgkmcnt(0)
	v_perm_b32 v111, v127, v121, s61
	v_cvt_f32_f16_e32 v126, v116
	v_cvt_f32_f16_e32 v127, v117
	v_add_f32_e32 v116, v199, v115
	v_cndmask_b32_e64 v115, v115, v116, s[0:1]
	v_mfma_f32_16x16x16_f16 v[108:111], v[110:111], v[108:109], v[124:127]
	v_add_f32_e32 v116, v200, v115
	s_nop 6
	v_cvt_f16_f32_e32 v117, v111
	ds_read_u16 v111, v190 offset:8928
	ds_read_u16 v118, v190 offset:9200
	;; [unrolled: 1-line block ×4, first 2 shown]
	v_cvt_f16_f32_e32 v110, v110
	v_cvt_f16_f32_e32 v108, v108
	;; [unrolled: 1-line block ×3, first 2 shown]
	v_cvt_f32_f16_e32 v127, v117
	v_cvt_f32_f16_e32 v126, v110
	s_waitcnt lgkmcnt(2)
	v_perm_b32 v110, v118, v111, s61
	s_waitcnt lgkmcnt(0)
	v_perm_b32 v111, v121, v120, s61
	v_cvt_f32_f16_e32 v124, v108
	v_cvt_f32_f16_e32 v125, v109
	v_cndmask_b32_e64 v108, v115, v116, s[30:31]
	v_add_f32_e32 v109, v175, v108
	v_mfma_f32_16x16x16_f16 v[124:127], v[110:111], v[46:47], v[124:127]
	ds_read_u16 v111, v190 offset:13280
	ds_read_u16 v115, v190 offset:13552
	;; [unrolled: 1-line block ×4, first 2 shown]
	v_cndmask_b32_e64 v108, v108, v109, s[34:35]
	v_cvt_pk_f16_f32 v118, v40, v41
	s_nop 1
	v_cvt_f16_f32_e32 v110, v126
	v_cvt_f16_f32_e32 v47, v124
	;; [unrolled: 1-line block ×4, first 2 shown]
	v_cvt_f32_f16_e32 v126, v110
	s_waitcnt lgkmcnt(2)
	v_perm_b32 v110, v115, v111, s61
	s_waitcnt lgkmcnt(0)
	v_perm_b32 v111, v117, v116, s61
	v_cvt_f32_f16_e32 v124, v47
	v_cvt_f32_f16_e32 v125, v109
	;; [unrolled: 1-line block ×3, first 2 shown]
	v_add_f32_e32 v46, v174, v108
	v_cndmask_b32_e64 v46, v108, v46, s[36:37]
	v_mfma_f32_16x16x16_f16 v[108:111], v[110:111], v[44:45], v[124:127]
	v_fmac_f32_e32 v46, v198, v173
	v_cvt_pk_f16_f32 v117, v42, v43
	v_cvt_pk_f16_f32 v121, v36, v37
	;; [unrolled: 1-line block ×3, first 2 shown]
	s_nop 3
	v_cvt_pk_f16_f32 v116, v108, v109
	v_cvt_pk_f16_f32 v115, v110, v111
	;; [unrolled: 1-line block ×10, first 2 shown]
	s_barrier
	s_cbranch_vccz .LBB25_840
; %bb.837:                              ;   in Loop: Header=BB25_769 Depth=1
	v_mov_b32_e32 v198, v46
	v_mov_b32_e32 v173, v51
	s_andn2_b64 vcc, exec, s[44:45]
	s_ashr_i32 s47, s46, 31
	s_cbranch_vccz .LBB25_760
	s_branch .LBB25_769
.LBB25_838:                             ;   in Loop: Header=BB25_769 Depth=1
                                        ; implicit-def: $vgpr28_vgpr29_vgpr30_vgpr31
                                        ; implicit-def: $vgpr24_vgpr25_vgpr26_vgpr27
                                        ; implicit-def: $vgpr20_vgpr21_vgpr22_vgpr23
                                        ; implicit-def: $vgpr16_vgpr17_vgpr18_vgpr19
	s_branch .LBB25_835
.LBB25_839:
	v_mov_b32_e32 v51, 0xfeffffff
	v_mov_b32_e32 v46, 0
	;; [unrolled: 1-line block ×18, first 2 shown]
.LBB25_840:
	s_lshl_b32 s2, s50, 6
	v_readlane_b32 s0, v254, 4
	s_sub_i32 s42, s0, s2
	s_cmp_lg_u64 s[40:41], 0
	s_cselect_b64 s[6:7], -1, 0
	s_ashr_i32 s3, s2, 31
	s_cmp_eq_u64 s[40:41], 0
	v_readlane_b32 s43, v254, 14
	v_readlane_b32 s44, v254, 17
	;; [unrolled: 1-line block ×3, first 2 shown]
	s_cbranch_scc1 .LBB25_874
; %bb.841:
	s_lshl_b64 s[0:1], s[2:3], 1
	s_add_u32 s0, s40, s0
	s_addc_u32 s1, s41, s1
	v_mov_b32_e32 v53, 0
	v_cmp_gt_i32_e32 vcc, s42, v48
	v_lshl_add_u64 v[16:17], s[0:1], 0, v[52:53]
	v_mov_b32_e32 v19, 0
	s_and_saveexec_b64 s[0:1], vcc
	s_cbranch_execz .LBB25_843
; %bb.842:
	v_mul_hi_u32 v18, s58, v130
	v_add_u32_e32 v18, v130, v18
	v_lshrrev_b32_e32 v18, s59, v18
	v_mul_lo_u32 v18, v18, s68
	v_sub_u32_e32 v18, v130, v18
	v_mad_i64_i32 v[18:19], s[4:5], v18, s94, 0
	v_lshl_add_u64 v[18:19], v[18:19], 1, v[16:17]
	global_load_ushort v19, v[18:19], off
.LBB25_843:
	s_or_b64 exec, exec, s[0:1]
	s_movk_i32 s0, 0x90
	v_mad_u32_u24 v18, v172, s0, 0
	v_lshl_add_u32 v20, v48, 1, v18
	s_waitcnt vmcnt(0)
	ds_write_b16 v20, v19 offset:17408
	s_and_saveexec_b64 s[0:1], vcc
	s_cbranch_execz .LBB25_845
; %bb.844:
	v_mul_hi_u32 v19, s58, v131
	v_add_u32_e32 v19, v131, v19
	v_lshrrev_b32_e32 v19, s59, v19
	v_mul_lo_u32 v19, v19, s68
	v_sub_u32_e32 v19, v131, v19
	v_mad_i64_i32 v[20:21], s[4:5], v19, s94, 0
	v_lshl_add_u64 v[20:21], v[20:21], 1, v[16:17]
	global_load_ushort v53, v[20:21], off
.LBB25_845:
	s_or_b64 exec, exec, s[0:1]
	v_add_u32_e32 v19, 0x240, v18
	v_lshl_add_u32 v18, v48, 1, v19
	s_waitcnt vmcnt(0)
	ds_write_b16 v18, v53 offset:17408
	v_mov_b32_e32 v18, 0
	v_mov_b32_e32 v20, 0
	s_and_saveexec_b64 s[0:1], vcc
	s_cbranch_execz .LBB25_847
; %bb.846:
	v_mul_hi_u32 v20, s58, v132
	v_add_u32_e32 v20, v132, v20
	v_lshrrev_b32_e32 v20, s59, v20
	v_mul_lo_u32 v20, v20, s68
	v_sub_u32_e32 v20, v132, v20
	v_mad_i64_i32 v[20:21], s[4:5], v20, s94, 0
	v_lshl_add_u64 v[20:21], v[20:21], 1, v[16:17]
	global_load_ushort v20, v[20:21], off
.LBB25_847:
	s_or_b64 exec, exec, s[0:1]
	v_add_u32_e32 v19, 0x240, v19
	v_lshl_add_u32 v21, v48, 1, v19
	s_waitcnt vmcnt(0)
	ds_write_b16 v21, v20 offset:17408
	s_and_saveexec_b64 s[0:1], vcc
	s_cbranch_execz .LBB25_849
; %bb.848:
	v_mul_hi_u32 v18, s58, v133
	v_add_u32_e32 v18, v133, v18
	v_lshrrev_b32_e32 v18, s59, v18
	v_mul_lo_u32 v18, v18, s68
	v_sub_u32_e32 v18, v133, v18
	v_mad_i64_i32 v[20:21], s[4:5], v18, s94, 0
	v_lshl_add_u64 v[20:21], v[20:21], 1, v[16:17]
	global_load_ushort v18, v[20:21], off
.LBB25_849:
	s_or_b64 exec, exec, s[0:1]
	v_add_u32_e32 v19, 0x240, v19
	v_lshl_add_u32 v20, v48, 1, v19
	s_waitcnt vmcnt(0)
	ds_write_b16 v20, v18 offset:17408
	v_mov_b32_e32 v18, 0
	v_mov_b32_e32 v20, 0
	s_and_saveexec_b64 s[0:1], vcc
	s_cbranch_execz .LBB25_851
; %bb.850:
	v_mul_hi_u32 v20, s58, v134
	v_add_u32_e32 v20, v134, v20
	v_lshrrev_b32_e32 v20, s59, v20
	v_mul_lo_u32 v20, v20, s68
	v_sub_u32_e32 v20, v134, v20
	v_mad_i64_i32 v[20:21], s[4:5], v20, s94, 0
	v_lshl_add_u64 v[20:21], v[20:21], 1, v[16:17]
	global_load_ushort v20, v[20:21], off
.LBB25_851:
	s_or_b64 exec, exec, s[0:1]
	v_add_u32_e32 v19, 0x240, v19
	v_lshl_add_u32 v21, v48, 1, v19
	s_waitcnt vmcnt(0)
	ds_write_b16 v21, v20 offset:17408
	s_and_saveexec_b64 s[0:1], vcc
	s_cbranch_execz .LBB25_853
; %bb.852:
	v_mul_hi_u32 v18, s58, v135
	v_add_u32_e32 v18, v135, v18
	v_lshrrev_b32_e32 v18, s59, v18
	v_mul_lo_u32 v18, v18, s68
	v_sub_u32_e32 v18, v135, v18
	v_mad_i64_i32 v[20:21], s[4:5], v18, s94, 0
	v_lshl_add_u64 v[20:21], v[20:21], 1, v[16:17]
	global_load_ushort v18, v[20:21], off
.LBB25_853:
	s_or_b64 exec, exec, s[0:1]
	v_add_u32_e32 v19, 0x240, v19
	v_lshl_add_u32 v20, v48, 1, v19
	s_waitcnt vmcnt(0)
	ds_write_b16 v20, v18 offset:17408
	v_mov_b32_e32 v18, 0
	v_mov_b32_e32 v20, 0
	s_and_saveexec_b64 s[0:1], vcc
	s_cbranch_execz .LBB25_855
; %bb.854:
	v_mul_hi_u32 v20, s58, v136
	v_add_u32_e32 v20, v136, v20
	v_lshrrev_b32_e32 v20, s59, v20
	v_mul_lo_u32 v20, v20, s68
	v_sub_u32_e32 v20, v136, v20
	v_mad_i64_i32 v[20:21], s[4:5], v20, s94, 0
	v_lshl_add_u64 v[20:21], v[20:21], 1, v[16:17]
	global_load_ushort v20, v[20:21], off
.LBB25_855:
	s_or_b64 exec, exec, s[0:1]
	v_add_u32_e32 v19, 0x240, v19
	v_lshl_add_u32 v21, v48, 1, v19
	s_waitcnt vmcnt(0)
	ds_write_b16 v21, v20 offset:17408
	s_and_saveexec_b64 s[0:1], vcc
	s_cbranch_execz .LBB25_857
; %bb.856:
	v_mul_hi_u32 v18, s58, v137
	v_add_u32_e32 v18, v137, v18
	v_lshrrev_b32_e32 v18, s59, v18
	v_mul_lo_u32 v18, v18, s68
	v_sub_u32_e32 v18, v137, v18
	v_mad_i64_i32 v[20:21], s[4:5], v18, s94, 0
	v_lshl_add_u64 v[20:21], v[20:21], 1, v[16:17]
	global_load_ushort v18, v[20:21], off
.LBB25_857:
	s_or_b64 exec, exec, s[0:1]
	v_add_u32_e32 v19, 0x240, v19
	v_lshl_add_u32 v20, v48, 1, v19
	s_waitcnt vmcnt(0)
	ds_write_b16 v20, v18 offset:17408
	v_mov_b32_e32 v18, 0
	v_mov_b32_e32 v20, 0
	s_and_saveexec_b64 s[0:1], vcc
	s_cbranch_execz .LBB25_859
; %bb.858:
	v_mul_hi_u32 v20, s58, v138
	v_add_u32_e32 v20, v138, v20
	v_lshrrev_b32_e32 v20, s59, v20
	v_mul_lo_u32 v20, v20, s68
	v_sub_u32_e32 v20, v138, v20
	v_mad_i64_i32 v[20:21], s[4:5], v20, s94, 0
	v_lshl_add_u64 v[20:21], v[20:21], 1, v[16:17]
	global_load_ushort v20, v[20:21], off
.LBB25_859:
	s_or_b64 exec, exec, s[0:1]
	v_add_u32_e32 v19, 0x240, v19
	v_lshl_add_u32 v21, v48, 1, v19
	s_waitcnt vmcnt(0)
	ds_write_b16 v21, v20 offset:17408
	s_and_saveexec_b64 s[0:1], vcc
	s_cbranch_execz .LBB25_861
; %bb.860:
	v_mul_hi_u32 v18, s58, v139
	v_add_u32_e32 v18, v139, v18
	v_lshrrev_b32_e32 v18, s59, v18
	v_mul_lo_u32 v18, v18, s68
	v_sub_u32_e32 v18, v139, v18
	v_mad_i64_i32 v[20:21], s[4:5], v18, s94, 0
	v_lshl_add_u64 v[20:21], v[20:21], 1, v[16:17]
	global_load_ushort v18, v[20:21], off
.LBB25_861:
	s_or_b64 exec, exec, s[0:1]
	v_add_u32_e32 v19, 0x240, v19
	v_lshl_add_u32 v20, v48, 1, v19
	s_waitcnt vmcnt(0)
	ds_write_b16 v20, v18 offset:17408
	v_mov_b32_e32 v18, 0
	v_mov_b32_e32 v20, 0
	s_and_saveexec_b64 s[0:1], vcc
	s_cbranch_execz .LBB25_863
; %bb.862:
	v_mul_hi_u32 v20, s58, v140
	v_add_u32_e32 v20, v140, v20
	v_lshrrev_b32_e32 v20, s59, v20
	v_mul_lo_u32 v20, v20, s68
	v_sub_u32_e32 v20, v140, v20
	v_mad_i64_i32 v[20:21], s[4:5], v20, s94, 0
	v_lshl_add_u64 v[20:21], v[20:21], 1, v[16:17]
	global_load_ushort v20, v[20:21], off
.LBB25_863:
	s_or_b64 exec, exec, s[0:1]
	v_add_u32_e32 v19, 0x240, v19
	v_lshl_add_u32 v21, v48, 1, v19
	s_waitcnt vmcnt(0)
	ds_write_b16 v21, v20 offset:17408
	s_and_saveexec_b64 s[0:1], vcc
	s_cbranch_execz .LBB25_865
; %bb.864:
	v_mul_hi_u32 v18, s58, v141
	v_add_u32_e32 v18, v141, v18
	v_lshrrev_b32_e32 v18, s59, v18
	v_mul_lo_u32 v18, v18, s68
	v_sub_u32_e32 v18, v141, v18
	v_mad_i64_i32 v[20:21], s[4:5], v18, s94, 0
	v_lshl_add_u64 v[20:21], v[20:21], 1, v[16:17]
	global_load_ushort v18, v[20:21], off
.LBB25_865:
	s_or_b64 exec, exec, s[0:1]
	v_add_u32_e32 v19, 0x240, v19
	v_lshl_add_u32 v20, v48, 1, v19
	s_waitcnt vmcnt(0)
	ds_write_b16 v20, v18 offset:17408
	v_mov_b32_e32 v18, 0
	v_mov_b32_e32 v20, 0
	s_and_saveexec_b64 s[0:1], vcc
	s_cbranch_execz .LBB25_867
; %bb.866:
	v_mul_hi_u32 v20, s58, v142
	v_add_u32_e32 v20, v142, v20
	v_lshrrev_b32_e32 v20, s59, v20
	v_mul_lo_u32 v20, v20, s68
	v_sub_u32_e32 v20, v142, v20
	v_mad_i64_i32 v[20:21], s[4:5], v20, s94, 0
	v_lshl_add_u64 v[20:21], v[20:21], 1, v[16:17]
	global_load_ushort v20, v[20:21], off
.LBB25_867:
	s_or_b64 exec, exec, s[0:1]
	v_add_u32_e32 v19, 0x240, v19
	v_lshl_add_u32 v21, v48, 1, v19
	s_waitcnt vmcnt(0)
	ds_write_b16 v21, v20 offset:17408
	s_and_saveexec_b64 s[0:1], vcc
	s_cbranch_execz .LBB25_869
; %bb.868:
	v_mul_hi_u32 v18, s58, v144
	v_add_u32_e32 v18, v144, v18
	v_lshrrev_b32_e32 v18, s59, v18
	v_mul_lo_u32 v18, v18, s68
	v_sub_u32_e32 v18, v144, v18
	v_mad_i64_i32 v[20:21], s[4:5], v18, s94, 0
	v_lshl_add_u64 v[20:21], v[20:21], 1, v[16:17]
	global_load_ushort v18, v[20:21], off
.LBB25_869:
	s_or_b64 exec, exec, s[0:1]
	v_add_u32_e32 v19, 0x240, v19
	v_lshl_add_u32 v20, v48, 1, v19
	s_waitcnt vmcnt(0)
	ds_write_b16 v20, v18 offset:17408
	v_mov_b32_e32 v18, 0
	v_mov_b32_e32 v20, 0
	s_and_saveexec_b64 s[0:1], vcc
	s_cbranch_execz .LBB25_871
; %bb.870:
	v_mul_hi_u32 v20, s58, v145
	v_add_u32_e32 v20, v145, v20
	v_lshrrev_b32_e32 v20, s59, v20
	v_mul_lo_u32 v20, v20, s68
	v_sub_u32_e32 v20, v145, v20
	v_mad_i64_i32 v[20:21], s[4:5], v20, s94, 0
	v_lshl_add_u64 v[20:21], v[20:21], 1, v[16:17]
	global_load_ushort v20, v[20:21], off
.LBB25_871:
	s_or_b64 exec, exec, s[0:1]
	v_add_u32_e32 v19, 0x240, v19
	v_lshl_add_u32 v19, v48, 1, v19
	s_waitcnt vmcnt(0)
	ds_write_b16 v19, v20 offset:17408
	s_and_saveexec_b64 s[0:1], vcc
	s_cbranch_execz .LBB25_873
; %bb.872:
	v_mul_hi_u32 v18, s58, v146
	v_add_u32_e32 v18, v146, v18
	v_lshrrev_b32_e32 v18, s59, v18
	v_mul_lo_u32 v18, v18, s68
	v_sub_u32_e32 v18, v146, v18
	v_mad_i64_i32 v[20:21], s[4:5], v18, s94, 0
	v_lshl_add_u64 v[16:17], v[20:21], 1, v[16:17]
	global_load_ushort v18, v[16:17], off
.LBB25_873:
	s_or_b64 exec, exec, s[0:1]
	s_waitcnt vmcnt(0)
	ds_write_b16 v19, v18 offset:17984
.LBB25_874:
	s_mul_hi_i32 s5, s2, s98
	s_mul_i32 s4, s2, s98
	s_lshl_b64 s[4:5], s[4:5], 2
	v_lshl_add_u32 v18, v172, 2, v148
	s_add_u32 s8, s49, s4
	v_mul_lo_u32 v24, s98, v18
	s_addc_u32 s9, s51, s5
	v_and_b32_e32 v16, 60, v147
	v_ashrrev_i32_e32 v25, 31, v24
	s_mov_b64 s[0:1], src_private_base
	v_mov_b32_e32 v17, 0
	v_lshlrev_b32_e32 v16, 2, v16
	v_lshl_add_u64 v[20:21], v[24:25], 2, s[8:9]
	v_lshl_add_u64 v[20:21], v[20:21], 0, v[16:17]
	v_mov_b32_e32 v19, s1
	v_cmp_gt_i32_e64 s[28:29], s42, v18
	v_mov_b32_e32 v28, 0
	v_mov_b32_e32 v30, v17
	;; [unrolled: 1-line block ×5, first 2 shown]
	v_cndmask_b32_e64 v21, v19, v21, s[28:29]
	v_cndmask_b32_e64 v20, v28, v20, s[28:29]
	scratch_store_dwordx4 off, v[30:33], off
	flat_load_dwordx4 v[20:23], v[20:21]
	s_lshl_b32 s0, s98, 4
	v_mul_u32_u24_e32 v25, 0x110, v18
	v_add_u32_e32 v24, s0, v24
	v_add3_u32 v40, 0, v25, v16
	v_ashrrev_i32_e32 v25, 31, v24
	v_add_u32_e32 v29, 16, v18
	v_lshl_add_u64 v[26:27], v[24:25], 2, s[8:9]
	v_lshl_add_u64 v[26:27], v[26:27], 0, v[16:17]
	v_cmp_gt_i32_e64 s[4:5], s42, v29
	v_add_u32_e32 v24, s0, v24
	v_ashrrev_i32_e32 v25, 31, v24
	v_cndmask_b32_e64 v27, v19, v27, s[4:5]
	v_cndmask_b32_e64 v26, v28, v26, s[4:5]
	v_add_u32_e32 v29, 32, v18
	v_cmp_gt_i32_e64 s[38:39], s42, v29
	s_mov_b32 s3, 0x3f200000
	s_waitcnt vmcnt(0) lgkmcnt(0)
	ds_write_b128 v40, v[20:23]
	flat_load_dwordx4 v[20:23], v[26:27]
	v_lshl_add_u64 v[26:27], v[24:25], 2, s[8:9]
	v_lshl_add_u64 v[26:27], v[26:27], 0, v[16:17]
	v_cndmask_b32_e64 v27, v19, v27, s[38:39]
	v_cndmask_b32_e64 v26, v28, v26, s[38:39]
	v_add_u32_e32 v24, s0, v24
	v_ashrrev_i32_e32 v25, 31, v24
	v_lshl_add_u64 v[24:25], v[24:25], 2, s[8:9]
	v_lshl_add_u64 v[24:25], v[24:25], 0, v[16:17]
	v_add3_u32 v17, 0, v143, v112
	v_add_u32_e32 v41, 0x2000, v17
	v_add_u32_e32 v47, 0x3000, v17
	s_waitcnt vmcnt(0) lgkmcnt(0)
	ds_write_b128 v40, v[20:23] offset:4352
	flat_load_dwordx4 v[20:23], v[26:27]
	v_add_u32_e32 v26, 48, v18
	v_cmp_gt_i32_e64 s[0:1], s42, v26
	s_waitcnt vmcnt(0) lgkmcnt(0)
	ds_write_b128 v40, v[20:23] offset:8704
	v_cndmask_b32_e64 v25, v19, v25, s[0:1]
	v_cndmask_b32_e64 v24, v28, v24, s[0:1]
	flat_load_dwordx4 v[20:23], v[24:25]
	v_add_u32_e32 v19, 0x1000, v17
	s_waitcnt vmcnt(0) lgkmcnt(0)
	ds_write_b128 v40, v[20:23] offset:13056
	s_waitcnt lgkmcnt(0)
	s_barrier
	ds_read2_b64 v[20:23], v17 offset1:4
	ds_read2_b64 v[28:31], v19 offset0:32 offset1:36
	ds_read2_b64 v[36:39], v41 offset0:64 offset1:68
	ds_read2_b64 v[52:55], v47 offset0:96 offset1:100
	s_waitcnt lgkmcnt(3)
	v_mfma_f32_16x16x16_f16 v[24:27], v[20:21], v[12:13], 0
	s_waitcnt lgkmcnt(2)
	v_mfma_f32_16x16x16_f16 v[32:35], v[28:29], v[12:13], 0
	s_waitcnt lgkmcnt(1)
	v_mfma_f32_16x16x16_f16 v[42:45], v[36:37], v[12:13], 0
	s_waitcnt lgkmcnt(0)
	v_mfma_f32_16x16x16_f16 v[56:59], v[52:53], v[12:13], 0
	v_mfma_f32_16x16x16_f16 v[20:23], v[22:23], v[14:15], v[24:27]
	v_mfma_f32_16x16x16_f16 v[24:27], v[30:31], v[14:15], v[32:35]
	v_mfma_f32_16x16x16_f16 v[28:31], v[38:39], v[14:15], v[42:45]
	s_nop 1
	ds_read2_b64 v[32:35], v17 offset0:8 offset1:12
	ds_read2_b64 v[36:39], v19 offset0:40 offset1:44
	v_mfma_f32_16x16x16_f16 v[12:15], v[54:55], v[14:15], v[56:59]
	ds_read2_b64 v[42:45], v41 offset0:72 offset1:76
	ds_read2_b64 v[52:55], v47 offset0:104 offset1:108
	s_waitcnt lgkmcnt(3)
	v_mfma_f32_16x16x16_f16 v[20:23], v[32:33], v[8:9], v[20:23]
	s_waitcnt lgkmcnt(2)
	v_mfma_f32_16x16x16_f16 v[24:27], v[36:37], v[8:9], v[24:27]
	;; [unrolled: 2-line block ×4, first 2 shown]
	v_mfma_f32_16x16x16_f16 v[20:23], v[34:35], v[10:11], v[20:23]
	ds_read2_b64 v[32:35], v19 offset0:48 offset1:52
	v_mfma_f32_16x16x16_f16 v[24:27], v[38:39], v[10:11], v[24:27]
	ds_read2_b64 v[36:39], v41 offset0:80 offset1:84
	;; [unrolled: 2-line block ×3, first 2 shown]
	v_mfma_f32_16x16x16_f16 v[8:11], v[54:55], v[10:11], v[12:15]
	s_nop 2
	ds_read2_b64 v[12:15], v17 offset0:16 offset1:20
	s_waitcnt lgkmcnt(0)
	v_mfma_f32_16x16x16_f16 v[20:23], v[12:13], v[4:5], v[20:23]
	v_mfma_f32_16x16x16_f16 v[24:27], v[32:33], v[4:5], v[24:27]
	;; [unrolled: 1-line block ×6, first 2 shown]
	ds_read2_b64 v[32:35], v41 offset0:88 offset1:92
	v_mfma_f32_16x16x16_f16 v[24:27], v[38:39], v[6:7], v[28:31]
	ds_read2_b64 v[36:39], v47 offset0:120 offset1:124
	v_mfma_f32_16x16x16_f16 v[4:7], v[44:45], v[6:7], v[8:11]
	s_nop 0
	ds_read2_b64 v[28:31], v19 offset0:56 offset1:60
	s_nop 0
	ds_read2_b64 v[8:11], v17 offset0:24 offset1:28
	s_waitcnt lgkmcnt(0)
	v_mfma_f32_16x16x16_f16 v[12:15], v[8:9], v[0:1], v[12:15]
	s_barrier
	v_mfma_f32_16x16x16_f16 v[20:23], v[28:29], v[0:1], v[20:23]
                                        ; implicit-def: $vgpr17
	v_mfma_f32_16x16x16_f16 v[24:27], v[32:33], v[0:1], v[24:27]
	v_mfma_f32_16x16x16_f16 v[42:45], v[36:37], v[0:1], v[4:7]
	;; [unrolled: 1-line block ×5, first 2 shown]
	s_nop 5
	v_cmp_nlt_f32_e64 s[8:9], |v4|, s3
	v_mfma_f32_16x16x16_f16 v[0:3], v[38:39], v[2:3], v[42:45]
	s_and_saveexec_b64 s[10:11], s[8:9]
	s_xor_b64 s[8:9], exec, s[10:11]
	s_cbranch_execz .LBB25_876
; %bb.875:
	v_add_f32_e64 v17, |v4|, |v4|
	v_mul_f32_e32 v19, 0x3fb8aa3b, v17
	s_mov_b32 s3, 0x3fb8aa3b
	v_rndne_f32_e32 v20, v19
	v_sub_f32_e32 v21, v19, v20
	v_fma_f32 v19, v17, s3, -v19
	v_fmamk_f32 v19, v17, 0x32a5705f, v19
	v_add_f32_e32 v19, v21, v19
	v_exp_f32_e32 v19, v19
	v_cvt_i32_f32_e32 v20, v20
	s_mov_b32 s3, 0xc2ce8ed0
	v_cmp_ngt_f32_e32 vcc, s3, v17
	s_mov_b32 s3, 0x42b17218
	v_ldexp_f32 v19, v19, v20
	v_cndmask_b32_e32 v19, 0, v19, vcc
	v_mov_b32_e32 v20, 0x7f800000
	v_cmp_nlt_f32_e32 vcc, s3, v17
	s_nop 1
	v_cndmask_b32_e32 v17, v20, v19, vcc
	v_add_f32_e32 v17, 1.0, v17
	v_rcp_f32_e32 v17, v17
	s_nop 0
	v_fma_f32 v17, v17, -2.0, 1.0
.LBB25_876:
	s_andn2_saveexec_b64 s[8:9], s[8:9]
; %bb.877:
	v_mul_f32_e32 v17, v4, v4
	v_mov_b32_e32 v19, 0x3ca908c9
	v_fmac_f32_e32 v19, 0xbbbac73d, v17
	v_fmaak_f32 v19, v17, v19, 0xbd5c1c4e
	v_fmaak_f32 v19, v17, v19, 0x3e088382
	;; [unrolled: 1-line block ×3, first 2 shown]
	v_mul_f32_e64 v19, |v4|, v19
	v_fma_f32 v17, v17, v19, |v4|
; %bb.878:
	s_or_b64 exec, exec, s[8:9]
	s_mov_b32 s3, 0x3f200000
	v_cmp_nlt_f32_e64 s[8:9], |v5|, s3
                                        ; implicit-def: $vgpr19
	s_and_saveexec_b64 s[10:11], s[8:9]
	s_xor_b64 s[8:9], exec, s[10:11]
	s_cbranch_execz .LBB25_880
; %bb.879:
	v_add_f32_e64 v19, |v5|, |v5|
	v_mul_f32_e32 v20, 0x3fb8aa3b, v19
	s_mov_b32 s3, 0x3fb8aa3b
	v_rndne_f32_e32 v21, v20
	v_sub_f32_e32 v22, v20, v21
	v_fma_f32 v20, v19, s3, -v20
	v_fmamk_f32 v20, v19, 0x32a5705f, v20
	v_add_f32_e32 v20, v22, v20
	v_exp_f32_e32 v20, v20
	v_cvt_i32_f32_e32 v21, v21
	s_mov_b32 s3, 0xc2ce8ed0
	v_cmp_ngt_f32_e32 vcc, s3, v19
	s_mov_b32 s3, 0x42b17218
	v_ldexp_f32 v20, v20, v21
	v_cndmask_b32_e32 v20, 0, v20, vcc
	v_mov_b32_e32 v21, 0x7f800000
	v_cmp_nlt_f32_e32 vcc, s3, v19
	s_nop 1
	v_cndmask_b32_e32 v19, v21, v20, vcc
	v_add_f32_e32 v19, 1.0, v19
	v_rcp_f32_e32 v19, v19
	s_nop 0
	v_fma_f32 v19, v19, -2.0, 1.0
.LBB25_880:
	s_andn2_saveexec_b64 s[8:9], s[8:9]
; %bb.881:
	v_mul_f32_e32 v19, v5, v5
	v_mov_b32_e32 v20, 0x3ca908c9
	v_fmac_f32_e32 v20, 0xbbbac73d, v19
	v_fmaak_f32 v20, v19, v20, 0xbd5c1c4e
	v_fmaak_f32 v20, v19, v20, 0x3e088382
	;; [unrolled: 1-line block ×3, first 2 shown]
	v_mul_f32_e64 v20, |v5|, v20
	v_fma_f32 v19, v19, v20, |v5|
; %bb.882:
	s_or_b64 exec, exec, s[8:9]
	s_mov_b32 s3, 0x3f200000
	v_cmp_nlt_f32_e64 s[8:9], |v6|, s3
                                        ; implicit-def: $vgpr20
	s_and_saveexec_b64 s[10:11], s[8:9]
	s_xor_b64 s[8:9], exec, s[10:11]
	s_cbranch_execz .LBB25_884
; %bb.883:
	v_add_f32_e64 v20, |v6|, |v6|
	v_mul_f32_e32 v21, 0x3fb8aa3b, v20
	s_mov_b32 s3, 0x3fb8aa3b
	v_rndne_f32_e32 v22, v21
	v_sub_f32_e32 v23, v21, v22
	v_fma_f32 v21, v20, s3, -v21
	v_fmamk_f32 v21, v20, 0x32a5705f, v21
	v_add_f32_e32 v21, v23, v21
	v_exp_f32_e32 v21, v21
	v_cvt_i32_f32_e32 v22, v22
	s_mov_b32 s3, 0xc2ce8ed0
	v_cmp_ngt_f32_e32 vcc, s3, v20
	s_mov_b32 s3, 0x42b17218
	v_ldexp_f32 v21, v21, v22
	v_cndmask_b32_e32 v21, 0, v21, vcc
	v_mov_b32_e32 v22, 0x7f800000
	v_cmp_nlt_f32_e32 vcc, s3, v20
	s_nop 1
	v_cndmask_b32_e32 v20, v22, v21, vcc
	v_add_f32_e32 v20, 1.0, v20
	v_rcp_f32_e32 v20, v20
	s_nop 0
	v_fma_f32 v20, v20, -2.0, 1.0
.LBB25_884:
	s_andn2_saveexec_b64 s[8:9], s[8:9]
; %bb.885:
	v_mul_f32_e32 v20, v6, v6
	v_mov_b32_e32 v21, 0x3ca908c9
	v_fmac_f32_e32 v21, 0xbbbac73d, v20
	v_fmaak_f32 v21, v20, v21, 0xbd5c1c4e
	v_fmaak_f32 v21, v20, v21, 0x3e088382
	;; [unrolled: 1-line block ×3, first 2 shown]
	v_mul_f32_e64 v21, |v6|, v21
	v_fma_f32 v20, v20, v21, |v6|
; %bb.886:
	s_or_b64 exec, exec, s[8:9]
	s_mov_b32 s3, 0x3f200000
	v_cmp_nlt_f32_e64 s[8:9], |v7|, s3
                                        ; implicit-def: $vgpr21
	s_and_saveexec_b64 s[10:11], s[8:9]
	s_xor_b64 s[8:9], exec, s[10:11]
	s_cbranch_execz .LBB25_888
; %bb.887:
	v_add_f32_e64 v21, |v7|, |v7|
	v_mul_f32_e32 v22, 0x3fb8aa3b, v21
	s_mov_b32 s3, 0x3fb8aa3b
	v_rndne_f32_e32 v23, v22
	v_sub_f32_e32 v24, v22, v23
	v_fma_f32 v22, v21, s3, -v22
	v_fmamk_f32 v22, v21, 0x32a5705f, v22
	v_add_f32_e32 v22, v24, v22
	v_exp_f32_e32 v22, v22
	v_cvt_i32_f32_e32 v23, v23
	s_mov_b32 s3, 0xc2ce8ed0
	v_cmp_ngt_f32_e32 vcc, s3, v21
	s_mov_b32 s3, 0x42b17218
	v_ldexp_f32 v22, v22, v23
	v_cndmask_b32_e32 v22, 0, v22, vcc
	v_mov_b32_e32 v23, 0x7f800000
	v_cmp_nlt_f32_e32 vcc, s3, v21
	s_nop 1
	v_cndmask_b32_e32 v21, v23, v22, vcc
	v_add_f32_e32 v21, 1.0, v21
	v_rcp_f32_e32 v21, v21
	s_nop 0
	v_fma_f32 v21, v21, -2.0, 1.0
.LBB25_888:
	s_andn2_saveexec_b64 s[8:9], s[8:9]
; %bb.889:
	v_mul_f32_e32 v21, v7, v7
	v_mov_b32_e32 v22, 0x3ca908c9
	v_fmac_f32_e32 v22, 0xbbbac73d, v21
	v_fmaak_f32 v22, v21, v22, 0xbd5c1c4e
	v_fmaak_f32 v22, v21, v22, 0x3e088382
	;; [unrolled: 1-line block ×3, first 2 shown]
	v_mul_f32_e64 v22, |v7|, v22
	v_fma_f32 v21, v21, v22, |v7|
; %bb.890:
	s_or_b64 exec, exec, s[8:9]
	s_mov_b32 s3, 0x3f200000
	v_cmp_nlt_f32_e64 s[8:9], |v8|, s3
                                        ; implicit-def: $vgpr22
	s_and_saveexec_b64 s[10:11], s[8:9]
	s_xor_b64 s[8:9], exec, s[10:11]
	s_cbranch_execz .LBB25_892
; %bb.891:
	v_add_f32_e64 v22, |v8|, |v8|
	v_mul_f32_e32 v23, 0x3fb8aa3b, v22
	s_mov_b32 s3, 0x3fb8aa3b
	v_rndne_f32_e32 v24, v23
	v_sub_f32_e32 v25, v23, v24
	v_fma_f32 v23, v22, s3, -v23
	v_fmamk_f32 v23, v22, 0x32a5705f, v23
	v_add_f32_e32 v23, v25, v23
	v_exp_f32_e32 v23, v23
	v_cvt_i32_f32_e32 v24, v24
	s_mov_b32 s3, 0xc2ce8ed0
	v_cmp_ngt_f32_e32 vcc, s3, v22
	s_mov_b32 s3, 0x42b17218
	v_ldexp_f32 v23, v23, v24
	v_cndmask_b32_e32 v23, 0, v23, vcc
	v_mov_b32_e32 v24, 0x7f800000
	v_cmp_nlt_f32_e32 vcc, s3, v22
	s_nop 1
	v_cndmask_b32_e32 v22, v24, v23, vcc
	v_add_f32_e32 v22, 1.0, v22
	v_rcp_f32_e32 v22, v22
	s_nop 0
	v_fma_f32 v22, v22, -2.0, 1.0
.LBB25_892:
	s_andn2_saveexec_b64 s[8:9], s[8:9]
; %bb.893:
	v_mul_f32_e32 v22, v8, v8
	v_mov_b32_e32 v23, 0x3ca908c9
	v_fmac_f32_e32 v23, 0xbbbac73d, v22
	v_fmaak_f32 v23, v22, v23, 0xbd5c1c4e
	v_fmaak_f32 v23, v22, v23, 0x3e088382
	;; [unrolled: 1-line block ×3, first 2 shown]
	v_mul_f32_e64 v23, |v8|, v23
	v_fma_f32 v22, v22, v23, |v8|
; %bb.894:
	s_or_b64 exec, exec, s[8:9]
	s_mov_b32 s3, 0x3f200000
	v_cmp_nlt_f32_e64 s[8:9], |v9|, s3
                                        ; implicit-def: $vgpr23
	s_and_saveexec_b64 s[10:11], s[8:9]
	s_xor_b64 s[8:9], exec, s[10:11]
	s_cbranch_execz .LBB25_896
; %bb.895:
	v_add_f32_e64 v23, |v9|, |v9|
	v_mul_f32_e32 v24, 0x3fb8aa3b, v23
	s_mov_b32 s3, 0x3fb8aa3b
	v_rndne_f32_e32 v25, v24
	v_sub_f32_e32 v26, v24, v25
	v_fma_f32 v24, v23, s3, -v24
	v_fmamk_f32 v24, v23, 0x32a5705f, v24
	v_add_f32_e32 v24, v26, v24
	v_exp_f32_e32 v24, v24
	v_cvt_i32_f32_e32 v25, v25
	s_mov_b32 s3, 0xc2ce8ed0
	v_cmp_ngt_f32_e32 vcc, s3, v23
	s_mov_b32 s3, 0x42b17218
	v_ldexp_f32 v24, v24, v25
	v_cndmask_b32_e32 v24, 0, v24, vcc
	v_mov_b32_e32 v25, 0x7f800000
	v_cmp_nlt_f32_e32 vcc, s3, v23
	s_nop 1
	v_cndmask_b32_e32 v23, v25, v24, vcc
	v_add_f32_e32 v23, 1.0, v23
	v_rcp_f32_e32 v23, v23
	s_nop 0
	v_fma_f32 v23, v23, -2.0, 1.0
.LBB25_896:
	s_andn2_saveexec_b64 s[8:9], s[8:9]
; %bb.897:
	v_mul_f32_e32 v23, v9, v9
	v_mov_b32_e32 v24, 0x3ca908c9
	v_fmac_f32_e32 v24, 0xbbbac73d, v23
	v_fmaak_f32 v24, v23, v24, 0xbd5c1c4e
	v_fmaak_f32 v24, v23, v24, 0x3e088382
	;; [unrolled: 1-line block ×3, first 2 shown]
	v_mul_f32_e64 v24, |v9|, v24
	v_fma_f32 v23, v23, v24, |v9|
; %bb.898:
	s_or_b64 exec, exec, s[8:9]
	s_mov_b32 s3, 0x3f200000
	v_cmp_nlt_f32_e64 s[8:9], |v10|, s3
                                        ; implicit-def: $vgpr27
	s_and_saveexec_b64 s[10:11], s[8:9]
	s_xor_b64 s[8:9], exec, s[10:11]
	s_cbranch_execz .LBB25_900
; %bb.899:
	v_add_f32_e64 v24, |v10|, |v10|
	v_mul_f32_e32 v25, 0x3fb8aa3b, v24
	s_mov_b32 s3, 0x3fb8aa3b
	v_rndne_f32_e32 v26, v25
	v_sub_f32_e32 v27, v25, v26
	v_fma_f32 v25, v24, s3, -v25
	v_fmamk_f32 v25, v24, 0x32a5705f, v25
	v_add_f32_e32 v25, v27, v25
	v_exp_f32_e32 v25, v25
	v_cvt_i32_f32_e32 v26, v26
	s_mov_b32 s3, 0xc2ce8ed0
	v_cmp_ngt_f32_e32 vcc, s3, v24
	s_mov_b32 s3, 0x42b17218
	v_ldexp_f32 v25, v25, v26
	v_cndmask_b32_e32 v25, 0, v25, vcc
	v_mov_b32_e32 v26, 0x7f800000
	v_cmp_nlt_f32_e32 vcc, s3, v24
	s_nop 1
	v_cndmask_b32_e32 v24, v26, v25, vcc
	v_add_f32_e32 v24, 1.0, v24
	v_rcp_f32_e32 v24, v24
	s_nop 0
	v_fma_f32 v27, v24, -2.0, 1.0
.LBB25_900:
	s_andn2_saveexec_b64 s[8:9], s[8:9]
; %bb.901:
	v_mul_f32_e32 v24, v10, v10
	v_mov_b32_e32 v25, 0x3ca908c9
	v_fmac_f32_e32 v25, 0xbbbac73d, v24
	v_fmaak_f32 v25, v24, v25, 0xbd5c1c4e
	v_fmaak_f32 v25, v24, v25, 0x3e088382
	;; [unrolled: 1-line block ×3, first 2 shown]
	v_mul_f32_e64 v25, |v10|, v25
	v_fma_f32 v27, v24, v25, |v10|
; %bb.902:
	s_or_b64 exec, exec, s[8:9]
	s_mov_b32 s3, 0x3f200000
	v_cmp_nlt_f32_e64 s[8:9], |v11|, s3
                                        ; implicit-def: $vgpr35
	s_and_saveexec_b64 s[10:11], s[8:9]
	s_xor_b64 s[8:9], exec, s[10:11]
	s_cbranch_execz .LBB25_904
; %bb.903:
	v_add_f32_e64 v24, |v11|, |v11|
	v_mul_f32_e32 v25, 0x3fb8aa3b, v24
	s_mov_b32 s3, 0x3fb8aa3b
	v_rndne_f32_e32 v26, v25
	v_sub_f32_e32 v28, v25, v26
	v_fma_f32 v25, v24, s3, -v25
	v_fmamk_f32 v25, v24, 0x32a5705f, v25
	v_add_f32_e32 v25, v28, v25
	v_exp_f32_e32 v25, v25
	v_cvt_i32_f32_e32 v26, v26
	s_mov_b32 s3, 0xc2ce8ed0
	v_cmp_ngt_f32_e32 vcc, s3, v24
	s_mov_b32 s3, 0x42b17218
	v_ldexp_f32 v25, v25, v26
	v_cndmask_b32_e32 v25, 0, v25, vcc
	v_mov_b32_e32 v26, 0x7f800000
	v_cmp_nlt_f32_e32 vcc, s3, v24
	s_nop 1
	v_cndmask_b32_e32 v24, v26, v25, vcc
	v_add_f32_e32 v24, 1.0, v24
	v_rcp_f32_e32 v24, v24
	s_nop 0
	v_fma_f32 v35, v24, -2.0, 1.0
.LBB25_904:
	s_andn2_saveexec_b64 s[8:9], s[8:9]
; %bb.905:
	v_mul_f32_e32 v24, v11, v11
	v_mov_b32_e32 v25, 0x3ca908c9
	v_fmac_f32_e32 v25, 0xbbbac73d, v24
	v_fmaak_f32 v25, v24, v25, 0xbd5c1c4e
	v_fmaak_f32 v25, v24, v25, 0x3e088382
	;; [unrolled: 1-line block ×3, first 2 shown]
	v_mul_f32_e64 v25, |v11|, v25
	v_fma_f32 v35, v24, v25, |v11|
; %bb.906:
	s_or_b64 exec, exec, s[8:9]
	s_mov_b32 s3, 0x3f200000
	v_cmp_nlt_f32_e64 s[8:9], |v12|, s3
                                        ; implicit-def: $vgpr28
	s_and_saveexec_b64 s[10:11], s[8:9]
	s_xor_b64 s[8:9], exec, s[10:11]
	s_cbranch_execz .LBB25_908
; %bb.907:
	v_add_f32_e64 v24, |v12|, |v12|
	v_mul_f32_e32 v25, 0x3fb8aa3b, v24
	s_mov_b32 s3, 0x3fb8aa3b
	v_rndne_f32_e32 v26, v25
	v_sub_f32_e32 v28, v25, v26
	v_fma_f32 v25, v24, s3, -v25
	v_fmamk_f32 v25, v24, 0x32a5705f, v25
	v_add_f32_e32 v25, v28, v25
	v_exp_f32_e32 v25, v25
	v_cvt_i32_f32_e32 v26, v26
	s_mov_b32 s3, 0xc2ce8ed0
	v_cmp_ngt_f32_e32 vcc, s3, v24
	s_mov_b32 s3, 0x42b17218
	v_ldexp_f32 v25, v25, v26
	v_cndmask_b32_e32 v25, 0, v25, vcc
	v_mov_b32_e32 v26, 0x7f800000
	v_cmp_nlt_f32_e32 vcc, s3, v24
	s_nop 1
	v_cndmask_b32_e32 v24, v26, v25, vcc
	v_add_f32_e32 v24, 1.0, v24
	v_rcp_f32_e32 v24, v24
	s_nop 0
	v_fma_f32 v28, v24, -2.0, 1.0
.LBB25_908:
	s_andn2_saveexec_b64 s[8:9], s[8:9]
; %bb.909:
	v_mul_f32_e32 v24, v12, v12
	v_mov_b32_e32 v25, 0x3ca908c9
	v_fmac_f32_e32 v25, 0xbbbac73d, v24
	v_fmaak_f32 v25, v24, v25, 0xbd5c1c4e
	v_fmaak_f32 v25, v24, v25, 0x3e088382
	;; [unrolled: 1-line block ×3, first 2 shown]
	v_mul_f32_e64 v25, |v12|, v25
	v_fma_f32 v28, v24, v25, |v12|
; %bb.910:
	s_or_b64 exec, exec, s[8:9]
	s_mov_b32 s3, 0x3f200000
	v_cmp_nlt_f32_e64 s[8:9], |v13|, s3
                                        ; implicit-def: $vgpr29
	s_and_saveexec_b64 s[10:11], s[8:9]
	s_xor_b64 s[8:9], exec, s[10:11]
	s_cbranch_execz .LBB25_912
; %bb.911:
	v_add_f32_e64 v24, |v13|, |v13|
	v_mul_f32_e32 v25, 0x3fb8aa3b, v24
	s_mov_b32 s3, 0x3fb8aa3b
	v_rndne_f32_e32 v26, v25
	v_sub_f32_e32 v29, v25, v26
	v_fma_f32 v25, v24, s3, -v25
	v_fmamk_f32 v25, v24, 0x32a5705f, v25
	v_add_f32_e32 v25, v29, v25
	v_exp_f32_e32 v25, v25
	v_cvt_i32_f32_e32 v26, v26
	s_mov_b32 s3, 0xc2ce8ed0
	v_cmp_ngt_f32_e32 vcc, s3, v24
	s_mov_b32 s3, 0x42b17218
	v_ldexp_f32 v25, v25, v26
	v_cndmask_b32_e32 v25, 0, v25, vcc
	v_mov_b32_e32 v26, 0x7f800000
	v_cmp_nlt_f32_e32 vcc, s3, v24
	s_nop 1
	v_cndmask_b32_e32 v24, v26, v25, vcc
	v_add_f32_e32 v24, 1.0, v24
	v_rcp_f32_e32 v24, v24
	s_nop 0
	v_fma_f32 v29, v24, -2.0, 1.0
.LBB25_912:
	s_andn2_saveexec_b64 s[8:9], s[8:9]
; %bb.913:
	v_mul_f32_e32 v24, v13, v13
	v_mov_b32_e32 v25, 0x3ca908c9
	v_fmac_f32_e32 v25, 0xbbbac73d, v24
	v_fmaak_f32 v25, v24, v25, 0xbd5c1c4e
	v_fmaak_f32 v25, v24, v25, 0x3e088382
	;; [unrolled: 1-line block ×3, first 2 shown]
	v_mul_f32_e64 v25, |v13|, v25
	v_fma_f32 v29, v24, v25, |v13|
; %bb.914:
	s_or_b64 exec, exec, s[8:9]
	s_mov_b32 s3, 0x3f200000
	v_cmp_nlt_f32_e64 s[8:9], |v14|, s3
                                        ; implicit-def: $vgpr30
	s_and_saveexec_b64 s[10:11], s[8:9]
	s_xor_b64 s[8:9], exec, s[10:11]
	s_cbranch_execz .LBB25_916
; %bb.915:
	v_add_f32_e64 v24, |v14|, |v14|
	v_mul_f32_e32 v25, 0x3fb8aa3b, v24
	s_mov_b32 s3, 0x3fb8aa3b
	v_rndne_f32_e32 v26, v25
	v_sub_f32_e32 v30, v25, v26
	v_fma_f32 v25, v24, s3, -v25
	v_fmamk_f32 v25, v24, 0x32a5705f, v25
	v_add_f32_e32 v25, v30, v25
	v_exp_f32_e32 v25, v25
	v_cvt_i32_f32_e32 v26, v26
	s_mov_b32 s3, 0xc2ce8ed0
	v_cmp_ngt_f32_e32 vcc, s3, v24
	s_mov_b32 s3, 0x42b17218
	v_ldexp_f32 v25, v25, v26
	v_cndmask_b32_e32 v25, 0, v25, vcc
	v_mov_b32_e32 v26, 0x7f800000
	v_cmp_nlt_f32_e32 vcc, s3, v24
	s_nop 1
	v_cndmask_b32_e32 v24, v26, v25, vcc
	v_add_f32_e32 v24, 1.0, v24
	v_rcp_f32_e32 v24, v24
	s_nop 0
	v_fma_f32 v30, v24, -2.0, 1.0
.LBB25_916:
	s_andn2_saveexec_b64 s[8:9], s[8:9]
; %bb.917:
	v_mul_f32_e32 v24, v14, v14
	v_mov_b32_e32 v25, 0x3ca908c9
	v_fmac_f32_e32 v25, 0xbbbac73d, v24
	v_fmaak_f32 v25, v24, v25, 0xbd5c1c4e
	v_fmaak_f32 v25, v24, v25, 0x3e088382
	;; [unrolled: 1-line block ×3, first 2 shown]
	v_mul_f32_e64 v25, |v14|, v25
	v_fma_f32 v30, v24, v25, |v14|
; %bb.918:
	s_or_b64 exec, exec, s[8:9]
	s_mov_b32 s3, 0x3f200000
	v_cmp_nlt_f32_e64 s[8:9], |v15|, s3
                                        ; implicit-def: $vgpr31
	s_and_saveexec_b64 s[10:11], s[8:9]
	s_xor_b64 s[8:9], exec, s[10:11]
	s_cbranch_execz .LBB25_920
; %bb.919:
	v_add_f32_e64 v24, |v15|, |v15|
	v_mul_f32_e32 v25, 0x3fb8aa3b, v24
	s_mov_b32 s3, 0x3fb8aa3b
	v_rndne_f32_e32 v26, v25
	v_sub_f32_e32 v31, v25, v26
	v_fma_f32 v25, v24, s3, -v25
	v_fmamk_f32 v25, v24, 0x32a5705f, v25
	v_add_f32_e32 v25, v31, v25
	v_exp_f32_e32 v25, v25
	v_cvt_i32_f32_e32 v26, v26
	s_mov_b32 s3, 0xc2ce8ed0
	v_cmp_ngt_f32_e32 vcc, s3, v24
	s_mov_b32 s3, 0x42b17218
	v_ldexp_f32 v25, v25, v26
	v_cndmask_b32_e32 v25, 0, v25, vcc
	v_mov_b32_e32 v26, 0x7f800000
	v_cmp_nlt_f32_e32 vcc, s3, v24
	s_nop 1
	v_cndmask_b32_e32 v24, v26, v25, vcc
	v_add_f32_e32 v24, 1.0, v24
	v_rcp_f32_e32 v24, v24
	s_nop 0
	v_fma_f32 v31, v24, -2.0, 1.0
.LBB25_920:
	s_andn2_saveexec_b64 s[8:9], s[8:9]
; %bb.921:
	v_mul_f32_e32 v24, v15, v15
	v_mov_b32_e32 v25, 0x3ca908c9
	v_fmac_f32_e32 v25, 0xbbbac73d, v24
	v_fmaak_f32 v25, v24, v25, 0xbd5c1c4e
	v_fmaak_f32 v25, v24, v25, 0x3e088382
	;; [unrolled: 1-line block ×3, first 2 shown]
	v_mul_f32_e64 v25, |v15|, v25
	v_fma_f32 v31, v24, v25, |v15|
; %bb.922:
	s_or_b64 exec, exec, s[8:9]
	s_mov_b32 s3, 0x3f200000
	v_cmp_nlt_f32_e64 s[8:9], |v0|, s3
                                        ; implicit-def: $vgpr24
	s_and_saveexec_b64 s[10:11], s[8:9]
	s_xor_b64 s[8:9], exec, s[10:11]
	s_cbranch_execz .LBB25_924
; %bb.923:
	v_add_f32_e64 v24, |v0|, |v0|
	v_mul_f32_e32 v25, 0x3fb8aa3b, v24
	s_mov_b32 s3, 0x3fb8aa3b
	v_rndne_f32_e32 v26, v25
	v_sub_f32_e32 v32, v25, v26
	v_fma_f32 v25, v24, s3, -v25
	v_fmamk_f32 v25, v24, 0x32a5705f, v25
	v_add_f32_e32 v25, v32, v25
	v_exp_f32_e32 v25, v25
	v_cvt_i32_f32_e32 v26, v26
	s_mov_b32 s3, 0xc2ce8ed0
	v_cmp_ngt_f32_e32 vcc, s3, v24
	s_mov_b32 s3, 0x42b17218
	v_ldexp_f32 v25, v25, v26
	v_cndmask_b32_e32 v25, 0, v25, vcc
	v_mov_b32_e32 v26, 0x7f800000
	v_cmp_nlt_f32_e32 vcc, s3, v24
	s_nop 1
	v_cndmask_b32_e32 v24, v26, v25, vcc
	v_add_f32_e32 v24, 1.0, v24
	v_rcp_f32_e32 v24, v24
	s_nop 0
	v_fma_f32 v24, v24, -2.0, 1.0
.LBB25_924:
	s_andn2_saveexec_b64 s[8:9], s[8:9]
; %bb.925:
	v_mul_f32_e32 v24, v0, v0
	v_mov_b32_e32 v25, 0x3ca908c9
	v_fmac_f32_e32 v25, 0xbbbac73d, v24
	v_fmaak_f32 v25, v24, v25, 0xbd5c1c4e
	v_fmaak_f32 v25, v24, v25, 0x3e088382
	;; [unrolled: 1-line block ×3, first 2 shown]
	v_mul_f32_e64 v25, |v0|, v25
	v_fma_f32 v24, v24, v25, |v0|
; %bb.926:
	s_or_b64 exec, exec, s[8:9]
	s_mov_b32 s3, 0x3f200000
	v_cmp_nlt_f32_e64 s[8:9], |v1|, s3
                                        ; implicit-def: $vgpr25
	s_and_saveexec_b64 s[10:11], s[8:9]
	s_xor_b64 s[8:9], exec, s[10:11]
	s_cbranch_execz .LBB25_928
; %bb.927:
	v_add_f32_e64 v25, |v1|, |v1|
	v_mul_f32_e32 v26, 0x3fb8aa3b, v25
	s_mov_b32 s3, 0x3fb8aa3b
	v_rndne_f32_e32 v32, v26
	v_sub_f32_e32 v33, v26, v32
	v_fma_f32 v26, v25, s3, -v26
	v_fmamk_f32 v26, v25, 0x32a5705f, v26
	v_add_f32_e32 v26, v33, v26
	v_exp_f32_e32 v26, v26
	v_cvt_i32_f32_e32 v32, v32
	s_mov_b32 s3, 0xc2ce8ed0
	v_cmp_ngt_f32_e32 vcc, s3, v25
	s_mov_b32 s3, 0x42b17218
	v_ldexp_f32 v26, v26, v32
	v_cndmask_b32_e32 v26, 0, v26, vcc
	v_mov_b32_e32 v32, 0x7f800000
	v_cmp_nlt_f32_e32 vcc, s3, v25
	s_nop 1
	v_cndmask_b32_e32 v25, v32, v26, vcc
	v_add_f32_e32 v25, 1.0, v25
	v_rcp_f32_e32 v25, v25
	s_nop 0
	v_fma_f32 v25, v25, -2.0, 1.0
.LBB25_928:
	s_andn2_saveexec_b64 s[8:9], s[8:9]
; %bb.929:
	v_mul_f32_e32 v25, v1, v1
	v_mov_b32_e32 v26, 0x3ca908c9
	v_fmac_f32_e32 v26, 0xbbbac73d, v25
	v_fmaak_f32 v26, v25, v26, 0xbd5c1c4e
	v_fmaak_f32 v26, v25, v26, 0x3e088382
	;; [unrolled: 1-line block ×3, first 2 shown]
	v_mul_f32_e64 v26, |v1|, v26
	v_fma_f32 v25, v25, v26, |v1|
; %bb.930:
	s_or_b64 exec, exec, s[8:9]
	s_mov_b32 s3, 0x3f200000
	v_cmp_nlt_f32_e64 s[8:9], |v2|, s3
                                        ; implicit-def: $vgpr26
	s_and_saveexec_b64 s[10:11], s[8:9]
	s_xor_b64 s[8:9], exec, s[10:11]
	s_cbranch_execz .LBB25_932
; %bb.931:
	v_add_f32_e64 v26, |v2|, |v2|
	v_mul_f32_e32 v32, 0x3fb8aa3b, v26
	s_mov_b32 s3, 0x3fb8aa3b
	v_rndne_f32_e32 v33, v32
	v_sub_f32_e32 v34, v32, v33
	v_fma_f32 v32, v26, s3, -v32
	v_fmamk_f32 v32, v26, 0x32a5705f, v32
	v_add_f32_e32 v32, v34, v32
	v_exp_f32_e32 v32, v32
	v_cvt_i32_f32_e32 v33, v33
	s_mov_b32 s3, 0xc2ce8ed0
	v_cmp_ngt_f32_e32 vcc, s3, v26
	s_mov_b32 s3, 0x42b17218
	v_ldexp_f32 v32, v32, v33
	v_cndmask_b32_e32 v32, 0, v32, vcc
	v_mov_b32_e32 v33, 0x7f800000
	v_cmp_nlt_f32_e32 vcc, s3, v26
	s_nop 1
	v_cndmask_b32_e32 v26, v33, v32, vcc
	v_add_f32_e32 v26, 1.0, v26
	v_rcp_f32_e32 v26, v26
	s_nop 0
	v_fma_f32 v26, v26, -2.0, 1.0
.LBB25_932:
	s_andn2_saveexec_b64 s[8:9], s[8:9]
; %bb.933:
	v_mul_f32_e32 v26, v2, v2
	v_mov_b32_e32 v32, 0x3ca908c9
	v_fmac_f32_e32 v32, 0xbbbac73d, v26
	v_fmaak_f32 v32, v26, v32, 0xbd5c1c4e
	v_fmaak_f32 v32, v26, v32, 0x3e088382
	;; [unrolled: 1-line block ×3, first 2 shown]
	v_mul_f32_e64 v32, |v2|, v32
	v_fma_f32 v26, v26, v32, |v2|
; %bb.934:
	s_or_b64 exec, exec, s[8:9]
	s_mov_b32 s3, 0x3f200000
	v_cmp_nlt_f32_e64 s[8:9], |v3|, s3
                                        ; implicit-def: $vgpr41
	s_and_saveexec_b64 s[10:11], s[8:9]
	s_xor_b64 s[8:9], exec, s[10:11]
	s_cbranch_execz .LBB25_936
; %bb.935:
	v_add_f32_e64 v32, |v3|, |v3|
	v_mul_f32_e32 v33, 0x3fb8aa3b, v32
	s_mov_b32 s3, 0x3fb8aa3b
	v_rndne_f32_e32 v34, v33
	v_sub_f32_e32 v36, v33, v34
	v_fma_f32 v33, v32, s3, -v33
	v_fmamk_f32 v33, v32, 0x32a5705f, v33
	v_add_f32_e32 v33, v36, v33
	v_exp_f32_e32 v33, v33
	v_cvt_i32_f32_e32 v34, v34
	s_mov_b32 s3, 0xc2ce8ed0
	v_cmp_ngt_f32_e32 vcc, s3, v32
	s_mov_b32 s3, 0x42b17218
	v_ldexp_f32 v33, v33, v34
	v_cndmask_b32_e32 v33, 0, v33, vcc
	v_mov_b32_e32 v34, 0x7f800000
	v_cmp_nlt_f32_e32 vcc, s3, v32
	s_nop 1
	v_cndmask_b32_e32 v32, v34, v33, vcc
	v_add_f32_e32 v32, 1.0, v32
	v_rcp_f32_e32 v32, v32
	s_nop 0
	v_fma_f32 v41, v32, -2.0, 1.0
.LBB25_936:
	s_andn2_saveexec_b64 s[8:9], s[8:9]
; %bb.937:
	v_mul_f32_e32 v32, v3, v3
	v_mov_b32_e32 v33, 0x3ca908c9
	v_fmac_f32_e32 v33, 0xbbbac73d, v32
	v_fmaak_f32 v33, v32, v33, 0xbd5c1c4e
	v_fmaak_f32 v33, v32, v33, 0x3e088382
	;; [unrolled: 1-line block ×3, first 2 shown]
	v_mul_f32_e64 v33, |v3|, v33
	v_fma_f32 v41, v32, v33, |v3|
; %bb.938:
	s_or_b64 exec, exec, s[8:9]
	s_brev_b32 s3, -2
	v_bfi_b32 v0, s3, v24, v0
	v_mul_f32_e32 v24, s53, v0
	v_bfi_b32 v0, s3, v25, v1
	v_mul_f32_e32 v25, s53, v0
	;; [unrolled: 2-line block ×16, first 2 shown]
	s_and_b64 vcc, exec, s[6:7]
	s_cbranch_vccz .LBB25_940
; %bb.939:
	s_movk_i32 s3, 0x90
	v_lshrrev_b32_e32 v52, 2, v48
	v_mad_u32_u24 v17, v123, s3, 0
	v_and_b32_e32 v15, 0xfc, v52
	v_add_u32_e32 v0, v17, v122
	ds_read_b32 v7, v0 offset:17408
	v_add_u32_e32 v0, 16, v15
	v_lshlrev_b32_e32 v1, 1, v0
	s_movk_i32 s3, 0x4400
	v_add3_u32 v3, v17, v1, s3
	v_add_u32_e32 v1, 32, v15
	v_lshlrev_b32_e32 v4, 1, v1
	v_lshl_add_u32 v2, v15, 1, v17
	v_add3_u32 v4, v17, v4, s3
	ds_read_b32 v9, v2 offset:17408
	ds_read2_b32 v[2:3], v3 offset1:1
	ds_read2_b32 v[4:5], v4 offset1:1
	s_waitcnt lgkmcnt(3)
	v_cvt_f32_f16_e32 v6, v7
	v_cvt_f32_f16_sdwa v7, v7 dst_sel:DWORD dst_unused:UNUSED_PAD src0_sel:WORD_1
	v_add_u32_e32 v14, 48, v15
	s_waitcnt lgkmcnt(1)
	v_cvt_f32_f16_e32 v10, v3
	v_cvt_f32_f16_sdwa v11, v3 dst_sel:DWORD dst_unused:UNUSED_PAD src0_sel:WORD_1
	v_pk_fma_f32 v[22:23], v[50:51], v[6:7], v[38:39] op_sel_hi:[0,1,1]
	v_cvt_f32_f16_e32 v6, v2
	v_cvt_f32_f16_sdwa v7, v2 dst_sel:DWORD dst_unused:UNUSED_PAD src0_sel:WORD_1
	s_waitcnt lgkmcnt(0)
	v_cvt_f32_f16_e32 v2, v5
	v_cvt_f32_f16_sdwa v3, v5 dst_sel:DWORD dst_unused:UNUSED_PAD src0_sel:WORD_1
	v_lshlrev_b32_e32 v5, 1, v14
	v_add3_u32 v5, v17, v5, s3
	v_pk_fma_f32 v[12:13], v[50:51], v[10:11], v[34:35] op_sel_hi:[0,1,1]
	v_pk_fma_f32 v[10:11], v[50:51], v[6:7], v[32:33] op_sel_hi:[0,1,1]
	ds_read2_b32 v[6:7], v5 offset1:1
	v_cvt_f32_f16_e32 v8, v9
	v_cvt_f32_f16_sdwa v9, v9 dst_sel:DWORD dst_unused:UNUSED_PAD src0_sel:WORD_1
	v_cvt_f32_f16_e32 v42, v4
	v_cvt_f32_f16_sdwa v43, v4 dst_sel:DWORD dst_unused:UNUSED_PAD src0_sel:WORD_1
	s_waitcnt lgkmcnt(0)
	v_cvt_f32_f16_e32 v4, v7
	v_pk_fma_f32 v[20:21], v[50:51], v[8:9], v[36:37] op_sel_hi:[0,1,1]
	v_pk_fma_f32 v[8:9], v[50:51], v[2:3], v[30:31] op_sel_hi:[0,1,1]
	v_cvt_f32_f16_e32 v2, v6
	v_cvt_f32_f16_sdwa v5, v7 dst_sel:DWORD dst_unused:UNUSED_PAD src0_sel:WORD_1
	v_cvt_f32_f16_sdwa v3, v6 dst_sel:DWORD dst_unused:UNUSED_PAD src0_sel:WORD_1
	v_add_u32_e32 v19, 18, v15
	v_add_u32_e32 v41, 34, v15
	v_pk_fma_f32 v[6:7], v[50:51], v[42:43], v[28:29] op_sel_hi:[0,1,1]
	v_add_u32_e32 v17, 50, v15
	v_pk_fma_f32 v[4:5], v[50:51], v[4:5], v[26:27] op_sel_hi:[0,1,1]
	v_pk_fma_f32 v[2:3], v[50:51], v[2:3], v[24:25] op_sel_hi:[0,1,1]
	s_mov_b64 s[6:7], 0
	s_branch .LBB25_941
.LBB25_940:
	s_mov_b64 s[6:7], -1
                                        ; implicit-def: $vgpr20_vgpr21_vgpr22_vgpr23
                                        ; implicit-def: $vgpr10_vgpr11_vgpr12_vgpr13
                                        ; implicit-def: $vgpr6_vgpr7_vgpr8_vgpr9
                                        ; implicit-def: $vgpr2_vgpr3_vgpr4_vgpr5
                                        ; implicit-def: $vgpr52
                                        ; implicit-def: $vgpr15
                                        ; implicit-def: $vgpr0
                                        ; implicit-def: $vgpr19
                                        ; implicit-def: $vgpr1
                                        ; implicit-def: $vgpr41
                                        ; implicit-def: $vgpr14
                                        ; implicit-def: $vgpr17
.LBB25_941:
	v_add_u32_e32 v42, 0x1100, v40
	v_add_u32_e32 v44, 0x2200, v40
	s_andn2_b64 vcc, exec, s[6:7]
	v_add_u32_e32 v54, 0x3300, v40
	s_cbranch_vccnz .LBB25_943
; %bb.942:
	v_and_b32_e32 v15, 0xfc, v119
	v_mov_b64_e32 v[2:3], v[24:25]
	v_mov_b64_e32 v[6:7], v[28:29]
	;; [unrolled: 1-line block ×4, first 2 shown]
	v_add_u32_e32 v0, 16, v15
	v_add_u32_e32 v19, 18, v15
	;; [unrolled: 1-line block ×6, first 2 shown]
	v_mov_b32_e32 v52, v119
	v_mov_b64_e32 v[4:5], v[26:27]
	v_mov_b64_e32 v[8:9], v[30:31]
	;; [unrolled: 1-line block ×4, first 2 shown]
.LBB25_943:
	v_add_f32_e32 v24, 0x40051340, v20
	v_max_f32_e32 v25, v51, v51
	v_max_f32_e32 v24, v25, v24
	v_cmp_gt_u32_e64 s[36:37], s42, v15
	v_or_b32_e32 v25, 1, v15
	v_add_f32_e32 v26, 0x40051340, v21
	v_cndmask_b32_e64 v24, v51, v24, s[36:37]
	v_max_f32_e32 v27, v24, v24
	v_max_f32_e32 v26, v27, v26
	v_cmp_gt_u32_e64 s[34:35], s42, v25
	v_or_b32_e32 v25, 2, v15
	v_cmp_gt_u32_e64 s[26:27], s42, v25
	v_cndmask_b32_e64 v24, v24, v26, s[34:35]
	v_add_f32_e32 v26, 0x40051340, v22
	v_max_f32_e32 v27, v24, v24
	v_max_f32_e32 v26, v27, v26
	v_cndmask_b32_e64 v24, v24, v26, s[26:27]
	v_or_b32_e32 v25, 3, v15
	v_add_f32_e32 v26, 0x40051340, v23
	v_max_f32_e32 v27, v24, v24
	v_max_f32_e32 v26, v27, v26
	v_cmp_gt_u32_e64 s[30:31], s42, v25
	v_add_f32_e32 v25, 0x40051340, v10
	v_cmp_gt_u32_e64 s[24:25], s42, v0
	v_cndmask_b32_e64 v24, v24, v26, s[30:31]
	v_max_f32_e32 v26, v24, v24
	v_max_f32_e32 v25, v26, v25
	v_cndmask_b32_e64 v0, v24, v25, s[24:25]
	v_add_u32_e32 v24, 17, v15
	v_add_f32_e32 v25, 0x40051340, v11
	v_max_f32_e32 v26, v0, v0
	v_max_f32_e32 v25, v26, v25
	v_cmp_gt_u32_e64 s[22:23], s42, v24
	v_add_f32_e32 v24, 0x40051340, v12
	v_cmp_gt_u32_e64 s[20:21], s42, v19
	v_cndmask_b32_e64 v0, v0, v25, s[22:23]
	v_max_f32_e32 v25, v0, v0
	v_max_f32_e32 v24, v25, v24
	v_cndmask_b32_e64 v0, v0, v24, s[20:21]
	v_add_u32_e32 v19, 19, v15
	;; [unrolled: 11-line block ×5, first 2 shown]
	v_add_f32_e32 v14, 0x40051340, v3
	v_max_f32_e32 v19, v0, v0
	v_max_f32_e32 v14, v19, v14
	v_cmp_gt_u32_e64 s[8:9], s42, v1
	v_add_f32_e32 v1, 0x40051340, v4
	v_cmp_gt_u32_e32 vcc, s42, v17
	v_cndmask_b32_e64 v0, v0, v14, s[8:9]
	v_max_f32_e32 v14, v0, v0
	v_max_f32_e32 v1, v14, v1
	v_cndmask_b32_e32 v14, v0, v1, vcc
	s_mul_hi_i32 s3, s2, s96
	s_mul_i32 s2, s2, s96
	v_add_f32_e32 v0, 0x40051340, v5
	v_max_f32_e32 v1, v14, v14
	s_lshl_b64 s[2:3], s[2:3], 2
	v_max_f32_e32 v33, v1, v0
	s_add_u32 s2, s33, s2
	v_mul_lo_u32 v0, s96, v18
	s_addc_u32 s3, s48, s3
	v_ashrrev_i32_e32 v1, 31, v0
	s_mov_b64 s[40:41], src_private_base
	v_lshl_add_u64 v[18:19], v[0:1], 2, s[2:3]
	v_mov_b32_e32 v17, 0
	v_lshl_add_u64 v[18:19], v[18:19], 0, v[16:17]
	v_mov_b32_e32 v36, s41
	v_mov_b32_e32 v37, 0
	v_cndmask_b32_e64 v25, v36, v19, s[28:29]
	v_cndmask_b32_e64 v24, v37, v18, s[28:29]
	s_lshl_b32 s28, s96, 4
	v_add_u32_e32 v0, s28, v0
	v_ashrrev_i32_e32 v1, 31, v0
	v_lshl_add_u64 v[18:19], v[0:1], 2, s[2:3]
	v_add_u32_e32 v0, s28, v0
	v_ashrrev_i32_e32 v1, 31, v0
	v_lshl_add_u64 v[26:27], v[18:19], 0, v[16:17]
	v_lshl_add_u64 v[18:19], v[0:1], 2, s[2:3]
	v_add_u32_e32 v0, s28, v0
	v_ashrrev_i32_e32 v1, 31, v0
	v_lshl_add_u64 v[0:1], v[0:1], 2, s[2:3]
	v_lshl_add_u64 v[28:29], v[18:19], 0, v[16:17]
	;; [unrolled: 1-line block ×3, first 2 shown]
	v_mov_b32_e32 v16, v17
	v_mov_b32_e32 v18, v17
	;; [unrolled: 1-line block ×3, first 2 shown]
	scratch_store_dwordx4 off, v[16:19], off
	flat_load_dwordx4 v[16:19], v[24:25]
	v_add_u32_e32 v32, 51, v15
	v_cmp_gt_u32_e64 s[28:29], s42, v32
	v_mbcnt_hi_u32_b32 v1, -1, v114
	v_xor_b32_e32 v24, 32, v1
	v_cndmask_b32_e64 v0, v14, v33, s[28:29]
	v_and_b32_e32 v14, 64, v1
	v_add_u32_e32 v14, 64, v14
	v_cmp_lt_i32_e64 s[2:3], v24, v14
	s_mov_b32 s42, 0x3fb8aa3b
	s_mov_b32 s40, 0xc2ce8ed0
	v_cndmask_b32_e64 v24, v1, v24, s[2:3]
	v_lshlrev_b32_e32 v35, 2, v24
	ds_bpermute_b32 v24, v35, v0
	v_max_f32_e32 v0, v0, v0
	s_mov_b32 s41, 0x42b17218
	v_mov_b32_e32 v38, 0x7f800000
	v_cndmask_b32_e64 v29, v36, v29, s[38:39]
	s_waitcnt lgkmcnt(0)
	v_max_f32_e32 v24, v24, v24
	v_max_f32_e32 v0, v0, v24
	v_xor_b32_e32 v24, 16, v1
	v_cmp_lt_i32_e64 s[2:3], v24, v14
	v_cndmask_b32_e64 v28, v37, v28, s[38:39]
	s_mov_b32 s33, 0
	v_cndmask_b32_e64 v1, v1, v24, s[2:3]
	v_lshlrev_b32_e32 v41, 2, v1
	ds_bpermute_b32 v1, v41, v0
	v_cndmask_b32_e64 v31, v36, v31, s[0:1]
	v_cndmask_b32_e64 v30, v37, v30, s[0:1]
	s_waitcnt lgkmcnt(0)
	v_max_f32_e32 v1, v1, v1
	v_max_f32_e32 v34, v0, v1
	v_sub_f32_e32 v0, v20, v34
	v_mul_f32_e32 v1, 0x3fb8aa3b, v0
	v_fma_f32 v14, v0, s42, -v1
	v_rndne_f32_e32 v20, v1
	v_fmac_f32_e32 v14, 0x32a5705f, v0
	v_sub_f32_e32 v1, v1, v20
	v_add_f32_e32 v1, v1, v14
	v_exp_f32_e32 v1, v1
	v_cvt_i32_f32_e32 v14, v20
	v_cmp_ngt_f32_e64 s[2:3], s40, v0
	v_sub_f32_e32 v25, v23, v34
	v_sub_f32_e32 v10, v10, v34
	v_ldexp_f32 v1, v1, v14
	v_sub_f32_e32 v14, v21, v34
	v_mul_f32_e32 v20, 0x3fb8aa3b, v14
	v_fma_f32 v21, v14, s42, -v20
	v_rndne_f32_e32 v24, v20
	v_fmac_f32_e32 v21, 0x32a5705f, v14
	v_sub_f32_e32 v20, v20, v24
	v_add_f32_e32 v20, v20, v21
	v_exp_f32_e32 v20, v20
	v_cvt_i32_f32_e32 v21, v24
	v_cndmask_b32_e64 v1, 0, v1, s[2:3]
	v_cmp_nlt_f32_e64 s[2:3], s41, v0
	v_sub_f32_e32 v24, v22, v34
	v_sub_f32_e32 v11, v11, v34
	v_cndmask_b32_e64 v0, v38, v1, s[2:3]
	v_ldexp_f32 v1, v20, v21
	v_mul_f32_e32 v20, 0x3fb8aa3b, v24
	v_fma_f32 v21, v24, s42, -v20
	v_rndne_f32_e32 v22, v20
	v_fmac_f32_e32 v21, 0x32a5705f, v24
	v_sub_f32_e32 v20, v20, v22
	v_add_f32_e32 v20, v20, v21
	v_exp_f32_e32 v20, v20
	v_cvt_i32_f32_e32 v21, v22
	v_cmp_ngt_f32_e64 s[2:3], s40, v14
	v_sub_f32_e32 v12, v12, v34
	v_sub_f32_e32 v13, v13, v34
	v_cndmask_b32_e64 v1, 0, v1, s[2:3]
	v_cmp_nlt_f32_e64 s[2:3], s41, v14
	v_ldexp_f32 v14, v20, v21
	v_cndmask_b32_e64 v21, v36, v27, s[4:5]
	v_cndmask_b32_e64 v20, v37, v26, s[4:5]
	;; [unrolled: 1-line block ×3, first 2 shown]
	v_cmp_ngt_f32_e64 s[2:3], s40, v24
	v_sub_f32_e32 v6, v6, v34
	s_waitcnt vmcnt(0)
	ds_write_b128 v40, v[16:19]
	flat_load_dwordx4 v[16:19], v[20:21]
	v_mul_f32_e32 v20, 0x3fb8aa3b, v25
	v_fma_f32 v21, v25, s42, -v20
	v_rndne_f32_e32 v23, v20
	v_fmac_f32_e32 v21, 0x32a5705f, v25
	v_sub_f32_e32 v20, v20, v23
	v_add_f32_e32 v20, v20, v21
	v_exp_f32_e32 v20, v20
	v_cvt_i32_f32_e32 v21, v23
	v_cndmask_b32_e64 v14, 0, v14, s[2:3]
	v_cmp_nlt_f32_e64 s[2:3], s41, v24
	v_sub_f32_e32 v7, v7, v34
	v_ldexp_f32 v20, v20, v21
	v_mul_f32_e32 v21, 0x3fb8aa3b, v10
	v_fma_f32 v24, v10, s42, -v21
	v_rndne_f32_e32 v26, v21
	v_fmac_f32_e32 v24, 0x32a5705f, v10
	v_sub_f32_e32 v21, v21, v26
	v_add_f32_e32 v21, v21, v24
	v_exp_f32_e32 v27, v21
	v_cvt_i32_f32_e32 v26, v26
	v_cndmask_b32_e64 v23, v38, v14, s[2:3]
	v_cmp_ngt_f32_e64 s[2:3], s40, v25
	v_mov_b32_e32 v21, s33
	v_sub_f32_e32 v8, v8, v34
	v_cndmask_b32_e64 v20, 0, v20, s[2:3]
	v_cmp_nlt_f32_e64 s[2:3], s41, v25
	v_mul_f32_e32 v25, 0x3fb8aa3b, v11
	v_sub_f32_e32 v9, v9, v34
	v_cndmask_b32_e64 v24, v38, v20, s[2:3]
	v_cndmask_b32_e64 v20, v21, v24, s[30:31]
	v_ldexp_f32 v21, v27, v26
	v_fma_f32 v26, v11, s42, -v25
	v_rndne_f32_e32 v27, v25
	v_fmac_f32_e32 v26, 0x32a5705f, v11
	v_sub_f32_e32 v25, v25, v27
	v_add_f32_e32 v25, v25, v26
	v_exp_f32_e32 v26, v25
	v_cvt_i32_f32_e32 v27, v27
	v_cmp_ngt_f32_e64 s[2:3], s40, v10
	v_sub_f32_e32 v2, v2, v34
	v_sub_f32_e32 v3, v3, v34
	v_cndmask_b32_e64 v21, 0, v21, s[2:3]
	v_cmp_nlt_f32_e64 s[2:3], s41, v10
	v_cmp_ngt_f32_e64 s[0:1], s40, v2
	v_sub_f32_e32 v4, v4, v34
	v_cndmask_b32_e64 v25, v38, v21, s[2:3]
	v_ldexp_f32 v21, v26, v27
	v_mul_f32_e32 v26, 0x3fb8aa3b, v12
	v_fma_f32 v27, v12, s42, -v26
	v_rndne_f32_e32 v32, v26
	v_fmac_f32_e32 v27, 0x32a5705f, v12
	v_sub_f32_e32 v26, v26, v32
	v_add_f32_e32 v26, v26, v27
	v_exp_f32_e32 v26, v26
	v_cvt_i32_f32_e32 v32, v32
	v_cmp_ngt_f32_e64 s[2:3], s40, v11
	v_sub_f32_e32 v5, v5, v34
	v_mov_b32_e32 v1, s33
	v_cndmask_b32_e64 v21, 0, v21, s[2:3]
	v_cmp_nlt_f32_e64 s[2:3], s41, v11
	v_mov_b32_e32 v14, s33
	v_cndmask_b32_e64 v0, 0, v0, s[36:37]
	v_cndmask_b32_e64 v27, v38, v21, s[2:3]
	v_ldexp_f32 v21, v26, v32
	v_mul_f32_e32 v26, 0x3fb8aa3b, v13
	v_fma_f32 v32, v13, s42, -v26
	v_rndne_f32_e32 v33, v26
	v_fmac_f32_e32 v32, 0x32a5705f, v13
	v_sub_f32_e32 v26, v26, v33
	v_add_f32_e32 v26, v26, v32
	v_exp_f32_e32 v32, v26
	v_cvt_i32_f32_e32 v33, v33
	v_cmp_ngt_f32_e64 s[2:3], s40, v12
	v_cndmask_b32_e64 v1, v1, v22, s[34:35]
	v_cndmask_b32_e64 v14, v14, v23, s[26:27]
	;; [unrolled: 1-line block ×3, first 2 shown]
	v_cmp_nlt_f32_e64 s[2:3], s41, v12
	v_mov_b32_e32 v10, s33
	v_mov_b32_e32 v11, s33
	s_waitcnt vmcnt(0) lgkmcnt(0)
	ds_write_b128 v42, v[16:19]
	flat_load_dwordx4 v[16:19], v[28:29]
	v_mul_f32_e32 v28, 0x3fb8aa3b, v6
	v_cndmask_b32_e64 v26, v38, v21, s[2:3]
	v_ldexp_f32 v21, v32, v33
	v_fma_f32 v29, v6, s42, -v28
	v_rndne_f32_e32 v32, v28
	v_fmac_f32_e32 v29, 0x32a5705f, v6
	v_sub_f32_e32 v28, v28, v32
	v_add_f32_e32 v28, v28, v29
	v_exp_f32_e32 v29, v28
	v_cvt_i32_f32_e32 v32, v32
	v_cmp_ngt_f32_e64 s[2:3], s40, v13
	v_mov_b32_e32 v12, s33
	v_cndmask_b32_e64 v10, v10, v25, s[24:25]
	v_cndmask_b32_e64 v21, 0, v21, s[2:3]
	v_cmp_nlt_f32_e64 s[2:3], s41, v13
	v_mov_b32_e32 v13, s33
	v_cndmask_b32_e64 v11, v11, v27, s[22:23]
	v_cndmask_b32_e64 v28, v38, v21, s[2:3]
	v_ldexp_f32 v21, v29, v32
	v_mul_f32_e32 v29, 0x3fb8aa3b, v7
	v_fma_f32 v32, v7, s42, -v29
	v_rndne_f32_e32 v33, v29
	v_fmac_f32_e32 v32, 0x32a5705f, v7
	v_sub_f32_e32 v29, v29, v33
	v_add_f32_e32 v29, v29, v32
	v_exp_f32_e32 v32, v29
	v_cvt_i32_f32_e32 v33, v33
	v_cmp_ngt_f32_e64 s[2:3], s40, v6
	v_cndmask_b32_e64 v12, v12, v26, s[20:21]
	v_cndmask_b32_e64 v13, v13, v28, s[16:17]
	;; [unrolled: 1-line block ×3, first 2 shown]
	v_cmp_nlt_f32_e64 s[2:3], s41, v6
	v_mov_b32_e32 v6, s33
	s_waitcnt vmcnt(0) lgkmcnt(0)
	ds_write_b128 v44, v[16:19]
	v_cndmask_b32_e64 v29, v38, v21, s[2:3]
	v_ldexp_f32 v21, v32, v33
	v_mul_f32_e32 v32, 0x3fb8aa3b, v8
	v_fma_f32 v33, v8, s42, -v32
	v_rndne_f32_e32 v39, v32
	v_fmac_f32_e32 v33, 0x32a5705f, v8
	v_sub_f32_e32 v32, v32, v39
	v_add_f32_e32 v32, v32, v33
	v_exp_f32_e32 v32, v32
	v_cvt_i32_f32_e32 v33, v39
	v_cmp_ngt_f32_e64 s[2:3], s40, v7
	v_mul_f32_e32 v17, 0x3fb8aa3b, v3
	v_fma_f32 v18, v3, s42, -v17
	v_cndmask_b32_e64 v21, 0, v21, s[2:3]
	v_cmp_nlt_f32_e64 s[2:3], s41, v7
	v_rndne_f32_e32 v19, v17
	v_fmac_f32_e32 v18, 0x32a5705f, v3
	v_cndmask_b32_e64 v42, v38, v21, s[2:3]
	v_ldexp_f32 v21, v32, v33
	v_mul_f32_e32 v32, 0x3fb8aa3b, v9
	v_fma_f32 v33, v9, s42, -v32
	v_rndne_f32_e32 v39, v32
	v_fmac_f32_e32 v33, 0x32a5705f, v9
	v_sub_f32_e32 v32, v32, v39
	v_add_f32_e32 v32, v32, v33
	v_exp_f32_e32 v32, v32
	v_cvt_i32_f32_e32 v33, v39
	v_cmp_ngt_f32_e64 s[2:3], s40, v8
	v_sub_f32_e32 v17, v17, v19
	v_add_f32_e32 v17, v17, v18
	v_cndmask_b32_e64 v21, 0, v21, s[2:3]
	v_cmp_nlt_f32_e64 s[2:3], s41, v8
	v_exp_f32_e32 v17, v17
	v_cvt_i32_f32_e32 v18, v19
	v_cndmask_b32_e64 v43, v38, v21, s[2:3]
	v_ldexp_f32 v21, v32, v33
	v_cmp_ngt_f32_e64 s[2:3], s40, v9
	v_mov_b32_e32 v7, s33
	v_mov_b32_e32 v8, s33
	v_cndmask_b32_e64 v21, 0, v21, s[2:3]
	v_cmp_nlt_f32_e64 s[2:3], s41, v9
	v_mul_f32_e32 v9, 0x3fb8aa3b, v2
	v_rndne_f32_e32 v32, v9
	v_cndmask_b32_e64 v40, v38, v21, s[2:3]
	v_fma_f32 v21, v2, s42, -v9
	v_sub_f32_e32 v9, v9, v32
	v_cvt_i32_f32_e32 v39, v32
	flat_load_dwordx4 v[30:33], v[30:31]
	v_fmac_f32_e32 v21, 0x32a5705f, v2
	v_add_f32_e32 v9, v9, v21
	v_exp_f32_e32 v21, v9
	v_mov_b32_e32 v9, s33
	v_cndmask_b32_e64 v6, v6, v29, s[18:19]
	v_cndmask_b32_e64 v7, v7, v42, s[14:15]
	v_ldexp_f32 v16, v21, v39
	v_cndmask_b32_e64 v16, 0, v16, s[0:1]
	v_cmp_nlt_f32_e64 s[0:1], s41, v2
	v_cndmask_b32_e64 v8, v8, v43, s[12:13]
	v_cndmask_b32_e64 v9, v9, v40, s[10:11]
	v_cndmask_b32_e64 v45, v38, v16, s[0:1]
	v_ldexp_f32 v16, v17, v18
	v_mul_f32_e32 v17, 0x3fb8aa3b, v4
	v_fma_f32 v18, v4, s42, -v17
	v_rndne_f32_e32 v19, v17
	v_fmac_f32_e32 v18, 0x32a5705f, v4
	v_sub_f32_e32 v17, v17, v19
	v_add_f32_e32 v17, v17, v18
	v_exp_f32_e32 v17, v17
	v_cvt_i32_f32_e32 v18, v19
	v_cmp_ngt_f32_e64 s[0:1], s40, v3
	v_mov_b32_e32 v2, s33
	v_cndmask_b32_e64 v2, v2, v45, s[6:7]
	v_cndmask_b32_e64 v16, 0, v16, s[0:1]
	v_cmp_nlt_f32_e64 s[0:1], s41, v3
	v_mov_b32_e32 v3, s33
	s_waitcnt vmcnt(0) lgkmcnt(0)
	ds_write_b128 v54, v[30:33]
	v_cndmask_b32_e64 v47, v38, v16, s[0:1]
	v_ldexp_f32 v16, v17, v18
	v_cmp_ngt_f32_e64 s[0:1], s40, v4
	v_sub_f32_e32 v18, v51, v34
	s_waitcnt lgkmcnt(0)
	v_cndmask_b32_e64 v16, 0, v16, s[0:1]
	v_cmp_nlt_f32_e64 s[0:1], s41, v4
	v_mul_f32_e32 v4, 0x3fb8aa3b, v5
	v_rndne_f32_e32 v17, v4
	v_cndmask_b32_e64 v44, v38, v16, s[0:1]
	v_fma_f32 v16, v5, s42, -v4
	v_fmac_f32_e32 v16, 0x32a5705f, v5
	v_sub_f32_e32 v4, v4, v17
	v_add_f32_e32 v4, v4, v16
	v_exp_f32_e32 v16, v4
	v_mul_f32_e32 v4, 0x3fb8aa3b, v18
	v_fma_f32 v19, v18, s42, -v4
	v_rndne_f32_e32 v21, v4
	v_fmac_f32_e32 v19, 0x32a5705f, v18
	v_sub_f32_e32 v4, v4, v21
	v_add_f32_e32 v4, v4, v19
	v_cvt_i32_f32_e32 v17, v17
	v_exp_f32_e32 v19, v4
	v_cvt_i32_f32_e32 v21, v21
	v_cmp_ngt_f32_e64 s[0:1], s40, v18
	v_ldexp_f32 v16, v16, v17
	s_barrier
	v_ldexp_f32 v17, v19, v21
	v_cndmask_b32_e64 v17, 0, v17, s[0:1]
	v_cmp_nlt_f32_e64 s[0:1], s41, v18
	v_mov_b32_e32 v33, s33
	s_nop 0
	v_cndmask_b32_e64 v17, v38, v17, s[0:1]
	s_mov_b32 s0, 0xc1a00000
	v_cmp_le_f32_e64 s[0:1], s0, v18
	v_mov_b32_e32 v4, s33
	v_cndmask_b32_e64 v3, v3, v47, s[8:9]
	v_cndmask_b32_e64 v50, 0, v17, s[0:1]
	v_cvt_f16_f32_e32 v17, v50
	v_cmp_ngt_f32_e64 s[0:1], s40, v5
	v_cndmask_b32_e32 v4, v4, v44, vcc
	v_mul_u32_u24_e32 v53, 0x10001, v17
	v_cndmask_b32_e64 v16, 0, v16, s[0:1]
	v_cmp_nlt_f32_e64 s[0:1], s41, v5
	v_mul_u32_u24_e32 v5, 0x110, v15
	v_or_b32_e32 v15, 3, v52
	v_cndmask_b32_e64 v51, v38, v16, s[0:1]
	v_lshlrev_b32_e32 v16, 1, v113
	v_mul_i32_i24_e32 v15, 0x110, v15
	v_add3_u32 v5, 0, v5, v16
	v_add3_u32 v15, 0, v15, v16
	s_mov_b32 s0, 0x5040100
	ds_read_u16 v30, v5 offset:544
	ds_read_u16 v21, v5 offset:576
	;; [unrolled: 1-line block ×8, first 2 shown]
	ds_read_u16 v31, v15
	ds_read_u16 v58, v15 offset:32
	ds_read_u16 v59, v15 offset:64
	;; [unrolled: 1-line block ×7, first 2 shown]
	v_pk_mul_f16 v17, v111, v53
	v_pk_mul_f16 v19, v110, v53
	s_waitcnt lgkmcnt(7)
	v_perm_b32 v37, v31, v30, s0
	ds_read_u16 v30, v5
	ds_read_u16 v66, v5 offset:32
	ds_read_u16 v67, v5 offset:64
	;; [unrolled: 1-line block ×15, first 2 shown]
	s_waitcnt lgkmcnt(7)
	v_perm_b32 v36, v31, v30, s0
	v_cvt_f32_f16_e32 v16, v17
	v_cvt_f32_f16_sdwa v17, v17 dst_sel:DWORD dst_unused:UNUSED_PAD src0_sel:WORD_1
	v_cvt_f32_f16_e32 v18, v19
	v_cvt_f32_f16_sdwa v19, v19 dst_sel:DWORD dst_unused:UNUSED_PAD src0_sel:WORD_1
	v_cvt_pk_f16_f32 v31, v14, v20
	v_cvt_pk_f16_f32 v30, v0, v1
	v_pk_mul_f16 v109, v109, v53
	v_pk_mul_f16 v108, v108, v53
	v_mfma_f32_16x16x16_f16 v[16:19], v[36:37], v[30:31], v[16:19]
	v_perm_b32 v55, v61, v55, s0
	s_nop 6
	v_cvt_f16_f32_e32 v1, v16
	v_cvt_f16_f32_e32 v14, v17
	v_cvt_f16_f32_e32 v18, v18
	v_cvt_f16_f32_e32 v19, v19
	v_cvt_f32_f16_e32 v16, v1
	v_cvt_f32_f16_e32 v17, v14
	ds_read_u16 v1, v5 offset:4896
	ds_read_u16 v14, v5 offset:4928
	;; [unrolled: 1-line block ×16, first 2 shown]
	s_waitcnt lgkmcnt(7)
	v_perm_b32 v37, v32, v1, s0
	ds_read_u16 v1, v5 offset:4352
	ds_read_u16 v92, v5 offset:4384
	;; [unrolled: 1-line block ×16, first 2 shown]
	s_waitcnt lgkmcnt(7)
	v_perm_b32 v36, v32, v1, s0
	v_cvt_f32_f16_e32 v18, v18
	v_cvt_f32_f16_e32 v19, v19
	v_cndmask_b32_e64 v1, v33, v51, s[28:29]
	v_cvt_pk_f16_f32 v33, v12, v13
	v_cvt_pk_f16_f32 v32, v10, v11
	;; [unrolled: 1-line block ×3, first 2 shown]
	s_nop 0
	v_mfma_f32_16x16x16_f16 v[10:13], v[36:37], v[32:33], v[16:19]
	s_nop 2
	ds_read_u16 v16, v5 offset:9248
	ds_read_u16 v18, v5 offset:9280
	;; [unrolled: 1-line block ×16, first 2 shown]
	s_waitcnt lgkmcnt(7)
	v_perm_b32 v17, v17, v16, s0
	ds_read_u16 v16, v5 offset:8704
	ds_read_u16 v134, v5 offset:8736
	ds_read_u16 v135, v5 offset:8768
	ds_read_u16 v136, v5 offset:8800
	ds_read_u16 v137, v5 offset:8832
	ds_read_u16 v138, v5 offset:8864
	ds_read_u16 v139, v5 offset:8896
	ds_read_u16 v140, v5 offset:8928
	ds_read_u16 v36, v5 offset:8976
	ds_read_u16 v141, v5 offset:9008
	ds_read_u16 v142, v5 offset:9040
	ds_read_u16 v143, v5 offset:9072
	ds_read_u16 v144, v5 offset:9104
	ds_read_u16 v145, v5 offset:9136
	ds_read_u16 v146, v5 offset:9168
	ds_read_u16 v147, v5 offset:9200
	v_cvt_f16_f32_e32 v10, v10
	v_cvt_f16_f32_e32 v11, v11
	;; [unrolled: 1-line block ×4, first 2 shown]
	s_waitcnt lgkmcnt(7)
	v_perm_b32 v16, v36, v16, s0
	v_cvt_f32_f16_e32 v10, v10
	v_cvt_f32_f16_e32 v11, v11
	;; [unrolled: 1-line block ×4, first 2 shown]
	v_cvt_pk_f16_f32 v37, v8, v9
	v_cvt_pk_f16_f32 v36, v6, v7
	s_nop 1
	v_mfma_f32_16x16x16_f16 v[6:9], v[16:17], v[36:37], v[10:13]
	s_nop 2
	ds_read_u16 v10, v5 offset:13600
	ds_read_u16 v12, v5 offset:13632
	;; [unrolled: 1-line block ×16, first 2 shown]
	s_waitcnt lgkmcnt(7)
	v_perm_b32 v11, v11, v10, s0
	ds_read_u16 v10, v5 offset:13056
	ds_read_u16 v15, v5 offset:13088
	;; [unrolled: 1-line block ×16, first 2 shown]
	v_cvt_f16_f32_e32 v6, v6
	v_cvt_f16_f32_e32 v7, v7
	;; [unrolled: 1-line block ×4, first 2 shown]
	s_waitcnt lgkmcnt(7)
	v_perm_b32 v10, v38, v10, s0
	v_cvt_f32_f16_e32 v6, v6
	v_cvt_f32_f16_e32 v7, v7
	;; [unrolled: 1-line block ×4, first 2 shown]
	v_cvt_pk_f16_f32 v38, v2, v3
	s_waitcnt lgkmcnt(0)
	s_barrier
	v_mfma_f32_16x16x16_f16 v[2:5], v[10:11], v[38:39], v[6:9]
	v_perm_b32 v11, v58, v21, s0
	v_perm_b32 v10, v73, v66, s0
	v_pk_mul_f16 v21, v124, v53
	v_cvt_f32_f16_e32 v6, v109
	v_cvt_f32_f16_sdwa v7, v109 dst_sel:DWORD dst_unused:UNUSED_PAD src0_sel:WORD_1
	v_cvt_f32_f16_e32 v8, v108
	v_cvt_f32_f16_sdwa v9, v108 dst_sel:DWORD dst_unused:UNUSED_PAD src0_sel:WORD_1
	s_nop 1
	v_mfma_f32_16x16x16_f16 v[6:9], v[10:11], v[30:31], v[6:9]
	v_perm_b32 v11, v85, v14, s0
	v_perm_b32 v10, v99, v92, s0
	;; [unrolled: 1-line block ×3, first 2 shown]
	s_barrier
	s_nop 3
	v_cvt_f16_f32_e32 v1, v6
	v_cvt_f16_f32_e32 v7, v7
	;; [unrolled: 1-line block ×4, first 2 shown]
	v_cvt_f32_f16_e32 v6, v1
	v_cvt_f32_f16_e32 v7, v7
	;; [unrolled: 1-line block ×4, first 2 shown]
	s_nop 1
	v_mfma_f32_16x16x16_f16 v[6:9], v[10:11], v[32:33], v[6:9]
	v_perm_b32 v11, v119, v18, s0
	v_perm_b32 v10, v141, v134, s0
	;; [unrolled: 1-line block ×3, first 2 shown]
	s_nop 4
	v_cvt_f16_f32_e32 v1, v6
	v_cvt_f16_f32_e32 v7, v7
	;; [unrolled: 1-line block ×4, first 2 shown]
	v_cvt_f32_f16_e32 v6, v1
	v_cvt_f32_f16_e32 v7, v7
	;; [unrolled: 1-line block ×4, first 2 shown]
	s_nop 1
	v_mfma_f32_16x16x16_f16 v[6:9], v[10:11], v[36:37], v[6:9]
	v_perm_b32 v11, v13, v12, s0
	v_perm_b32 v10, v177, v15, s0
	v_pk_mul_f16 v13, v128, v53
	v_perm_b32 v15, v59, v52, s0
	s_nop 3
	v_cvt_f16_f32_e32 v1, v6
	v_cvt_f16_f32_e32 v7, v7
	;; [unrolled: 1-line block ×4, first 2 shown]
	v_cvt_f32_f16_e32 v6, v1
	v_cvt_f32_f16_e32 v7, v7
	;; [unrolled: 1-line block ×4, first 2 shown]
	v_pk_mul_f16 v1, v129, v53
	v_cvt_f32_f16_e32 v12, v13
	v_mfma_f32_16x16x16_f16 v[6:9], v[10:11], v[38:39], v[6:9]
	v_cvt_f32_f16_e32 v10, v1
	v_cvt_f32_f16_sdwa v11, v1 dst_sel:DWORD dst_unused:UNUSED_PAD src0_sel:WORD_1
	v_cvt_f32_f16_sdwa v13, v13 dst_sel:DWORD dst_unused:UNUSED_PAD src0_sel:WORD_1
	v_pk_mul_f16 v52, v120, v53
	s_nop 0
	v_mfma_f32_16x16x16_f16 v[10:13], v[14:15], v[30:31], v[10:13]
	v_perm_b32 v15, v86, v20, s0
	v_perm_b32 v14, v100, v93, s0
	v_cvt_f32_f16_e32 v20, v21
	v_cvt_f32_f16_sdwa v21, v21 dst_sel:DWORD dst_unused:UNUSED_PAD src0_sel:WORD_1
	s_nop 3
	v_cvt_f16_f32_e32 v1, v10
	v_cvt_f16_f32_e32 v11, v11
	;; [unrolled: 1-line block ×4, first 2 shown]
	v_cvt_f32_f16_e32 v10, v1
	v_cvt_f32_f16_e32 v11, v11
	;; [unrolled: 1-line block ×4, first 2 shown]
	v_cvt_f32_f16_sdwa v61, v52 dst_sel:DWORD dst_unused:UNUSED_PAD src0_sel:WORD_1
	s_nop 0
	v_mfma_f32_16x16x16_f16 v[10:13], v[14:15], v[32:33], v[10:13]
	v_perm_b32 v15, v122, v19, s0
	v_perm_b32 v14, v142, v135, s0
	;; [unrolled: 1-line block ×4, first 2 shown]
	s_nop 3
	v_cvt_f16_f32_e32 v1, v10
	v_cvt_f16_f32_e32 v11, v11
	;; [unrolled: 1-line block ×4, first 2 shown]
	v_cvt_f32_f16_e32 v10, v1
	v_cvt_f32_f16_e32 v11, v11
	;; [unrolled: 1-line block ×5, first 2 shown]
	s_nop 0
	v_mfma_f32_16x16x16_f16 v[10:13], v[14:15], v[36:37], v[10:13]
	v_perm_b32 v15, v17, v16, s0
	v_perm_b32 v14, v178, v158, s0
	v_pk_mul_f16 v17, v126, v53
	s_nop 0
	v_cvt_f32_f16_e32 v16, v17
	s_nop 2
	v_cvt_f16_f32_e32 v1, v10
	v_cvt_f16_f32_e32 v11, v11
	;; [unrolled: 1-line block ×4, first 2 shown]
	v_cvt_f32_f16_e32 v10, v1
	v_cvt_f32_f16_e32 v11, v11
	;; [unrolled: 1-line block ×4, first 2 shown]
	v_pk_mul_f16 v1, v127, v53
	v_cvt_f32_f16_sdwa v17, v17 dst_sel:DWORD dst_unused:UNUSED_PAD src0_sel:WORD_1
	v_mfma_f32_16x16x16_f16 v[10:13], v[14:15], v[38:39], v[10:13]
	v_cvt_f32_f16_e32 v14, v1
	v_cvt_f32_f16_sdwa v15, v1 dst_sel:DWORD dst_unused:UNUSED_PAD src0_sel:WORD_1
	s_nop 1
	v_mfma_f32_16x16x16_f16 v[14:17], v[18:19], v[30:31], v[14:17]
	v_perm_b32 v19, v87, v80, s0
	v_perm_b32 v18, v101, v94, s0
	s_nop 5
	v_cvt_f16_f32_e32 v1, v14
	v_cvt_f16_f32_e32 v15, v15
	v_cvt_f16_f32_e32 v16, v16
	v_cvt_f16_f32_e32 v17, v17
	v_cvt_f32_f16_e32 v14, v1
	v_cvt_f32_f16_e32 v15, v15
	v_cvt_f32_f16_e32 v16, v16
	v_cvt_f32_f16_e32 v17, v17
	s_nop 1
	v_mfma_f32_16x16x16_f16 v[14:17], v[18:19], v[32:33], v[14:17]
	v_perm_b32 v19, v123, v106, s0
	v_perm_b32 v18, v143, v136, s0
	s_nop 5
	v_cvt_f16_f32_e32 v1, v14
	v_cvt_f16_f32_e32 v15, v15
	v_cvt_f16_f32_e32 v16, v16
	v_cvt_f16_f32_e32 v17, v17
	v_cvt_f32_f16_e32 v14, v1
	v_cvt_f32_f16_e32 v15, v15
	v_cvt_f32_f16_e32 v16, v16
	v_cvt_f32_f16_e32 v17, v17
	;; [unrolled: 13-line block ×3, first 2 shown]
	v_pk_mul_f16 v1, v125, v53
	s_nop 0
	v_mfma_f32_16x16x16_f16 v[14:17], v[18:19], v[38:39], v[14:17]
	v_cvt_f32_f16_e32 v18, v1
	v_cvt_f32_f16_sdwa v19, v1 dst_sel:DWORD dst_unused:UNUSED_PAD src0_sel:WORD_1
	s_nop 1
	v_mfma_f32_16x16x16_f16 v[18:21], v[54:55], v[30:31], v[18:21]
	v_perm_b32 v55, v88, v81, s0
	v_perm_b32 v54, v102, v95, s0
	s_nop 5
	v_cvt_f16_f32_e32 v1, v18
	v_cvt_f16_f32_e32 v19, v19
	v_cvt_f16_f32_e32 v20, v20
	v_cvt_f16_f32_e32 v21, v21
	v_cvt_f32_f16_e32 v18, v1
	v_cvt_f32_f16_e32 v19, v19
	v_cvt_f32_f16_e32 v20, v20
	v_cvt_f32_f16_e32 v21, v21
	s_nop 1
	v_mfma_f32_16x16x16_f16 v[18:21], v[54:55], v[32:33], v[18:21]
	v_perm_b32 v55, v130, v107, s0
	v_perm_b32 v54, v144, v137, s0
	s_nop 5
	v_cvt_f16_f32_e32 v1, v18
	v_cvt_f16_f32_e32 v19, v19
	v_cvt_f16_f32_e32 v20, v20
	v_cvt_f16_f32_e32 v21, v21
	v_cvt_f32_f16_e32 v18, v1
	v_cvt_f32_f16_e32 v19, v19
	v_cvt_f32_f16_e32 v20, v20
	v_cvt_f32_f16_e32 v21, v21
	;; [unrolled: 13-line block ×3, first 2 shown]
	v_pk_mul_f16 v1, v121, v53
	s_nop 0
	v_mfma_f32_16x16x16_f16 v[18:21], v[54:55], v[38:39], v[18:21]
	v_perm_b32 v55, v63, v56, s0
	v_perm_b32 v54, v77, v70, s0
	v_cvt_f32_f16_e32 v58, v1
	v_cvt_f32_f16_sdwa v59, v1 dst_sel:DWORD dst_unused:UNUSED_PAD src0_sel:WORD_1
	v_add_f32_e32 v1, v22, v0
	v_cndmask_b32_e64 v22, v0, v1, s[34:35]
	v_mfma_f32_16x16x16_f16 v[58:61], v[54:55], v[30:31], v[58:61]
	v_add_f32_e32 v23, v22, v23
	v_cndmask_b32_e64 v22, v22, v23, s[26:27]
	v_add_f32_e32 v23, v22, v24
	v_cndmask_b32_e64 v22, v22, v23, s[30:31]
	s_nop 3
	v_cvt_f16_f32_e32 v0, v58
	v_cvt_f16_f32_e32 v1, v59
	;; [unrolled: 1-line block ×4, first 2 shown]
	v_cvt_f32_f16_e32 v58, v0
	v_cvt_f32_f16_e32 v59, v1
	v_perm_b32 v1, v89, v82, s0
	v_perm_b32 v0, v103, v96, s0
	v_cvt_f32_f16_e32 v60, v52
	v_cvt_f32_f16_e32 v61, v54
	s_nop 1
	v_mfma_f32_16x16x16_f16 v[58:61], v[0:1], v[32:33], v[58:61]
	s_nop 7
	v_cvt_f16_f32_e32 v0, v58
	v_cvt_f16_f32_e32 v1, v59
	;; [unrolled: 1-line block ×4, first 2 shown]
	v_cvt_f32_f16_e32 v58, v0
	v_cvt_f32_f16_e32 v59, v1
	v_perm_b32 v1, v131, v110, s0
	v_perm_b32 v0, v145, v138, s0
	v_cvt_f32_f16_e32 v60, v23
	v_cvt_f32_f16_e32 v61, v24
	v_add_f32_e32 v23, v25, v22
	v_cndmask_b32_e64 v52, v22, v23, s[24:25]
	v_mfma_f32_16x16x16_f16 v[22:25], v[0:1], v[36:37], v[58:61]
	v_add_f32_e32 v27, v27, v52
	v_cndmask_b32_e64 v27, v52, v27, s[22:23]
	v_pk_mul_f16 v52, v118, v53
	v_pk_mul_f16 v58, v117, v53
	s_nop 3
	v_cvt_f16_f32_e32 v0, v22
	v_cvt_f16_f32_e32 v1, v23
	;; [unrolled: 1-line block ×4, first 2 shown]
	v_cvt_f32_f16_e32 v22, v0
	v_cvt_f32_f16_e32 v23, v1
	v_perm_b32 v1, v155, v150, s0
	v_perm_b32 v0, v181, v174, s0
	v_cvt_f32_f16_e32 v24, v24
	v_cvt_f32_f16_e32 v25, v25
	;; [unrolled: 1-line block ×3, first 2 shown]
	v_cvt_f32_f16_sdwa v55, v52 dst_sel:DWORD dst_unused:UNUSED_PAD src0_sel:WORD_1
	v_mfma_f32_16x16x16_f16 v[22:25], v[0:1], v[38:39], v[22:25]
	v_perm_b32 v1, v64, v57, s0
	v_perm_b32 v0, v78, v71, s0
	v_cvt_f32_f16_e32 v56, v58
	v_cvt_f32_f16_sdwa v57, v58 dst_sel:DWORD dst_unused:UNUSED_PAD src0_sel:WORD_1
	v_add_f32_e32 v26, v26, v27
	v_cndmask_b32_e64 v26, v27, v26, s[20:21]
	v_mfma_f32_16x16x16_f16 v[54:57], v[0:1], v[30:31], v[54:57]
	v_add_f32_e32 v27, v28, v26
	v_cndmask_b32_e64 v26, v26, v27, s[16:17]
	v_add_f32_e32 v27, v29, v26
	s_nop 4
	v_cvt_f16_f32_e32 v0, v54
	v_cvt_f16_f32_e32 v1, v55
	;; [unrolled: 1-line block ×4, first 2 shown]
	v_cvt_f32_f16_e32 v54, v0
	v_cvt_f32_f16_e32 v55, v1
	v_perm_b32 v1, v90, v83, s0
	v_perm_b32 v0, v104, v97, s0
	v_cvt_f32_f16_e32 v56, v28
	v_cvt_f32_f16_e32 v57, v52
	v_cndmask_b32_e64 v52, v26, v27, s[18:19]
	v_add_f32_e32 v42, v42, v52
	v_mfma_f32_16x16x16_f16 v[26:29], v[0:1], v[32:33], v[54:57]
	v_cndmask_b32_e64 v42, v52, v42, s[14:15]
	v_add_f32_e32 v43, v43, v42
	v_cndmask_b32_e64 v42, v42, v43, s[12:13]
	v_pk_mul_f16 v43, v116, v53
	s_nop 3
	v_cvt_f16_f32_e32 v0, v26
	v_cvt_f16_f32_e32 v1, v27
	;; [unrolled: 1-line block ×4, first 2 shown]
	v_cvt_f32_f16_e32 v26, v0
	v_cvt_f32_f16_e32 v27, v1
	v_perm_b32 v1, v132, v111, s0
	v_perm_b32 v0, v146, v139, s0
	v_cvt_f32_f16_e32 v28, v28
	v_cvt_f32_f16_e32 v29, v29
	v_pk_mul_f16 v55, v115, v53
	v_cvt_f32_f16_e32 v52, v43
	v_mfma_f32_16x16x16_f16 v[26:29], v[0:1], v[36:37], v[26:29]
	v_cvt_f32_f16_sdwa v53, v43 dst_sel:DWORD dst_unused:UNUSED_PAD src0_sel:WORD_1
	v_cvt_f32_f16_e32 v54, v55
	v_cvt_f32_f16_sdwa v55, v55 dst_sel:DWORD dst_unused:UNUSED_PAD src0_sel:WORD_1
	v_add_f32_e32 v40, v40, v42
	s_nop 3
	v_cvt_f16_f32_e32 v0, v26
	v_cvt_f16_f32_e32 v1, v27
	;; [unrolled: 1-line block ×4, first 2 shown]
	v_cvt_f32_f16_e32 v26, v0
	v_cvt_f32_f16_e32 v27, v1
	v_perm_b32 v1, v156, v151, s0
	v_perm_b32 v0, v182, v175, s0
	v_cvt_f32_f16_e32 v28, v28
	v_cvt_f32_f16_e32 v29, v29
	v_cndmask_b32_e64 v40, v42, v40, s[10:11]
	v_add_f32_e32 v42, v45, v40
	v_mfma_f32_16x16x16_f16 v[26:29], v[0:1], v[38:39], v[26:29]
	v_perm_b32 v1, v65, v62, s0
	v_perm_b32 v0, v79, v72, s0
	s_nop 1
	v_mfma_f32_16x16x16_f16 v[52:55], v[0:1], v[30:31], v[52:55]
	s_nop 7
	v_cvt_f16_f32_e32 v0, v52
	v_cvt_f16_f32_e32 v1, v53
	;; [unrolled: 1-line block ×4, first 2 shown]
	v_cvt_f32_f16_e32 v52, v0
	v_cvt_f32_f16_e32 v53, v1
	v_perm_b32 v1, v91, v84, s0
	v_perm_b32 v0, v105, v98, s0
	v_cvt_f32_f16_e32 v54, v30
	v_cvt_f32_f16_e32 v55, v31
	v_cndmask_b32_e64 v30, v40, v42, s[6:7]
	v_add_f32_e32 v31, v47, v30
	v_cndmask_b32_e64 v40, v30, v31, s[8:9]
	v_mfma_f32_16x16x16_f16 v[30:33], v[0:1], v[32:33], v[52:55]
	v_add_f32_e32 v42, v44, v40
	v_cndmask_b32_e32 v40, v40, v42, vcc
	v_add_f32_e32 v42, v51, v40
	v_cmp_lt_u32_e32 vcc, 15, v48
	s_nop 3
	v_cvt_f16_f32_e32 v0, v30
	v_cvt_f16_f32_e32 v1, v31
	;; [unrolled: 1-line block ×4, first 2 shown]
	v_cvt_f32_f16_e32 v30, v0
	v_cvt_f32_f16_e32 v31, v1
	v_perm_b32 v1, v133, v114, s0
	v_perm_b32 v0, v147, v140, s0
	v_cvt_f32_f16_e32 v32, v32
	v_cvt_f32_f16_e32 v33, v33
	s_nop 1
	v_mfma_f32_16x16x16_f16 v[30:33], v[0:1], v[36:37], v[30:33]
	v_cndmask_b32_e64 v36, v40, v42, s[28:29]
	v_fmac_f32_e32 v36, v46, v50
	ds_bpermute_b32 v35, v35, v36
	s_nop 4
	v_cvt_f16_f32_e32 v0, v30
	v_cvt_f16_f32_e32 v1, v31
	;; [unrolled: 1-line block ×4, first 2 shown]
	v_cvt_f32_f16_e32 v30, v0
	v_cvt_f32_f16_e32 v31, v1
	v_perm_b32 v1, v157, v152, s0
	v_perm_b32 v0, v183, v176, s0
	v_cvt_f32_f16_e32 v32, v32
	v_cvt_f32_f16_e32 v33, v33
	s_nop 1
	v_mfma_f32_16x16x16_f16 v[30:33], v[0:1], v[38:39], v[30:33]
	s_waitcnt lgkmcnt(0)
	v_add_f32_e32 v1, v36, v35
	ds_bpermute_b32 v35, v41, v1
                                        ; implicit-def: $vgpr0
	s_and_saveexec_b64 s[0:1], vcc
	s_xor_b64 s[0:1], exec, s[0:1]
; %bb.944:
	v_lshlrev_b32_e32 v0, 4, v172
                                        ; implicit-def: $vgpr1
                                        ; implicit-def: $vgpr35
                                        ; implicit-def: $vgpr34
; %bb.945:
	s_or_saveexec_b64 s[0:1], s[0:1]
	v_readlane_b32 s4, v254, 31
	v_readlane_b32 s14, v254, 41
	;; [unrolled: 1-line block ×5, first 2 shown]
	s_mov_b64 s[14:15], s[18:19]
	v_add_u32_e32 v36, 12, v172
	v_add_u32_e32 v37, 8, v172
	;; [unrolled: 1-line block ×3, first 2 shown]
	v_readlane_b32 s5, v254, 32
	v_readlane_b32 s6, v254, 33
	;; [unrolled: 1-line block ×11, first 2 shown]
	s_xor_b64 exec, exec, s[0:1]
	s_cbranch_execz .LBB25_947
; %bb.946:
	s_add_i32 s2, s44, s43
	s_lshl_b32 s2, s2, 6
	s_mov_b32 s3, 0
	v_lshlrev_b32_e32 v0, 4, v172
	s_lshl_b64 s[2:3], s[2:3], 3
	s_waitcnt lgkmcnt(0)
	v_add_f32_e32 v35, v1, v35
	v_or_b32_e32 v1, v0, v48
	s_add_u32 s2, s14, s2
	s_addc_u32 s3, s15, s3
	v_lshlrev_b32_e32 v1, 3, v1
	global_store_dwordx2 v1, v[34:35], s[2:3]
.LBB25_947:
	s_or_b64 exec, exec, s[0:1]
	v_readlane_b32 s4, v254, 8
	v_readlane_b32 s5, v254, 9
	s_load_dword s0, s[4:5], 0x0
	s_load_dword s2, s[4:5], 0x10
	v_or_b32_e32 v0, v0, v113
	v_mul_i32_i24_e32 v0, 0x110, v0
	v_cvt_pk_f16_f32 v1, v4, v5
	v_cvt_pk_f16_f32 v2, v2, v3
	s_waitcnt lgkmcnt(0)
	s_lshr_b32 s2, s2, 16
	s_cmp_lg_u32 s2, 0
	s_cselect_b64 s[2:3], -1, 0
	v_cvt_pk_f16_f32 v4, v6, v7
	s_movk_i32 s4, 0x110
	v_add3_u32 v0, 0, v0, v112
	s_cmp_lg_u64 s[2:3], 0
	v_cvt_pk_f16_f32 v3, v8, v9
	v_cvt_pk_f16_f32 v5, v12, v13
	;; [unrolled: 1-line block ×13, first 2 shown]
	s_addc_u32 s0, s0, 0
	ds_write2_b32 v0, v2, v1 offset1:1
	ds_write2_b32 v0, v4, v3 offset0:8 offset1:9
	ds_write2_b32 v0, v6, v5 offset0:16 offset1:17
	;; [unrolled: 1-line block ×7, first 2 shown]
	v_mad_u32_u24 v4, v172, s4, v49
	s_mov_b32 s1, 0
	s_lshl_b32 s0, s0, 7
	s_waitcnt lgkmcnt(0)
	s_barrier
	ds_read_b32 v1, v4
	ds_read_b32 v3, v4 offset:1088
	ds_read_b32 v5, v4 offset:2176
	;; [unrolled: 1-line block ×7, first 2 shown]
	s_lshl_b32 s2, s43, 12
	s_mov_b32 s3, s1
	s_lshl_b64 s[0:1], s[0:1], 3
	s_waitcnt lgkmcnt(7)
	v_cvt_f32_f16_e32 v0, v1
	v_cvt_f32_f16_sdwa v1, v1 dst_sel:DWORD dst_unused:UNUSED_PAD src0_sel:WORD_1
	s_add_u32 s5, s14, s0
	v_lshlrev_b32_e32 v2, 6, v172
	s_addc_u32 s6, s15, s1
	s_lshl_b64 s[0:1], s[2:3], 3
	v_add_lshl_u32 v11, v2, v48, 3
	s_waitcnt lgkmcnt(6)
	v_cvt_f32_f16_e32 v2, v3
	v_cvt_f32_f16_sdwa v3, v3 dst_sel:DWORD dst_unused:UNUSED_PAD src0_sel:WORD_1
	s_add_u32 s0, s5, s0
	s_addc_u32 s1, s6, s1
	v_pk_add_f32 v[0:1], v[0:1], 0 op_sel_hi:[1,0]
	global_store_dwordx2 v11, v[0:1], s[0:1]
	v_lshlrev_b32_e32 v0, 6, v38
	v_add_lshl_u32 v11, v0, v48, 3
	v_pk_add_f32 v[0:1], v[2:3], 0 op_sel_hi:[1,0]
	s_waitcnt lgkmcnt(5)
	v_cvt_f32_f16_e32 v2, v5
	v_cvt_f32_f16_sdwa v3, v5 dst_sel:DWORD dst_unused:UNUSED_PAD src0_sel:WORD_1
	global_store_dwordx2 v11, v[0:1], s[0:1]
	v_lshlrev_b32_e32 v0, 6, v37
	v_add_lshl_u32 v5, v0, v48, 3
	v_pk_add_f32 v[0:1], v[2:3], 0 op_sel_hi:[1,0]
	s_waitcnt lgkmcnt(4)
	v_cvt_f32_f16_e32 v2, v6
	v_cvt_f32_f16_sdwa v3, v6 dst_sel:DWORD dst_unused:UNUSED_PAD src0_sel:WORD_1
	global_store_dwordx2 v5, v[0:1], s[0:1]
	v_lshlrev_b32_e32 v0, 6, v36
	v_add_lshl_u32 v5, v0, v48, 3
	v_pk_add_f32 v[0:1], v[2:3], 0 op_sel_hi:[1,0]
	v_and_b32_e32 v2, 15, v172
	s_movk_i32 s2, 0x7f0
	v_and_or_b32 v3, v171, s2, v2
	v_and_or_b32 v6, v167, s2, v2
	v_mad_u32_u24 v3, v3, s4, v49
	v_mad_u32_u24 v6, v6, s4, v49
	v_and_or_b32 v2, v163, s2, v2
	v_mad_u32_u24 v2, v2, s4, v49
	ds_read_b32 v3, v3
	ds_read_b32 v6, v6
	ds_read_b32 v11, v4 offset:10880
	ds_read_b32 v12, v4 offset:11968
	ds_read_b32 v13, v2
	ds_read_b32 v14, v4 offset:14144
	ds_read_b32 v15, v4 offset:15232
	;; [unrolled: 1-line block ×3, first 2 shown]
	s_waitcnt lgkmcnt(7)
	v_cvt_f32_f16_e32 v2, v3
	v_cvt_f32_f16_sdwa v3, v3 dst_sel:DWORD dst_unused:UNUSED_PAD src0_sel:WORD_1
	global_store_dwordx2 v5, v[0:1], s[0:1]
	v_lshlrev_b32_e32 v0, 6, v171
	v_add_lshl_u32 v5, v0, v48, 3
	v_pk_add_f32 v[0:1], v[2:3], 0 op_sel_hi:[1,0]
	v_cvt_f32_f16_e32 v2, v7
	v_cvt_f32_f16_sdwa v3, v7 dst_sel:DWORD dst_unused:UNUSED_PAD src0_sel:WORD_1
	global_store_dwordx2 v5, v[0:1], s[0:1]
	v_lshlrev_b32_e32 v0, 6, v170
	v_add_lshl_u32 v5, v0, v48, 3
	v_pk_add_f32 v[0:1], v[2:3], 0 op_sel_hi:[1,0]
	;; [unrolled: 6-line block ×4, first 2 shown]
	s_waitcnt lgkmcnt(6)
	v_cvt_f32_f16_e32 v2, v6
	v_cvt_f32_f16_sdwa v3, v6 dst_sel:DWORD dst_unused:UNUSED_PAD src0_sel:WORD_1
	global_store_dwordx2 v5, v[0:1], s[0:1]
	v_lshlrev_b32_e32 v0, 6, v167
	v_add_lshl_u32 v5, v0, v48, 3
	v_pk_add_f32 v[0:1], v[2:3], 0 op_sel_hi:[1,0]
	v_cvt_f32_f16_e32 v2, v10
	v_cvt_f32_f16_sdwa v3, v10 dst_sel:DWORD dst_unused:UNUSED_PAD src0_sel:WORD_1
	global_store_dwordx2 v5, v[0:1], s[0:1]
	v_lshlrev_b32_e32 v0, 6, v166
	v_add_lshl_u32 v5, v0, v48, 3
	v_pk_add_f32 v[0:1], v[2:3], 0 op_sel_hi:[1,0]
	s_waitcnt lgkmcnt(5)
	v_cvt_f32_f16_e32 v2, v11
	v_cvt_f32_f16_sdwa v3, v11 dst_sel:DWORD dst_unused:UNUSED_PAD src0_sel:WORD_1
	global_store_dwordx2 v5, v[0:1], s[0:1]
	v_lshlrev_b32_e32 v0, 6, v165
	v_add_lshl_u32 v5, v0, v48, 3
	v_pk_add_f32 v[0:1], v[2:3], 0 op_sel_hi:[1,0]
	s_waitcnt lgkmcnt(4)
	;; [unrolled: 7-line block ×6, first 2 shown]
	v_cvt_f32_f16_e32 v2, v4
	v_cvt_f32_f16_sdwa v3, v4 dst_sel:DWORD dst_unused:UNUSED_PAD src0_sel:WORD_1
	global_store_dwordx2 v5, v[0:1], s[0:1]
	v_lshlrev_b32_e32 v0, 6, v160
	v_add_lshl_u32 v4, v0, v48, 3
	v_pk_add_f32 v[0:1], v[2:3], 0 op_sel_hi:[1,0]
	global_store_dwordx2 v4, v[0:1], s[0:1]
.LBB25_948:
	s_endpgm
	.section	.rodata,"a",@progbits
	.p2align	6, 0x0
	.amdhsa_kernel _ZL18flash_attn_ext_f16ILi128ELi128ELi64ELi1ELb1ELb0EEvPKcS1_S1_S1_S1_PKiPfP15HIP_vector_typeIfLj2EEffffjfiS5_IjLj3EEiiiiiiiiiiiliiliiiiil
		.amdhsa_group_segment_fixed_size 0
		.amdhsa_private_segment_fixed_size 192
		.amdhsa_kernarg_size 464
		.amdhsa_user_sgpr_count 2
		.amdhsa_user_sgpr_dispatch_ptr 0
		.amdhsa_user_sgpr_queue_ptr 0
		.amdhsa_user_sgpr_kernarg_segment_ptr 1
		.amdhsa_user_sgpr_dispatch_id 0
		.amdhsa_user_sgpr_kernarg_preload_length 0
		.amdhsa_user_sgpr_kernarg_preload_offset 0
		.amdhsa_user_sgpr_private_segment_size 0
		.amdhsa_uses_dynamic_stack 0
		.amdhsa_enable_private_segment 1
		.amdhsa_system_sgpr_workgroup_id_x 1
		.amdhsa_system_sgpr_workgroup_id_y 0
		.amdhsa_system_sgpr_workgroup_id_z 0
		.amdhsa_system_sgpr_workgroup_info 0
		.amdhsa_system_vgpr_workitem_id 1
		.amdhsa_next_free_vgpr 256
		.amdhsa_next_free_sgpr 100
		.amdhsa_accum_offset 256
		.amdhsa_reserve_vcc 1
		.amdhsa_float_round_mode_32 0
		.amdhsa_float_round_mode_16_64 0
		.amdhsa_float_denorm_mode_32 3
		.amdhsa_float_denorm_mode_16_64 3
		.amdhsa_dx10_clamp 1
		.amdhsa_ieee_mode 1
		.amdhsa_fp16_overflow 0
		.amdhsa_tg_split 0
		.amdhsa_exception_fp_ieee_invalid_op 0
		.amdhsa_exception_fp_denorm_src 0
		.amdhsa_exception_fp_ieee_div_zero 0
		.amdhsa_exception_fp_ieee_overflow 0
		.amdhsa_exception_fp_ieee_underflow 0
		.amdhsa_exception_fp_ieee_inexact 0
		.amdhsa_exception_int_div_zero 0
	.end_amdhsa_kernel
	.section	.text._ZL18flash_attn_ext_f16ILi128ELi128ELi64ELi1ELb1ELb0EEvPKcS1_S1_S1_S1_PKiPfP15HIP_vector_typeIfLj2EEffffjfiS5_IjLj3EEiiiiiiiiiiiliiliiiiil,"axG",@progbits,_ZL18flash_attn_ext_f16ILi128ELi128ELi64ELi1ELb1ELb0EEvPKcS1_S1_S1_S1_PKiPfP15HIP_vector_typeIfLj2EEffffjfiS5_IjLj3EEiiiiiiiiiiiliiliiiiil,comdat
.Lfunc_end25:
	.size	_ZL18flash_attn_ext_f16ILi128ELi128ELi64ELi1ELb1ELb0EEvPKcS1_S1_S1_S1_PKiPfP15HIP_vector_typeIfLj2EEffffjfiS5_IjLj3EEiiiiiiiiiiiliiliiiiil, .Lfunc_end25-_ZL18flash_attn_ext_f16ILi128ELi128ELi64ELi1ELb1ELb0EEvPKcS1_S1_S1_S1_PKiPfP15HIP_vector_typeIfLj2EEffffjfiS5_IjLj3EEiiiiiiiiiiiliiliiiiil
                                        ; -- End function
	.set _ZL18flash_attn_ext_f16ILi128ELi128ELi64ELi1ELb1ELb0EEvPKcS1_S1_S1_S1_PKiPfP15HIP_vector_typeIfLj2EEffffjfiS5_IjLj3EEiiiiiiiiiiiliiliiiiil.num_vgpr, 256
	.set _ZL18flash_attn_ext_f16ILi128ELi128ELi64ELi1ELb1ELb0EEvPKcS1_S1_S1_S1_PKiPfP15HIP_vector_typeIfLj2EEffffjfiS5_IjLj3EEiiiiiiiiiiiliiliiiiil.num_agpr, 0
	.set _ZL18flash_attn_ext_f16ILi128ELi128ELi64ELi1ELb1ELb0EEvPKcS1_S1_S1_S1_PKiPfP15HIP_vector_typeIfLj2EEffffjfiS5_IjLj3EEiiiiiiiiiiiliiliiiiil.numbered_sgpr, 100
	.set _ZL18flash_attn_ext_f16ILi128ELi128ELi64ELi1ELb1ELb0EEvPKcS1_S1_S1_S1_PKiPfP15HIP_vector_typeIfLj2EEffffjfiS5_IjLj3EEiiiiiiiiiiiliiliiiiil.num_named_barrier, 0
	.set _ZL18flash_attn_ext_f16ILi128ELi128ELi64ELi1ELb1ELb0EEvPKcS1_S1_S1_S1_PKiPfP15HIP_vector_typeIfLj2EEffffjfiS5_IjLj3EEiiiiiiiiiiiliiliiiiil.private_seg_size, 192
	.set _ZL18flash_attn_ext_f16ILi128ELi128ELi64ELi1ELb1ELb0EEvPKcS1_S1_S1_S1_PKiPfP15HIP_vector_typeIfLj2EEffffjfiS5_IjLj3EEiiiiiiiiiiiliiliiiiil.uses_vcc, 1
	.set _ZL18flash_attn_ext_f16ILi128ELi128ELi64ELi1ELb1ELb0EEvPKcS1_S1_S1_S1_PKiPfP15HIP_vector_typeIfLj2EEffffjfiS5_IjLj3EEiiiiiiiiiiiliiliiiiil.uses_flat_scratch, 0
	.set _ZL18flash_attn_ext_f16ILi128ELi128ELi64ELi1ELb1ELb0EEvPKcS1_S1_S1_S1_PKiPfP15HIP_vector_typeIfLj2EEffffjfiS5_IjLj3EEiiiiiiiiiiiliiliiiiil.has_dyn_sized_stack, 0
	.set _ZL18flash_attn_ext_f16ILi128ELi128ELi64ELi1ELb1ELb0EEvPKcS1_S1_S1_S1_PKiPfP15HIP_vector_typeIfLj2EEffffjfiS5_IjLj3EEiiiiiiiiiiiliiliiiiil.has_recursion, 0
	.set _ZL18flash_attn_ext_f16ILi128ELi128ELi64ELi1ELb1ELb0EEvPKcS1_S1_S1_S1_PKiPfP15HIP_vector_typeIfLj2EEffffjfiS5_IjLj3EEiiiiiiiiiiiliiliiiiil.has_indirect_call, 0
	.section	.AMDGPU.csdata,"",@progbits
; Kernel info:
; codeLenInByte = 98620
; TotalNumSgprs: 106
; NumVgprs: 256
; NumAgprs: 0
; TotalNumVgprs: 256
; ScratchSize: 192
; MemoryBound: 0
; FloatMode: 240
; IeeeMode: 1
; LDSByteSize: 0 bytes/workgroup (compile time only)
; SGPRBlocks: 13
; VGPRBlocks: 31
; NumSGPRsForWavesPerEU: 106
; NumVGPRsForWavesPerEU: 256
; AccumOffset: 256
; Occupancy: 2
; WaveLimiterHint : 0
; COMPUTE_PGM_RSRC2:SCRATCH_EN: 1
; COMPUTE_PGM_RSRC2:USER_SGPR: 2
; COMPUTE_PGM_RSRC2:TRAP_HANDLER: 0
; COMPUTE_PGM_RSRC2:TGID_X_EN: 1
; COMPUTE_PGM_RSRC2:TGID_Y_EN: 0
; COMPUTE_PGM_RSRC2:TGID_Z_EN: 0
; COMPUTE_PGM_RSRC2:TIDIG_COMP_CNT: 1
; COMPUTE_PGM_RSRC3_GFX90A:ACCUM_OFFSET: 63
; COMPUTE_PGM_RSRC3_GFX90A:TG_SPLIT: 0
	.section	.text._ZL33flash_attn_stream_k_fixup_uniformILi128ELi64ELi1EEvPfPK15HIP_vector_typeIfLj2EEiiiiiiS1_IjLj3EES5_S5_,"axG",@progbits,_ZL33flash_attn_stream_k_fixup_uniformILi128ELi64ELi1EEvPfPK15HIP_vector_typeIfLj2EEiiiiiiS1_IjLj3EES5_S5_,comdat
	.globl	_ZL33flash_attn_stream_k_fixup_uniformILi128ELi64ELi1EEvPfPK15HIP_vector_typeIfLj2EEiiiiiiS1_IjLj3EES5_S5_ ; -- Begin function _ZL33flash_attn_stream_k_fixup_uniformILi128ELi64ELi1EEvPfPK15HIP_vector_typeIfLj2EEiiiiiiS1_IjLj3EES5_S5_
	.p2align	8
	.type	_ZL33flash_attn_stream_k_fixup_uniformILi128ELi64ELi1EEvPfPK15HIP_vector_typeIfLj2EEiiiiiiS1_IjLj3EES5_S5_,@function
_ZL33flash_attn_stream_k_fixup_uniformILi128ELi64ELi1EEvPfPK15HIP_vector_typeIfLj2EEiiiiiiS1_IjLj3EES5_S5_: ; @_ZL33flash_attn_stream_k_fixup_uniformILi128ELi64ELi1EEvPfPK15HIP_vector_typeIfLj2EEiiiiiiS1_IjLj3EES5_S5_
; %bb.0:
	s_load_dwordx8 s[8:15], s[0:1], 0x1c
	s_load_dwordx2 s[6:7], s[0:1], 0x10
	s_load_dwordx4 s[20:23], s[0:1], 0x3c
	s_waitcnt lgkmcnt(0)
	s_mul_hi_u32 s5, s11, s2
	s_add_i32 s5, s2, s5
	s_lshr_b32 s5, s5, s12
	s_mul_i32 s11, s5, s13
	s_sub_i32 s11, s2, s11
	s_mul_hi_u32 s12, s11, s14
	s_add_i32 s12, s11, s12
	s_lshr_b32 s16, s12, s15
	s_mul_i32 s12, s16, s20
	s_sub_i32 s12, s11, s12
	;; [unrolled: 5-line block ×3, first 2 shown]
	s_lshl_b32 s12, s17, 6
	s_add_i32 s12, s12, s3
	s_cmp_lt_i32 s12, s6
	s_cselect_b64 s[12:13], -1, 0
	s_add_i32 s14, s11, s4
	s_cmp_lt_i32 s14, s9
	s_cselect_b64 s[14:15], -1, 0
	s_and_b64 s[12:13], s[12:13], s[14:15]
	s_andn2_b64 vcc, exec, s[12:13]
	s_cbranch_vccnz .LBB26_6
; %bb.1:
	s_load_dwordx4 s[12:15], s[0:1], 0x0
	s_mul_i32 s0, s5, s6
	s_add_i32 s0, s0, s3
	s_mul_i32 s0, s0, s7
	s_mul_i32 s16, s16, s9
	s_add_i32 s0, s0, s4
	s_add_i32 s0, s0, s16
	s_mul_i32 s1, s7, s17
	s_add_i32 s0, s0, s11
	s_lshl_b32 s1, s1, 13
	s_lshl_b32 s0, s0, 7
	s_add_i32 s1, s1, s0
	v_or_b32_e32 v4, s1, v0
	s_waitcnt lgkmcnt(0)
	v_mov_b32_e32 v2, s12
	v_mov_b32_e32 v3, s13
	v_ashrrev_i32_e32 v5, 31, v4
	v_lshl_add_u64 v[2:3], v[4:5], 2, v[2:3]
	global_load_dword v5, v[2:3], off
	s_mul_i32 s6, s10, s2
	s_add_i32 s7, s6, s10
	s_add_i32 s3, s3, s4
	s_lshl_b32 s0, s7, 6
	s_add_i32 s0, s3, s0
	s_sub_i32 s0, s0, 64
	s_ashr_i32 s1, s0, 31
	s_lshl_b64 s[0:1], s[0:1], 3
	s_add_u32 s0, s14, s0
	s_addc_u32 s1, s15, s1
	s_load_dword s9, s[0:1], 0x4
	s_add_i32 s4, s7, -2
	s_cmp_lt_i32 s4, s6
	s_cbranch_scc1 .LBB26_4
; %bb.2:
	s_lshl_b32 s4, s8, 8
	s_ashr_i32 s5, s4, 31
	s_lshl_b64 s[4:5], s[4:5], 2
	s_add_u32 s4, s14, s4
	s_addc_u32 s5, s15, s5
	s_add_i32 s2, s2, 1
	s_mul_i32 s2, s10, s2
	s_load_dword s0, s[0:1], 0x0
	s_lshl_b32 s1, s3, 7
	s_lshl_b32 s10, s2, 13
	s_add_i32 s1, s1, s10
	v_or_b32_e32 v0, s1, v0
	s_lshl_b32 s1, s2, 6
	s_add_i32 s1, s3, s1
	s_lshl_b32 s2, s8, 6
	s_add_i32 s1, s1, s2
	s_add_i32 s7, s7, -1
	v_add_u32_e32 v0, 0xffffc000, v0
	s_add_i32 s2, s1, 0xffffff80
	s_waitcnt lgkmcnt(0)
	v_mov_b32_e32 v7, s0
	v_mov_b32_e32 v4, s9
	s_mov_b32 s8, 0x3fb8aa3b
	s_mov_b32 s9, 0xc2ce8ed0
	;; [unrolled: 1-line block ×3, first 2 shown]
	v_mov_b32_e32 v6, 0x7f800000
	s_mov_b32 s11, 0xc1a00000
.LBB26_3:                               ; =>This Inner Loop Header: Depth=1
	v_ashrrev_i32_e32 v1, 31, v0
	v_lshl_add_u64 v[8:9], v[0:1], 2, s[4:5]
	global_load_dword v9, v[8:9], off
	s_ashr_i32 s3, s2, 31
	s_lshl_b64 s[0:1], s[2:3], 3
	s_add_u32 s0, s14, s0
	s_addc_u32 s1, s15, s1
	s_load_dwordx2 s[0:1], s[0:1], 0x0
	v_max_f32_e32 v1, v7, v7
	s_add_i32 s7, s7, -1
	s_sub_i32 s2, s2, 64
	v_add_u32_e32 v0, 0xffffe000, v0
	s_waitcnt lgkmcnt(0)
	v_max_f32_e64 v10, s0, s0
	v_max_f32_e32 v1, v1, v10
	v_sub_f32_e32 v11, s0, v1
	v_sub_f32_e32 v10, v7, v1
	v_mul_f32_e32 v12, 0x3fb8aa3b, v11
	v_mov_b32_e32 v7, v1
	v_mul_f32_e32 v1, 0x3fb8aa3b, v10
	v_fma_f32 v15, v11, s8, -v12
	v_rndne_f32_e32 v16, v12
	v_fma_f32 v13, v10, s8, -v1
	v_rndne_f32_e32 v14, v1
	v_fmac_f32_e32 v15, 0x32a5705f, v11
	v_sub_f32_e32 v12, v12, v16
	v_fmac_f32_e32 v13, 0x32a5705f, v10
	v_sub_f32_e32 v1, v1, v14
	v_add_f32_e32 v12, v12, v15
	v_cvt_i32_f32_e32 v16, v16
	v_add_f32_e32 v1, v1, v13
	v_exp_f32_e32 v12, v12
	v_cvt_i32_f32_e32 v14, v14
	v_exp_f32_e32 v1, v1
	v_cmp_ngt_f32_e32 vcc, s9, v11
	v_ldexp_f32 v12, v12, v16
	v_mov_b32_e32 v8, s1
	v_ldexp_f32 v1, v1, v14
	v_cmp_ngt_f32_e64 s[0:1], s9, v10
	v_cndmask_b32_e32 v12, 0, v12, vcc
	v_cmp_nlt_f32_e32 vcc, s10, v11
	v_cndmask_b32_e64 v1, 0, v1, s[0:1]
	v_cmp_nlt_f32_e64 s[0:1], s10, v10
	v_cndmask_b32_e32 v12, v6, v12, vcc
	v_cmp_le_f32_e32 vcc, s11, v11
	v_cndmask_b32_e64 v1, v6, v1, s[0:1]
	v_cmp_le_f32_e64 s[0:1], s11, v10
	v_cndmask_b32_e32 v12, 0, v12, vcc
	s_cmp_le_i32 s7, s6
	v_cndmask_b32_e64 v10, 0, v1, s[0:1]
	s_waitcnt vmcnt(0)
	v_pk_mul_f32 v[8:9], v[8:9], v[12:13] op_sel_hi:[1,0]
	s_nop 0
	v_pk_fma_f32 v[4:5], v[4:5], v[10:11], v[8:9] op_sel_hi:[1,0,1]
	s_cbranch_scc0 .LBB26_3
	s_branch .LBB26_5
.LBB26_4:
	s_waitcnt lgkmcnt(0)
	v_mov_b32_e32 v4, s9
.LBB26_5:
	s_waitcnt vmcnt(0)
	v_div_scale_f32 v0, s[0:1], v4, v4, v5
	v_rcp_f32_e32 v1, v0
	v_div_scale_f32 v6, vcc, v5, v4, v5
	v_fma_f32 v7, -v0, v1, 1.0
	v_fmac_f32_e32 v1, v7, v1
	v_mul_f32_e32 v7, v6, v1
	v_fma_f32 v8, -v0, v7, v6
	v_fmac_f32_e32 v7, v8, v1
	v_fma_f32 v0, -v0, v7, v6
	v_div_fmas_f32 v0, v0, v1, v7
	v_div_fixup_f32 v0, v0, v4, v5
	global_store_dword v[2:3], v0, off
.LBB26_6:
	s_endpgm
	.section	.rodata,"a",@progbits
	.p2align	6, 0x0
	.amdhsa_kernel _ZL33flash_attn_stream_k_fixup_uniformILi128ELi64ELi1EEvPfPK15HIP_vector_typeIfLj2EEiiiiiiS1_IjLj3EES5_S5_
		.amdhsa_group_segment_fixed_size 0
		.amdhsa_private_segment_fixed_size 0
		.amdhsa_kernarg_size 76
		.amdhsa_user_sgpr_count 2
		.amdhsa_user_sgpr_dispatch_ptr 0
		.amdhsa_user_sgpr_queue_ptr 0
		.amdhsa_user_sgpr_kernarg_segment_ptr 1
		.amdhsa_user_sgpr_dispatch_id 0
		.amdhsa_user_sgpr_kernarg_preload_length 0
		.amdhsa_user_sgpr_kernarg_preload_offset 0
		.amdhsa_user_sgpr_private_segment_size 0
		.amdhsa_uses_dynamic_stack 0
		.amdhsa_enable_private_segment 0
		.amdhsa_system_sgpr_workgroup_id_x 1
		.amdhsa_system_sgpr_workgroup_id_y 1
		.amdhsa_system_sgpr_workgroup_id_z 1
		.amdhsa_system_sgpr_workgroup_info 0
		.amdhsa_system_vgpr_workitem_id 0
		.amdhsa_next_free_vgpr 17
		.amdhsa_next_free_sgpr 24
		.amdhsa_accum_offset 20
		.amdhsa_reserve_vcc 1
		.amdhsa_float_round_mode_32 0
		.amdhsa_float_round_mode_16_64 0
		.amdhsa_float_denorm_mode_32 3
		.amdhsa_float_denorm_mode_16_64 3
		.amdhsa_dx10_clamp 1
		.amdhsa_ieee_mode 1
		.amdhsa_fp16_overflow 0
		.amdhsa_tg_split 0
		.amdhsa_exception_fp_ieee_invalid_op 0
		.amdhsa_exception_fp_denorm_src 0
		.amdhsa_exception_fp_ieee_div_zero 0
		.amdhsa_exception_fp_ieee_overflow 0
		.amdhsa_exception_fp_ieee_underflow 0
		.amdhsa_exception_fp_ieee_inexact 0
		.amdhsa_exception_int_div_zero 0
	.end_amdhsa_kernel
	.section	.text._ZL33flash_attn_stream_k_fixup_uniformILi128ELi64ELi1EEvPfPK15HIP_vector_typeIfLj2EEiiiiiiS1_IjLj3EES5_S5_,"axG",@progbits,_ZL33flash_attn_stream_k_fixup_uniformILi128ELi64ELi1EEvPfPK15HIP_vector_typeIfLj2EEiiiiiiS1_IjLj3EES5_S5_,comdat
.Lfunc_end26:
	.size	_ZL33flash_attn_stream_k_fixup_uniformILi128ELi64ELi1EEvPfPK15HIP_vector_typeIfLj2EEiiiiiiS1_IjLj3EES5_S5_, .Lfunc_end26-_ZL33flash_attn_stream_k_fixup_uniformILi128ELi64ELi1EEvPfPK15HIP_vector_typeIfLj2EEiiiiiiS1_IjLj3EES5_S5_
                                        ; -- End function
	.set _ZL33flash_attn_stream_k_fixup_uniformILi128ELi64ELi1EEvPfPK15HIP_vector_typeIfLj2EEiiiiiiS1_IjLj3EES5_S5_.num_vgpr, 17
	.set _ZL33flash_attn_stream_k_fixup_uniformILi128ELi64ELi1EEvPfPK15HIP_vector_typeIfLj2EEiiiiiiS1_IjLj3EES5_S5_.num_agpr, 0
	.set _ZL33flash_attn_stream_k_fixup_uniformILi128ELi64ELi1EEvPfPK15HIP_vector_typeIfLj2EEiiiiiiS1_IjLj3EES5_S5_.numbered_sgpr, 24
	.set _ZL33flash_attn_stream_k_fixup_uniformILi128ELi64ELi1EEvPfPK15HIP_vector_typeIfLj2EEiiiiiiS1_IjLj3EES5_S5_.num_named_barrier, 0
	.set _ZL33flash_attn_stream_k_fixup_uniformILi128ELi64ELi1EEvPfPK15HIP_vector_typeIfLj2EEiiiiiiS1_IjLj3EES5_S5_.private_seg_size, 0
	.set _ZL33flash_attn_stream_k_fixup_uniformILi128ELi64ELi1EEvPfPK15HIP_vector_typeIfLj2EEiiiiiiS1_IjLj3EES5_S5_.uses_vcc, 1
	.set _ZL33flash_attn_stream_k_fixup_uniformILi128ELi64ELi1EEvPfPK15HIP_vector_typeIfLj2EEiiiiiiS1_IjLj3EES5_S5_.uses_flat_scratch, 0
	.set _ZL33flash_attn_stream_k_fixup_uniformILi128ELi64ELi1EEvPfPK15HIP_vector_typeIfLj2EEiiiiiiS1_IjLj3EES5_S5_.has_dyn_sized_stack, 0
	.set _ZL33flash_attn_stream_k_fixup_uniformILi128ELi64ELi1EEvPfPK15HIP_vector_typeIfLj2EEiiiiiiS1_IjLj3EES5_S5_.has_recursion, 0
	.set _ZL33flash_attn_stream_k_fixup_uniformILi128ELi64ELi1EEvPfPK15HIP_vector_typeIfLj2EEiiiiiiS1_IjLj3EES5_S5_.has_indirect_call, 0
	.section	.AMDGPU.csdata,"",@progbits
; Kernel info:
; codeLenInByte = 820
; TotalNumSgprs: 30
; NumVgprs: 17
; NumAgprs: 0
; TotalNumVgprs: 17
; ScratchSize: 0
; MemoryBound: 0
; FloatMode: 240
; IeeeMode: 1
; LDSByteSize: 0 bytes/workgroup (compile time only)
; SGPRBlocks: 3
; VGPRBlocks: 2
; NumSGPRsForWavesPerEU: 30
; NumVGPRsForWavesPerEU: 17
; AccumOffset: 20
; Occupancy: 8
; WaveLimiterHint : 0
; COMPUTE_PGM_RSRC2:SCRATCH_EN: 0
; COMPUTE_PGM_RSRC2:USER_SGPR: 2
; COMPUTE_PGM_RSRC2:TRAP_HANDLER: 0
; COMPUTE_PGM_RSRC2:TGID_X_EN: 1
; COMPUTE_PGM_RSRC2:TGID_Y_EN: 1
; COMPUTE_PGM_RSRC2:TGID_Z_EN: 1
; COMPUTE_PGM_RSRC2:TIDIG_COMP_CNT: 0
; COMPUTE_PGM_RSRC3_GFX90A:ACCUM_OFFSET: 4
; COMPUTE_PGM_RSRC3_GFX90A:TG_SPLIT: 0
	.section	.text._ZL33flash_attn_stream_k_fixup_generalILi128ELi64ELi1EEvPfPK15HIP_vector_typeIfLj2EEiiiiS1_IjLj3EES5_S5_S5_,"axG",@progbits,_ZL33flash_attn_stream_k_fixup_generalILi128ELi64ELi1EEvPfPK15HIP_vector_typeIfLj2EEiiiiS1_IjLj3EES5_S5_S5_,comdat
	.globl	_ZL33flash_attn_stream_k_fixup_generalILi128ELi64ELi1EEvPfPK15HIP_vector_typeIfLj2EEiiiiS1_IjLj3EES5_S5_S5_ ; -- Begin function _ZL33flash_attn_stream_k_fixup_generalILi128ELi64ELi1EEvPfPK15HIP_vector_typeIfLj2EEiiiiS1_IjLj3EES5_S5_S5_
	.p2align	8
	.type	_ZL33flash_attn_stream_k_fixup_generalILi128ELi64ELi1EEvPfPK15HIP_vector_typeIfLj2EEiiiiS1_IjLj3EES5_S5_S5_,@function
_ZL33flash_attn_stream_k_fixup_generalILi128ELi64ELi1EEvPfPK15HIP_vector_typeIfLj2EEiiiiS1_IjLj3EES5_S5_S5_: ; @_ZL33flash_attn_stream_k_fixup_generalILi128ELi64ELi1EEvPfPK15HIP_vector_typeIfLj2EEiiiiS1_IjLj3EES5_S5_S5_
; %bb.0:
	s_load_dwordx4 s[8:11], s[0:1], 0x10
	s_load_dword s22, s[0:1], 0x50
	s_mov_b32 s12, 0
	s_waitcnt lgkmcnt(0)
	s_mul_hi_i32 s13, s11, s2
	s_cmp_lg_u64 s[12:13], 0
	s_mul_i32 s5, s11, s2
	s_cbranch_scc0 .LBB27_20
; %bb.1:
	s_add_u32 s6, s22, 0
	s_addc_u32 s7, 0, 0
	s_xor_b64 s[6:7], s[6:7], 0
	v_cvt_f32_u32_e32 v1, s6
	v_cvt_f32_u32_e32 v2, s7
	s_sub_u32 s12, 0, s6
	s_subb_u32 s18, 0, s7
	v_fmamk_f32 v1, v2, 0x4f800000, v1
	v_rcp_f32_e32 v1, v1
	s_nop 0
	v_mul_f32_e32 v1, 0x5f7ffffc, v1
	v_mul_f32_e32 v2, 0x2f800000, v1
	v_trunc_f32_e32 v2, v2
	v_fmamk_f32 v1, v2, 0xcf800000, v1
	v_cvt_u32_f32_e32 v2, v2
	v_cvt_u32_f32_e32 v1, v1
	v_readfirstlane_b32 s19, v2
	v_readfirstlane_b32 s14, v1
	s_mul_i32 s15, s12, s19
	s_mul_hi_u32 s21, s12, s14
	s_mul_i32 s20, s18, s14
	s_add_i32 s15, s21, s15
	s_add_i32 s15, s15, s20
	s_mul_i32 s23, s12, s14
	s_mul_i32 s21, s14, s15
	s_mul_hi_u32 s24, s14, s23
	s_mul_hi_u32 s20, s14, s15
	s_add_u32 s21, s24, s21
	s_addc_u32 s20, 0, s20
	s_mul_hi_u32 s25, s19, s23
	s_mul_i32 s23, s19, s23
	s_add_u32 s21, s21, s23
	s_mul_hi_u32 s24, s19, s15
	s_addc_u32 s20, s20, s25
	s_addc_u32 s21, s24, 0
	s_mul_i32 s15, s19, s15
	s_add_u32 s15, s20, s15
	s_addc_u32 s20, 0, s21
	s_add_u32 s21, s14, s15
	s_cselect_b64 s[14:15], -1, 0
	s_cmp_lg_u64 s[14:15], 0
	s_addc_u32 s19, s19, s20
	s_mul_i32 s14, s12, s19
	s_mul_hi_u32 s15, s12, s21
	s_add_i32 s14, s15, s14
	s_mul_i32 s18, s18, s21
	s_add_i32 s14, s14, s18
	s_mul_i32 s12, s12, s21
	s_mul_hi_u32 s18, s19, s12
	s_mul_i32 s20, s19, s12
	s_mul_i32 s24, s21, s14
	s_mul_hi_u32 s12, s21, s12
	s_mul_hi_u32 s23, s21, s14
	s_add_u32 s12, s12, s24
	s_addc_u32 s23, 0, s23
	s_add_u32 s12, s12, s20
	s_mul_hi_u32 s15, s19, s14
	s_addc_u32 s12, s23, s18
	s_addc_u32 s15, s15, 0
	s_mul_i32 s14, s19, s14
	s_add_u32 s12, s12, s14
	s_addc_u32 s18, 0, s15
	s_add_u32 s20, s21, s12
	s_cselect_b64 s[14:15], -1, 0
	s_cmp_lg_u64 s[14:15], 0
	s_addc_u32 s18, s19, s18
	s_ashr_i32 s14, s13, 31
	s_add_u32 s12, s5, s14
	s_mov_b32 s15, s14
	s_addc_u32 s13, s13, s14
	s_xor_b64 s[12:13], s[12:13], s[14:15]
	s_mul_i32 s21, s12, s18
	s_mul_hi_u32 s23, s12, s20
	s_mul_hi_u32 s19, s12, s18
	s_add_u32 s21, s23, s21
	s_addc_u32 s19, 0, s19
	s_mul_hi_u32 s24, s13, s20
	s_mul_i32 s20, s13, s20
	s_add_u32 s20, s21, s20
	s_mul_hi_u32 s23, s13, s18
	s_addc_u32 s19, s19, s24
	s_addc_u32 s20, s23, 0
	s_mul_i32 s18, s13, s18
	s_add_u32 s23, s19, s18
	s_addc_u32 s24, 0, s20
	s_mul_i32 s18, s6, s24
	s_mul_hi_u32 s19, s6, s23
	s_add_i32 s18, s19, s18
	s_mul_i32 s19, s7, s23
	s_add_i32 s25, s18, s19
	s_sub_i32 s20, s13, s25
	s_mul_i32 s18, s6, s23
	s_sub_u32 s12, s12, s18
	s_cselect_b64 s[18:19], -1, 0
	s_cmp_lg_u64 s[18:19], 0
	s_subb_u32 s26, s20, s7
	s_sub_u32 s27, s12, s6
	s_cselect_b64 s[20:21], -1, 0
	s_cmp_lg_u64 s[20:21], 0
	s_subb_u32 s20, s26, 0
	s_cmp_ge_u32 s20, s7
	s_cselect_b32 s21, -1, 0
	s_cmp_ge_u32 s27, s6
	s_cselect_b32 s26, -1, 0
	s_cmp_eq_u32 s20, s7
	s_cselect_b32 s20, s26, s21
	s_add_u32 s21, s23, 1
	s_addc_u32 s26, s24, 0
	s_add_u32 s27, s23, 2
	s_addc_u32 s28, s24, 0
	s_cmp_lg_u32 s20, 0
	s_cselect_b32 s20, s27, s21
	s_cselect_b32 s21, s28, s26
	s_cmp_lg_u64 s[18:19], 0
	s_subb_u32 s13, s13, s25
	s_cmp_ge_u32 s13, s7
	s_cselect_b32 s18, -1, 0
	s_cmp_ge_u32 s12, s6
	s_cselect_b32 s6, -1, 0
	s_cmp_eq_u32 s13, s7
	s_cselect_b32 s6, s6, s18
	s_cmp_lg_u32 s6, 0
	s_cselect_b32 s7, s21, s24
	s_cselect_b32 s6, s20, s23
	s_xor_b64 s[12:13], s[14:15], 0
	s_xor_b64 s[6:7], s[6:7], s[12:13]
	s_sub_u32 s6, s6, s12
	s_load_dwordx4 s[12:15], s[0:1], 0x44
	s_cbranch_execnz .LBB27_3
.LBB27_2:
	v_cvt_f32_u32_e32 v1, s22
	s_sub_i32 s6, 0, s22
	v_rcp_iflag_f32_e32 v1, v1
	s_nop 0
	v_mul_f32_e32 v1, 0x4f7ffffe, v1
	v_cvt_u32_f32_e32 v1, v1
	s_nop 0
	v_readfirstlane_b32 s7, v1
	s_mul_i32 s6, s6, s7
	s_mul_hi_u32 s6, s7, s6
	s_add_i32 s7, s7, s6
	s_mul_hi_u32 s6, s5, s7
	s_waitcnt lgkmcnt(0)
	s_mul_i32 s15, s6, s22
	s_sub_i32 s5, s5, s15
	s_add_i32 s7, s6, 1
	s_sub_i32 s15, s5, s22
	s_cmp_ge_u32 s5, s22
	s_cselect_b32 s6, s7, s6
	s_cselect_b32 s5, s15, s5
	s_add_i32 s7, s6, 1
	s_cmp_ge_u32 s5, s22
	s_cselect_b32 s6, s7, s6
.LBB27_3:
	s_add_i32 s5, s2, 1
	s_mul_hi_i32 s21, s11, s5
	s_mov_b32 s20, 0
	s_cmp_lg_u64 s[20:21], 0
	s_mul_i32 s5, s11, s5
	s_cbranch_scc0 .LBB27_21
; %bb.4:
	s_add_u32 s16, s22, 0
	s_addc_u32 s17, 0, 0
	s_xor_b64 s[18:19], s[16:17], 0
	v_cvt_f32_u32_e32 v1, s18
	v_cvt_f32_u32_e32 v2, s19
	s_sub_u32 s7, 0, s18
	s_waitcnt lgkmcnt(0)
	s_subb_u32 s15, 0, s19
	v_fmamk_f32 v1, v2, 0x4f800000, v1
	v_rcp_f32_e32 v1, v1
	s_nop 0
	v_mul_f32_e32 v1, 0x5f7ffffc, v1
	v_mul_f32_e32 v2, 0x2f800000, v1
	v_trunc_f32_e32 v2, v2
	v_fmamk_f32 v1, v2, 0xcf800000, v1
	v_cvt_u32_f32_e32 v2, v2
	v_cvt_u32_f32_e32 v1, v1
	v_readfirstlane_b32 s20, v2
	v_readfirstlane_b32 s23, v1
	s_mul_i32 s24, s7, s20
	s_mul_hi_u32 s26, s7, s23
	s_mul_i32 s25, s15, s23
	s_add_i32 s24, s26, s24
	s_add_i32 s24, s24, s25
	s_mul_i32 s27, s7, s23
	s_mul_i32 s26, s23, s24
	s_mul_hi_u32 s28, s23, s27
	s_mul_hi_u32 s25, s23, s24
	s_add_u32 s26, s28, s26
	s_addc_u32 s25, 0, s25
	s_mul_hi_u32 s29, s20, s27
	s_mul_i32 s27, s20, s27
	s_add_u32 s26, s26, s27
	s_mul_hi_u32 s28, s20, s24
	s_addc_u32 s25, s25, s29
	s_addc_u32 s26, s28, 0
	s_mul_i32 s24, s20, s24
	s_add_u32 s24, s25, s24
	s_addc_u32 s26, 0, s26
	s_add_u32 s23, s23, s24
	s_cselect_b64 s[24:25], -1, 0
	s_cmp_lg_u64 s[24:25], 0
	s_addc_u32 s20, s20, s26
	s_mul_i32 s24, s7, s20
	s_mul_hi_u32 s25, s7, s23
	s_add_i32 s24, s25, s24
	s_mul_i32 s15, s15, s23
	s_add_i32 s24, s24, s15
	s_mul_i32 s7, s7, s23
	s_mul_hi_u32 s25, s20, s7
	s_mul_i32 s26, s20, s7
	s_mul_i32 s28, s23, s24
	s_mul_hi_u32 s7, s23, s7
	s_mul_hi_u32 s27, s23, s24
	s_add_u32 s7, s7, s28
	s_addc_u32 s27, 0, s27
	s_add_u32 s7, s7, s26
	s_mul_hi_u32 s15, s20, s24
	s_addc_u32 s7, s27, s25
	s_addc_u32 s15, s15, 0
	s_mul_i32 s24, s20, s24
	s_add_u32 s7, s7, s24
	s_addc_u32 s15, 0, s15
	s_add_u32 s7, s23, s7
	s_cselect_b64 s[24:25], -1, 0
	s_cmp_lg_u64 s[24:25], 0
	s_addc_u32 s15, s20, s15
	s_ashr_i32 s24, s21, 31
	s_add_u32 s20, s5, s24
	s_mov_b32 s25, s24
	s_addc_u32 s21, s21, s24
	s_xor_b64 s[20:21], s[20:21], s[24:25]
	s_mul_i32 s26, s20, s15
	s_mul_hi_u32 s27, s20, s7
	s_mul_hi_u32 s23, s20, s15
	s_add_u32 s26, s27, s26
	s_addc_u32 s23, 0, s23
	s_mul_hi_u32 s28, s21, s7
	s_mul_i32 s7, s21, s7
	s_add_u32 s7, s26, s7
	s_mul_hi_u32 s27, s21, s15
	s_addc_u32 s7, s23, s28
	s_addc_u32 s23, s27, 0
	s_mul_i32 s15, s21, s15
	s_add_u32 s7, s7, s15
	s_addc_u32 s15, 0, s23
	s_mul_i32 s23, s18, s15
	s_mul_hi_u32 s26, s18, s7
	s_add_i32 s23, s26, s23
	s_mul_i32 s26, s19, s7
	s_add_i32 s23, s23, s26
	s_sub_i32 s28, s21, s23
	s_mul_i32 s26, s18, s7
	s_sub_u32 s20, s20, s26
	s_cselect_b64 s[26:27], -1, 0
	s_cmp_lg_u64 s[26:27], 0
	s_subb_u32 s30, s28, s19
	s_sub_u32 s31, s20, s18
	s_cselect_b64 s[28:29], -1, 0
	s_cmp_lg_u64 s[28:29], 0
	s_subb_u32 s28, s30, 0
	s_cmp_ge_u32 s28, s19
	s_cselect_b32 s29, -1, 0
	s_cmp_ge_u32 s31, s18
	s_cselect_b32 s30, -1, 0
	s_cmp_eq_u32 s28, s19
	s_cselect_b32 s28, s30, s29
	s_add_u32 s29, s7, 1
	s_addc_u32 s30, s15, 0
	s_add_u32 s31, s7, 2
	s_addc_u32 s33, s15, 0
	s_cmp_lg_u32 s28, 0
	s_cselect_b32 s28, s31, s29
	s_cselect_b32 s29, s33, s30
	s_cmp_lg_u64 s[26:27], 0
	s_subb_u32 s21, s21, s23
	s_cmp_ge_u32 s21, s19
	s_cselect_b32 s23, -1, 0
	s_cmp_ge_u32 s20, s18
	s_cselect_b32 s18, -1, 0
	s_cmp_eq_u32 s21, s19
	s_cselect_b32 s18, s18, s23
	s_cmp_lg_u32 s18, 0
	s_cselect_b32 s19, s29, s15
	s_cselect_b32 s18, s28, s7
	s_xor_b64 s[20:21], s[24:25], 0
	s_xor_b64 s[18:19], s[18:19], s[20:21]
	s_sub_u32 s18, s18, s20
	s_cbranch_execnz .LBB27_6
.LBB27_5:
	v_cvt_f32_u32_e32 v1, s22
	s_sub_i32 s7, 0, s22
	v_rcp_iflag_f32_e32 v1, v1
	s_nop 0
	v_mul_f32_e32 v1, 0x4f7ffffe, v1
	v_cvt_u32_f32_e32 v1, v1
	s_waitcnt lgkmcnt(0)
	v_readfirstlane_b32 s15, v1
	s_mul_i32 s7, s7, s15
	s_mul_hi_u32 s7, s15, s7
	s_add_i32 s15, s15, s7
	s_mul_hi_u32 s7, s5, s15
	s_mul_i32 s16, s7, s22
	s_sub_i32 s5, s5, s16
	s_add_i32 s15, s7, 1
	s_sub_i32 s16, s5, s22
	s_cmp_ge_u32 s5, s22
	s_cselect_b32 s7, s15, s7
	s_cselect_b32 s5, s16, s5
	s_add_i32 s15, s7, 1
	s_cmp_ge_u32 s5, s22
	s_cselect_b32 s18, s15, s7
.LBB27_6:
	s_cmp_eq_u32 s6, s18
	s_waitcnt lgkmcnt(0)
	s_mul_hi_u32 s5, s6, s12
	s_cselect_b64 s[16:17], -1, 0
	s_add_i32 s5, s5, s6
	s_lshr_b32 s7, s5, s13
	s_mul_i32 s5, s7, s14
	s_cmp_eq_u32 s5, s6
	s_mul_hi_u32 s5, s18, s12
	s_cselect_b64 s[20:21], -1, 0
	s_add_i32 s5, s5, s18
	s_lshr_b32 s5, s5, s13
	s_cmp_eq_u32 s7, s5
	s_mul_i32 s5, s5, s14
	s_cselect_b64 s[24:25], -1, 0
	s_cmp_lg_u32 s5, s18
	s_cselect_b64 s[18:19], -1, 0
	s_and_b64 s[18:19], s[24:25], s[18:19]
	s_or_b64 s[16:17], s[16:17], s[20:21]
	s_or_b64 s[16:17], s[16:17], s[18:19]
	s_and_b64 vcc, exec, s[16:17]
	s_cbranch_vccnz .LBB27_23
; %bb.7:
	s_load_dwordx8 s[24:31], s[0:1], 0x20
	s_load_dword s15, s[0:1], 0x40
	s_waitcnt lgkmcnt(0)
	s_mul_hi_u32 s5, s6, s24
	s_add_i32 s5, s5, s6
	s_lshr_b32 s5, s5, s25
	s_mul_i32 s16, s5, s26
	s_sub_i32 s16, s6, s16
	s_mul_hi_u32 s17, s16, s27
	s_add_i32 s17, s16, s17
	s_lshr_b32 s21, s17, s28
	s_mul_i32 s17, s21, s29
	s_sub_i32 s16, s16, s17
	;; [unrolled: 5-line block ×3, first 2 shown]
	s_mul_hi_u32 s16, s15, s12
	s_add_i32 s15, s15, s16
	s_lshr_b32 s23, s15, s13
	s_lshl_b32 s15, s23, 6
	s_add_i32 s15, s15, s3
	s_cmp_lt_i32 s15, s8
	s_cselect_b64 s[16:17], -1, 0
	s_add_i32 s15, s20, s4
	s_cmp_lt_i32 s15, s10
	s_cselect_b64 s[18:19], -1, 0
	s_and_b64 s[16:17], s[16:17], s[18:19]
	s_andn2_b64 vcc, exec, s[16:17]
	s_cbranch_vccnz .LBB27_23
; %bb.8:
	s_load_dwordx4 s[16:19], s[0:1], 0x0
	s_mov_b32 s0, 0
	s_lshl_b32 s24, s22, 8
	s_mov_b32 s25, s0
	s_add_i32 s15, s3, s4
	s_waitcnt lgkmcnt(0)
	v_mov_b32_e32 v2, s16
	v_mov_b32_e32 v3, s17
	s_lshl_b64 s[16:17], s[24:25], 2
	s_add_u32 s16, s18, s16
	s_mul_i32 s1, s5, s8
	s_addc_u32 s17, s19, s17
	s_add_i32 s1, s1, s3
	s_mul_i32 s1, s1, s9
	s_mul_i32 s21, s21, s10
	s_add_i32 s1, s1, s4
	s_add_i32 s1, s1, s21
	s_mul_i32 s5, s9, s23
	s_add_i32 s1, s1, s20
	s_lshl_b32 s5, s5, 13
	s_lshl_b32 s1, s1, 7
	s_add_i32 s5, s5, s1
	v_or_b32_e32 v4, s5, v0
	v_ashrrev_i32_e32 v5, 31, v4
	v_lshl_add_u64 v[2:3], v[4:5], 2, v[2:3]
	global_load_dword v1, v[2:3], off
	v_cvt_f32_u32_e32 v4, s22
	s_lshl_b32 s1, s2, 6
	s_add_i32 s4, s1, s15
	s_ashr_i32 s5, s4, 31
	s_lshl_b64 s[4:5], s[4:5], 3
	v_rcp_iflag_f32_e32 v4, v4
	s_add_u32 s4, s18, s4
	s_addc_u32 s5, s19, s5
	s_load_dwordx2 s[4:5], s[4:5], 0x0
	v_mul_f32_e32 v4, 0x4f7ffffe, v4
	v_cvt_u32_f32_e32 v7, v4
	s_add_i32 s24, s2, -1
	v_lshl_or_b32 v6, s15, 7, v0
	s_waitcnt lgkmcnt(0)
	v_mov_b32_e32 v0, s5
	v_mov_b32_e32 v9, s4
	s_mov_b32 s10, 0x3fb8aa3b
	s_mov_b32 s20, 0xc2ce8ed0
	;; [unrolled: 1-line block ×4, first 2 shown]
	v_mov_b32_e32 v8, 0x7f800000
	s_mul_hi_i32 s1, s24, s11
	s_cmp_lg_u64 s[0:1], 0
	s_mul_i32 s8, s24, s11
	s_cbranch_scc0 .LBB27_19
.LBB27_9:
	s_add_u32 s2, s22, 0
	s_addc_u32 s3, 0, 0
	s_xor_b64 s[2:3], s[2:3], 0
	v_cvt_f32_u32_e32 v4, s2
	v_cvt_f32_u32_e32 v5, s3
	s_sub_u32 s9, 0, s2
	s_subb_u32 s25, 0, s3
	v_fmac_f32_e32 v4, 0x4f800000, v5
	v_rcp_f32_e32 v4, v4
	s_nop 0
	v_mul_f32_e32 v4, 0x5f7ffffc, v4
	v_mul_f32_e32 v5, 0x2f800000, v4
	v_trunc_f32_e32 v5, v5
	v_fmac_f32_e32 v4, 0xcf800000, v5
	v_cvt_u32_f32_e32 v5, v5
	v_cvt_u32_f32_e32 v4, v4
	v_readfirstlane_b32 s26, v5
	v_readfirstlane_b32 s4, v4
	s_mul_i32 s5, s9, s26
	s_mul_hi_u32 s28, s9, s4
	s_mul_i32 s27, s25, s4
	s_add_i32 s5, s28, s5
	s_mul_i32 s29, s9, s4
	s_add_i32 s5, s5, s27
	s_mul_i32 s28, s4, s5
	s_mul_hi_u32 s30, s4, s29
	s_mul_hi_u32 s27, s4, s5
	s_add_u32 s28, s30, s28
	s_addc_u32 s27, 0, s27
	s_mul_hi_u32 s31, s26, s29
	s_mul_i32 s29, s26, s29
	s_add_u32 s28, s28, s29
	s_mul_hi_u32 s30, s26, s5
	s_addc_u32 s27, s27, s31
	s_addc_u32 s28, s30, 0
	s_mul_i32 s5, s26, s5
	s_add_u32 s5, s27, s5
	s_addc_u32 s27, 0, s28
	s_add_u32 s28, s4, s5
	s_cselect_b64 s[4:5], -1, 0
	s_cmp_lg_u64 s[4:5], 0
	s_addc_u32 s26, s26, s27
	s_mul_i32 s4, s9, s26
	s_mul_hi_u32 s5, s9, s28
	s_add_i32 s4, s5, s4
	s_mul_i32 s25, s25, s28
	s_add_i32 s4, s4, s25
	s_mul_i32 s9, s9, s28
	s_mul_hi_u32 s25, s26, s9
	s_mul_i32 s27, s26, s9
	s_mul_i32 s30, s28, s4
	s_mul_hi_u32 s9, s28, s9
	s_mul_hi_u32 s29, s28, s4
	s_add_u32 s9, s9, s30
	s_addc_u32 s29, 0, s29
	s_add_u32 s9, s9, s27
	s_mul_hi_u32 s5, s26, s4
	s_addc_u32 s9, s29, s25
	s_addc_u32 s5, s5, 0
	s_mul_i32 s4, s26, s4
	s_add_u32 s4, s9, s4
	s_addc_u32 s9, 0, s5
	s_add_u32 s25, s28, s4
	s_cselect_b64 s[4:5], -1, 0
	s_cmp_lg_u64 s[4:5], 0
	s_addc_u32 s9, s26, s9
	s_ashr_i32 s4, s1, 31
	s_add_u32 s26, s8, s4
	s_mov_b32 s5, s4
	s_addc_u32 s27, s1, s4
	s_xor_b64 s[26:27], s[26:27], s[4:5]
	s_mul_i32 s28, s26, s9
	s_mul_hi_u32 s29, s26, s25
	s_mul_hi_u32 s1, s26, s9
	s_add_u32 s28, s29, s28
	s_addc_u32 s1, 0, s1
	s_mul_hi_u32 s30, s27, s25
	s_mul_i32 s25, s27, s25
	s_add_u32 s25, s28, s25
	s_mul_hi_u32 s29, s27, s9
	s_addc_u32 s1, s1, s30
	s_addc_u32 s25, s29, 0
	s_mul_i32 s9, s27, s9
	s_add_u32 s1, s1, s9
	s_addc_u32 s9, 0, s25
	s_mul_i32 s25, s2, s9
	s_mul_hi_u32 s28, s2, s1
	s_add_i32 s25, s28, s25
	s_mul_i32 s28, s3, s1
	s_add_i32 s25, s25, s28
	s_sub_i32 s30, s27, s25
	s_mul_i32 s28, s2, s1
	s_sub_u32 s26, s26, s28
	s_cselect_b64 s[28:29], -1, 0
	s_cmp_lg_u64 s[28:29], 0
	s_subb_u32 s33, s30, s3
	s_sub_u32 s34, s26, s2
	s_cselect_b64 s[30:31], -1, 0
	s_cmp_lg_u64 s[30:31], 0
	s_subb_u32 s30, s33, 0
	s_cmp_ge_u32 s30, s3
	s_cselect_b32 s31, -1, 0
	s_cmp_ge_u32 s34, s2
	s_cselect_b32 s33, -1, 0
	s_cmp_eq_u32 s30, s3
	s_cselect_b32 s30, s33, s31
	s_add_u32 s31, s1, 1
	s_addc_u32 s33, s9, 0
	s_add_u32 s34, s1, 2
	s_addc_u32 s35, s9, 0
	s_cmp_lg_u32 s30, 0
	s_cselect_b32 s30, s34, s31
	s_cselect_b32 s31, s35, s33
	s_cmp_lg_u64 s[28:29], 0
	s_subb_u32 s25, s27, s25
	s_cmp_ge_u32 s25, s3
	s_cselect_b32 s27, -1, 0
	s_cmp_ge_u32 s26, s2
	s_cselect_b32 s2, -1, 0
	s_cmp_eq_u32 s25, s3
	s_cselect_b32 s2, s2, s27
	s_cmp_lg_u32 s2, 0
	s_cselect_b32 s3, s31, s9
	s_cselect_b32 s2, s30, s1
	s_xor_b64 s[4:5], s[4:5], 0
	s_xor_b64 s[2:3], s[2:3], s[4:5]
	s_sub_u32 s4, s2, s4
	s_cbranch_execnz .LBB27_11
.LBB27_10:
	s_sub_i32 s1, 0, s22
	v_readfirstlane_b32 s2, v7
	s_mul_i32 s1, s1, s2
	s_mul_hi_u32 s1, s2, s1
	s_add_i32 s2, s2, s1
	s_mul_hi_u32 s1, s8, s2
	s_mul_i32 s3, s1, s22
	s_sub_i32 s3, s8, s3
	s_add_i32 s2, s1, 1
	s_sub_i32 s4, s3, s22
	s_cmp_ge_u32 s3, s22
	s_cselect_b32 s1, s2, s1
	s_cselect_b32 s3, s4, s3
	s_add_i32 s2, s1, 1
	s_cmp_ge_u32 s3, s22
	s_cselect_b32 s4, s2, s1
.LBB27_11:
	s_cmp_lg_u32 s6, s4
	s_cbranch_scc0 .LBB27_15
; %bb.12:
	s_add_i32 s1, s24, s22
	s_lshl_b32 s1, s1, 6
	s_add_i32 s2, s1, s15
	s_mov_b32 s3, s0
	s_lshl_b64 s[2:3], s[2:3], 3
	s_add_u32 s8, s18, s2
	s_mul_hi_u32 s1, s4, s12
	s_addc_u32 s9, s19, s3
	s_add_i32 s1, s1, s4
	s_lshr_b32 s1, s1, s13
	s_mul_i32 s2, s1, s14
	s_cmp_eq_u32 s2, s4
	s_cselect_b64 s[2:3], -1, 0
	s_cmp_lt_u32 s1, s7
	s_cselect_b64 s[26:27], -1, 0
	s_or_b64 s[26:27], s[26:27], s[2:3]
	s_mov_b64 s[2:3], -1
	s_and_b64 vcc, exec, s[26:27]
	s_mov_b32 s1, s24
	s_mov_b32 s25, s6
	s_cbranch_vccnz .LBB27_14
; %bb.13:
	s_add_i32 s1, s24, -1
	s_mov_b64 s[2:3], 0
	s_mov_b32 s25, s4
.LBB27_14:
	v_lshl_add_u32 v4, s24, 13, v6
	v_ashrrev_i32_e32 v5, 31, v4
	v_lshl_add_u64 v[4:5], v[4:5], 2, s[16:17]
	global_load_dword v5, v[4:5], off
	s_load_dwordx2 s[4:5], s[8:9], 0x0
	v_max_f32_e32 v4, v9, v9
	s_waitcnt lgkmcnt(0)
	v_max_f32_e64 v10, s4, s4
	v_max_f32_e32 v10, v4, v10
	v_sub_f32_e32 v11, v9, v10
	v_sub_f32_e32 v13, s4, v10
	v_mul_f32_e32 v4, 0x3fb8aa3b, v11
	v_mul_f32_e32 v12, 0x3fb8aa3b, v13
	v_fma_f32 v14, v11, s10, -v4
	v_rndne_f32_e32 v15, v4
	v_fma_f32 v16, v13, s10, -v12
	v_rndne_f32_e32 v17, v12
	v_fmac_f32_e32 v14, 0x32a5705f, v11
	v_sub_f32_e32 v4, v4, v15
	v_fmac_f32_e32 v16, 0x32a5705f, v13
	v_sub_f32_e32 v12, v12, v17
	v_add_f32_e32 v4, v4, v14
	v_cvt_i32_f32_e32 v15, v15
	v_add_f32_e32 v12, v12, v16
	v_exp_f32_e32 v14, v4
	v_cvt_i32_f32_e32 v17, v17
	v_exp_f32_e32 v12, v12
	v_cmp_ngt_f32_e32 vcc, s20, v11
	v_ldexp_f32 v14, v14, v15
	v_mov_b32_e32 v4, s5
	v_ldexp_f32 v12, v12, v17
	v_cndmask_b32_e32 v14, 0, v14, vcc
	v_cmp_ngt_f32_e32 vcc, s20, v13
	s_nop 1
	v_cndmask_b32_e32 v12, 0, v12, vcc
	v_cmp_nlt_f32_e32 vcc, s21, v11
	s_nop 1
	v_cndmask_b32_e32 v14, v8, v14, vcc
	v_cmp_nlt_f32_e32 vcc, s21, v13
	s_nop 1
	v_cndmask_b32_e32 v15, v8, v12, vcc
	v_cmp_le_f32_e32 vcc, s23, v11
	s_nop 1
	v_cndmask_b32_e32 v12, 0, v14, vcc
	v_cmp_le_f32_e32 vcc, s23, v13
	s_nop 1
	v_cndmask_b32_e32 v14, 0, v15, vcc
	s_waitcnt vmcnt(0)
	v_pk_mul_f32 v[4:5], v[4:5], v[14:15] op_sel_hi:[1,0]
	s_nop 0
	v_pk_fma_f32 v[4:5], v[0:1], v[12:13], v[4:5] op_sel_hi:[1,0,1]
	s_cbranch_execz .LBB27_16
	s_branch .LBB27_17
.LBB27_15:
                                        ; implicit-def: $vgpr4_vgpr5
                                        ; implicit-def: $sgpr2_sgpr3
                                        ; implicit-def: $vgpr10
                                        ; implicit-def: $sgpr1
                                        ; implicit-def: $sgpr25
.LBB27_16:
	s_add_i32 s1, s24, -1
	s_mov_b64 s[2:3], 0
	s_mov_b32 s25, s6
	v_mov_b32_e32 v10, v9
	s_waitcnt vmcnt(0)
	v_mov_b64_e32 v[4:5], v[0:1]
.LBB27_17:
	s_andn2_b64 vcc, exec, s[2:3]
	s_cbranch_vccz .LBB27_22
; %bb.18:
	s_mov_b32 s6, s25
	s_mov_b32 s24, s1
	v_mov_b32_e32 v9, v10
	s_waitcnt vmcnt(0)
	v_mov_b64_e32 v[0:1], v[4:5]
	s_mul_hi_i32 s1, s24, s11
	s_cmp_lg_u64 s[0:1], 0
	s_mul_i32 s8, s24, s11
	s_cbranch_scc1 .LBB27_9
.LBB27_19:
                                        ; implicit-def: $sgpr4_sgpr5
	s_branch .LBB27_10
.LBB27_20:
                                        ; implicit-def: $sgpr6_sgpr7
	s_load_dwordx4 s[12:15], s[0:1], 0x44
	s_branch .LBB27_2
.LBB27_21:
                                        ; implicit-def: $sgpr18_sgpr19
	s_branch .LBB27_5
.LBB27_22:
	v_div_scale_f32 v0, s[0:1], v4, v4, v5
	s_waitcnt vmcnt(0)
	v_rcp_f32_e32 v1, v0
	v_div_scale_f32 v6, vcc, v5, v4, v5
	v_fma_f32 v7, -v0, v1, 1.0
	v_fmac_f32_e32 v1, v7, v1
	v_mul_f32_e32 v7, v6, v1
	v_fma_f32 v8, -v0, v7, v6
	v_fmac_f32_e32 v7, v8, v1
	v_fma_f32 v0, -v0, v7, v6
	v_div_fmas_f32 v0, v0, v1, v7
	v_div_fixup_f32 v0, v0, v4, v5
	global_store_dword v[2:3], v0, off
.LBB27_23:
	s_endpgm
	.section	.rodata,"a",@progbits
	.p2align	6, 0x0
	.amdhsa_kernel _ZL33flash_attn_stream_k_fixup_generalILi128ELi64ELi1EEvPfPK15HIP_vector_typeIfLj2EEiiiiS1_IjLj3EES5_S5_S5_
		.amdhsa_group_segment_fixed_size 0
		.amdhsa_private_segment_fixed_size 0
		.amdhsa_kernarg_size 336
		.amdhsa_user_sgpr_count 2
		.amdhsa_user_sgpr_dispatch_ptr 0
		.amdhsa_user_sgpr_queue_ptr 0
		.amdhsa_user_sgpr_kernarg_segment_ptr 1
		.amdhsa_user_sgpr_dispatch_id 0
		.amdhsa_user_sgpr_kernarg_preload_length 0
		.amdhsa_user_sgpr_kernarg_preload_offset 0
		.amdhsa_user_sgpr_private_segment_size 0
		.amdhsa_uses_dynamic_stack 0
		.amdhsa_enable_private_segment 0
		.amdhsa_system_sgpr_workgroup_id_x 1
		.amdhsa_system_sgpr_workgroup_id_y 1
		.amdhsa_system_sgpr_workgroup_id_z 1
		.amdhsa_system_sgpr_workgroup_info 0
		.amdhsa_system_vgpr_workitem_id 0
		.amdhsa_next_free_vgpr 18
		.amdhsa_next_free_sgpr 36
		.amdhsa_accum_offset 20
		.amdhsa_reserve_vcc 1
		.amdhsa_float_round_mode_32 0
		.amdhsa_float_round_mode_16_64 0
		.amdhsa_float_denorm_mode_32 3
		.amdhsa_float_denorm_mode_16_64 3
		.amdhsa_dx10_clamp 1
		.amdhsa_ieee_mode 1
		.amdhsa_fp16_overflow 0
		.amdhsa_tg_split 0
		.amdhsa_exception_fp_ieee_invalid_op 0
		.amdhsa_exception_fp_denorm_src 0
		.amdhsa_exception_fp_ieee_div_zero 0
		.amdhsa_exception_fp_ieee_overflow 0
		.amdhsa_exception_fp_ieee_underflow 0
		.amdhsa_exception_fp_ieee_inexact 0
		.amdhsa_exception_int_div_zero 0
	.end_amdhsa_kernel
	.section	.text._ZL33flash_attn_stream_k_fixup_generalILi128ELi64ELi1EEvPfPK15HIP_vector_typeIfLj2EEiiiiS1_IjLj3EES5_S5_S5_,"axG",@progbits,_ZL33flash_attn_stream_k_fixup_generalILi128ELi64ELi1EEvPfPK15HIP_vector_typeIfLj2EEiiiiS1_IjLj3EES5_S5_S5_,comdat
.Lfunc_end27:
	.size	_ZL33flash_attn_stream_k_fixup_generalILi128ELi64ELi1EEvPfPK15HIP_vector_typeIfLj2EEiiiiS1_IjLj3EES5_S5_S5_, .Lfunc_end27-_ZL33flash_attn_stream_k_fixup_generalILi128ELi64ELi1EEvPfPK15HIP_vector_typeIfLj2EEiiiiS1_IjLj3EES5_S5_S5_
                                        ; -- End function
	.set _ZL33flash_attn_stream_k_fixup_generalILi128ELi64ELi1EEvPfPK15HIP_vector_typeIfLj2EEiiiiS1_IjLj3EES5_S5_S5_.num_vgpr, 18
	.set _ZL33flash_attn_stream_k_fixup_generalILi128ELi64ELi1EEvPfPK15HIP_vector_typeIfLj2EEiiiiS1_IjLj3EES5_S5_S5_.num_agpr, 0
	.set _ZL33flash_attn_stream_k_fixup_generalILi128ELi64ELi1EEvPfPK15HIP_vector_typeIfLj2EEiiiiS1_IjLj3EES5_S5_S5_.numbered_sgpr, 36
	.set _ZL33flash_attn_stream_k_fixup_generalILi128ELi64ELi1EEvPfPK15HIP_vector_typeIfLj2EEiiiiS1_IjLj3EES5_S5_S5_.num_named_barrier, 0
	.set _ZL33flash_attn_stream_k_fixup_generalILi128ELi64ELi1EEvPfPK15HIP_vector_typeIfLj2EEiiiiS1_IjLj3EES5_S5_S5_.private_seg_size, 0
	.set _ZL33flash_attn_stream_k_fixup_generalILi128ELi64ELi1EEvPfPK15HIP_vector_typeIfLj2EEiiiiS1_IjLj3EES5_S5_S5_.uses_vcc, 1
	.set _ZL33flash_attn_stream_k_fixup_generalILi128ELi64ELi1EEvPfPK15HIP_vector_typeIfLj2EEiiiiS1_IjLj3EES5_S5_S5_.uses_flat_scratch, 0
	.set _ZL33flash_attn_stream_k_fixup_generalILi128ELi64ELi1EEvPfPK15HIP_vector_typeIfLj2EEiiiiS1_IjLj3EES5_S5_S5_.has_dyn_sized_stack, 0
	.set _ZL33flash_attn_stream_k_fixup_generalILi128ELi64ELi1EEvPfPK15HIP_vector_typeIfLj2EEiiiiS1_IjLj3EES5_S5_S5_.has_recursion, 0
	.set _ZL33flash_attn_stream_k_fixup_generalILi128ELi64ELi1EEvPfPK15HIP_vector_typeIfLj2EEiiiiS1_IjLj3EES5_S5_S5_.has_indirect_call, 0
	.section	.AMDGPU.csdata,"",@progbits
; Kernel info:
; codeLenInByte = 2932
; TotalNumSgprs: 42
; NumVgprs: 18
; NumAgprs: 0
; TotalNumVgprs: 18
; ScratchSize: 0
; MemoryBound: 0
; FloatMode: 240
; IeeeMode: 1
; LDSByteSize: 0 bytes/workgroup (compile time only)
; SGPRBlocks: 5
; VGPRBlocks: 2
; NumSGPRsForWavesPerEU: 42
; NumVGPRsForWavesPerEU: 18
; AccumOffset: 20
; Occupancy: 8
; WaveLimiterHint : 0
; COMPUTE_PGM_RSRC2:SCRATCH_EN: 0
; COMPUTE_PGM_RSRC2:USER_SGPR: 2
; COMPUTE_PGM_RSRC2:TRAP_HANDLER: 0
; COMPUTE_PGM_RSRC2:TGID_X_EN: 1
; COMPUTE_PGM_RSRC2:TGID_Y_EN: 1
; COMPUTE_PGM_RSRC2:TGID_Z_EN: 1
; COMPUTE_PGM_RSRC2:TIDIG_COMP_CNT: 0
; COMPUTE_PGM_RSRC3_GFX90A:ACCUM_OFFSET: 4
; COMPUTE_PGM_RSRC3_GFX90A:TG_SPLIT: 0
	.section	.text._ZL26flash_attn_combine_resultsILi128EEvPKfPK15HIP_vector_typeIfLj2EEPfi,"axG",@progbits,_ZL26flash_attn_combine_resultsILi128EEvPKfPK15HIP_vector_typeIfLj2EEPfi,comdat
	.globl	_ZL26flash_attn_combine_resultsILi128EEvPKfPK15HIP_vector_typeIfLj2EEPfi ; -- Begin function _ZL26flash_attn_combine_resultsILi128EEvPKfPK15HIP_vector_typeIfLj2EEPfi
	.p2align	8
	.type	_ZL26flash_attn_combine_resultsILi128EEvPKfPK15HIP_vector_typeIfLj2EEPfi,@function
_ZL26flash_attn_combine_resultsILi128EEvPKfPK15HIP_vector_typeIfLj2EEPfi: ; @_ZL26flash_attn_combine_resultsILi128EEvPKfPK15HIP_vector_typeIfLj2EEPfi
; %bb.0:
	s_load_dwordx2 s[6:7], s[0:1], 0x20
	s_load_dword s19, s[0:1], 0x18
	s_load_dwordx4 s[8:11], s[0:1], 0x0
	s_load_dwordx2 s[14:15], s[0:1], 0x10
	s_waitcnt lgkmcnt(0)
	s_mul_i32 s0, s6, s4
	s_add_i32 s0, s0, s2
	s_mul_i32 s18, s0, s7
	s_add_i32 s18, s18, s3
	s_lshl_b32 s20, s19, 1
	s_mul_i32 s2, s18, s19
	v_cmp_gt_i32_e32 vcc, s20, v0
	s_and_saveexec_b64 s[0:1], vcc
	s_cbranch_execz .LBB28_13
; %bb.1:
	v_xad_u32 v1, v0, -1, s20
	s_movk_i32 s4, 0x7f
	s_ashr_i32 s3, s2, 31
	v_cmp_lt_u32_e32 vcc, s4, v1
	s_mov_b64 s[6:7], -1
	v_mov_b32_e32 v2, v0
	s_and_saveexec_b64 s[4:5], vcc
	s_cbranch_execz .LBB28_10
; %bb.2:
	v_lshrrev_b32_e32 v6, 7, v1
	s_lshl_b64 s[6:7], s[2:3], 3
	v_add_u32_e32 v2, -1, v6
	s_add_u32 s6, s10, s6
	v_or_b32_e32 v1, 0x80, v0
	v_lshrrev_b32_e32 v3, 1, v2
	s_addc_u32 s7, s11, s7
	s_mov_b32 s21, 0
	v_add_u32_e32 v7, 1, v3
	v_cmp_lt_u32_e32 vcc, 13, v2
	v_mov_b32_e32 v4, 0
	v_mov_b64_e32 v[2:3], v[0:1]
	s_and_saveexec_b64 s[12:13], vcc
	s_cbranch_execz .LBB28_6
; %bb.3:
	v_and_b32_e32 v8, -8, v7
	v_lshl_add_u32 v9, v0, 2, 0
	s_mov_b64 s[16:17], 0
	v_mov_b32_e32 v5, 0
	v_mov_b64_e32 v[2:3], v[0:1]
.LBB28_4:                               ; =>This Inner Loop Header: Depth=1
	v_mov_b32_e32 v4, v2
	v_lshl_add_u64 v[24:25], v[4:5], 2, s[6:7]
	v_mov_b32_e32 v4, v3
	v_add_u32_e32 v10, 0x100, v3
	v_mov_b32_e32 v11, v5
	v_lshl_add_u64 v[26:27], v[4:5], 2, s[6:7]
	v_add_u32_e32 v4, 0x100, v2
	v_lshl_add_u64 v[10:11], v[10:11], 2, s[6:7]
	global_load_dword v1, v[24:25], off
	v_lshl_add_u64 v[24:25], v[4:5], 2, s[6:7]
	v_add_u32_e32 v4, 0x200, v2
	global_load_dword v28, v[26:27], off
	global_load_dword v29, v[24:25], off
	;; [unrolled: 1-line block ×3, first 2 shown]
	v_lshl_add_u64 v[10:11], v[4:5], 2, s[6:7]
	v_add_u32_e32 v4, 0x300, v2
	v_add_u32_e32 v12, 0x200, v3
	v_mov_b32_e32 v13, v5
	v_add_u32_e32 v14, 0x300, v3
	v_mov_b32_e32 v15, v5
	v_lshl_add_u64 v[24:25], v[4:5], 2, s[6:7]
	v_add_u32_e32 v4, 0x400, v2
	v_lshl_add_u64 v[12:13], v[12:13], 2, s[6:7]
	v_lshl_add_u64 v[14:15], v[14:15], 2, s[6:7]
	global_load_dword v26, v[10:11], off
	global_load_dword v27, v[12:13], off
	;; [unrolled: 1-line block ×4, first 2 shown]
	v_lshl_add_u64 v[10:11], v[4:5], 2, s[6:7]
	v_add_u32_e32 v4, 0x500, v2
	v_add_u32_e32 v16, 0x400, v3
	v_mov_b32_e32 v17, v5
	v_add_u32_e32 v18, 0x500, v3
	v_mov_b32_e32 v19, v5
	v_lshl_add_u64 v[12:13], v[4:5], 2, s[6:7]
	v_add_u32_e32 v4, 0x600, v2
	v_add_u32_e32 v20, 0x600, v3
	v_mov_b32_e32 v21, v5
	v_add_u32_e32 v22, 0x700, v3
	v_mov_b32_e32 v23, v5
	v_lshl_add_u64 v[16:17], v[16:17], 2, s[6:7]
	v_lshl_add_u64 v[18:19], v[18:19], 2, s[6:7]
	global_load_dword v14, v[10:11], off
	global_load_dword v15, v[16:17], off
	;; [unrolled: 1-line block ×4, first 2 shown]
	v_lshl_add_u64 v[10:11], v[4:5], 2, s[6:7]
	v_add_u32_e32 v4, 0x700, v2
	v_lshl_add_u64 v[20:21], v[20:21], 2, s[6:7]
	v_lshl_add_u64 v[22:23], v[22:23], 2, s[6:7]
	;; [unrolled: 1-line block ×3, first 2 shown]
	global_load_dword v16, v[10:11], off
	global_load_dword v17, v[20:21], off
	;; [unrolled: 1-line block ×4, first 2 shown]
	v_add_u32_e32 v8, -8, v8
	s_add_i32 s21, s21, 16
	v_cmp_eq_u32_e32 vcc, 0, v8
	v_add_u32_e32 v3, 0x800, v3
	v_mov_b32_e32 v4, s21
	s_or_b64 s[16:17], vcc, s[16:17]
	v_add_u32_e32 v2, 0x800, v2
	s_waitcnt vmcnt(14)
	ds_write2st64_b32 v9, v1, v28 offset1:2
	s_waitcnt vmcnt(12)
	ds_write2st64_b32 v9, v29, v30 offset0:4 offset1:6
	s_waitcnt vmcnt(10)
	ds_write2st64_b32 v9, v26, v27 offset0:8 offset1:10
	;; [unrolled: 2-line block ×7, first 2 shown]
	v_add_u32_e32 v9, 0x2000, v9
	s_andn2_b64 exec, exec, s[16:17]
	s_cbranch_execnz .LBB28_4
; %bb.5:
	s_or_b64 exec, exec, s[16:17]
.LBB28_6:
	s_or_b64 exec, exec, s[12:13]
	v_and_b32_e32 v1, 7, v7
	v_cmp_ne_u32_e32 vcc, 0, v1
	s_and_saveexec_b64 s[12:13], vcc
	s_cbranch_execz .LBB28_9
; %bb.7:
	v_lshlrev_b32_e32 v5, 2, v0
	v_lshl_or_b32 v4, v4, 9, v5
	v_add_u32_e32 v7, 0, v4
	s_mov_b64 s[16:17], 0
	v_mov_b32_e32 v5, 0
.LBB28_8:                               ; =>This Inner Loop Header: Depth=1
	v_mov_b32_e32 v4, v2
	v_lshl_add_u64 v[8:9], v[4:5], 2, s[6:7]
	v_mov_b32_e32 v4, v3
	v_lshl_add_u64 v[10:11], v[4:5], 2, s[6:7]
	global_load_dword v4, v[8:9], off
	global_load_dword v12, v[10:11], off
	v_add_u32_e32 v1, -1, v1
	v_cmp_eq_u32_e32 vcc, 0, v1
	v_add_u32_e32 v2, 0x100, v2
	v_add_u32_e32 v3, 0x100, v3
	s_or_b64 s[16:17], vcc, s[16:17]
	s_waitcnt vmcnt(0)
	ds_write2st64_b32 v7, v4, v12 offset1:2
	v_add_u32_e32 v7, 0x400, v7
	s_andn2_b64 exec, exec, s[16:17]
	s_cbranch_execnz .LBB28_8
.LBB28_9:
	s_or_b64 exec, exec, s[12:13]
	v_add_u32_e32 v1, 1, v6
	v_and_b32_e32 v3, 0x3fffffe, v1
	v_cmp_ne_u32_e32 vcc, v1, v3
	v_lshl_or_b32 v2, v3, 7, v0
	s_orn2_b64 s[6:7], vcc, exec
.LBB28_10:
	s_or_b64 exec, exec, s[4:5]
	s_and_b64 exec, exec, s[6:7]
	s_cbranch_execz .LBB28_13
; %bb.11:
	s_lshl_b64 s[4:5], s[2:3], 3
	s_add_u32 s4, s10, s4
	v_mov_b32_e32 v3, 0
	s_addc_u32 s5, s11, s5
	v_lshl_add_u64 v[4:5], v[2:3], 2, s[4:5]
	v_lshl_add_u32 v1, v2, 2, 0
	s_mov_b64 s[4:5], 0
	s_mov_b64 s[6:7], 0x200
.LBB28_12:                              ; =>This Inner Loop Header: Depth=1
	global_load_dword v3, v[4:5], off
	v_add_u32_e32 v2, 0x80, v2
	v_cmp_le_i32_e32 vcc, s20, v2
	v_lshl_add_u64 v[4:5], v[4:5], 0, s[6:7]
	s_or_b64 s[4:5], vcc, s[4:5]
	s_waitcnt vmcnt(0)
	ds_write_b32 v1, v3
	v_add_u32_e32 v1, 0x200, v1
	s_andn2_b64 exec, exec, s[4:5]
	s_cbranch_execnz .LBB28_12
.LBB28_13:
	s_or_b64 exec, exec, s[0:1]
	v_mov_b32_e32 v1, 0
	s_waitcnt lgkmcnt(0)
	s_barrier
	ds_read_b32 v1, v1
	s_cmp_lt_i32 s19, 2
	s_cbranch_scc1 .LBB28_21
; %bb.14:
	s_cmp_eq_u32 s19, 2
	s_cbranch_scc1 .LBB28_18
; %bb.15:
	s_add_i32 s3, s19, -1
	s_and_b32 s4, s3, -2
	s_add_i32 s6, 0, 8
	s_mov_b32 s5, 2
	s_waitcnt lgkmcnt(0)
	v_mov_b32_e32 v4, v1
.LBB28_16:                              ; =>This Inner Loop Header: Depth=1
	v_mov_b32_e32 v2, v1
	v_mov_b32_e32 v1, s6
	;; [unrolled: 1-line block ×3, first 2 shown]
	ds_read2_b32 v[4:5], v1 offset1:2
	s_cmp_lg_u32 s4, s5
	s_cselect_b64 s[10:11], -1, 0
	v_max_f32_e32 v1, v3, v3
	v_max_f32_e32 v6, v2, v2
	s_waitcnt lgkmcnt(0)
	v_cmp_u_f32_e32 vcc, v5, v5
	v_max_f32_e32 v7, v5, v5
	v_max_f32_e32 v8, v4, v4
	v_cndmask_b32_e64 v5, 0, 1, vcc
	v_cmp_u_f32_e32 vcc, v4, v4
	v_readfirstlane_b32 s0, v5
	s_lshl_b32 s0, s0, 1
	v_cndmask_b32_e64 v9, 0, 1, vcc
	v_max_f32_e32 v4, v1, v7
	v_readfirstlane_b32 s1, v9
	s_or_b32 s0, s1, s0
	s_and_b32 s7, s0, 3
	s_cmp_lg_u32 s7, 0
	s_cselect_b64 s[0:1], -1, 0
	s_cmp_eq_u32 s7, 0
	s_cselect_b64 s[12:13], -1, 0
	s_and_b64 s[10:11], s[12:13], s[10:11]
	v_max_f32_e32 v1, v6, v8
	s_add_i32 s5, s5, 2
	s_add_i32 s6, s6, 16
	s_and_b64 vcc, exec, s[10:11]
	s_cbranch_vccnz .LBB28_16
; %bb.17:
	s_add_i32 s5, s5, -4
	s_and_b64 s[6:7], s[0:1], exec
	s_cselect_b32 s5, s5, s3
	s_or_b32 s5, s5, 1
	v_cndmask_b32_e64 v1, v1, v2, s[0:1]
	v_cndmask_b32_e64 v2, v4, v3, s[0:1]
	s_cmp_lg_u32 s3, s4
	v_max_f32_e32 v2, v2, v2
	v_max_f32_e32 v1, v1, v1
	s_cselect_b64 s[6:7], -1, 0
	v_max_f32_e32 v1, v1, v2
	s_or_b64 s[0:1], s[6:7], s[0:1]
	s_and_b64 vcc, exec, s[0:1]
	s_cbranch_vccnz .LBB28_19
	s_branch .LBB28_21
.LBB28_18:
	s_mov_b32 s5, 1
	s_cbranch_execz .LBB28_21
.LBB28_19:
	s_lshl_b32 s1, s5, 3
	s_sub_i32 s0, s19, s5
	s_add_i32 s1, s1, 0
.LBB28_20:                              ; =>This Inner Loop Header: Depth=1
	v_mov_b32_e32 v2, s1
	ds_read_b32 v2, v2
	s_waitcnt lgkmcnt(1)
	v_max_f32_e32 v1, v1, v1
	s_add_i32 s0, s0, -1
	s_add_i32 s1, s1, 8
	s_cmp_eq_u32 s0, 0
	s_waitcnt lgkmcnt(0)
	v_max_f32_e32 v2, v2, v2
	v_max_f32_e32 v1, v1, v2
	s_cbranch_scc0 .LBB28_20
.LBB28_21:
	s_cmp_lt_i32 s19, 1
	s_cbranch_scc1 .LBB28_26
; %bb.22:
	s_lshl_b32 s0, s2, 7
	s_ashr_i32 s1, s0, 31
	s_lshl_b64 s[0:1], s[0:1], 2
	s_add_u32 s16, s8, s0
	s_addc_u32 s17, s9, s1
	s_cmp_lt_u32 s19, 8
	s_cbranch_scc1 .LBB28_27
; %bb.23:
	v_mov_b32_e32 v7, 0
	s_and_b32 s20, s19, 0x7ffffff8
	v_or_b32_e32 v4, 0x380, v0
	s_mov_b32 s21, 0
	s_mov_b32 s22, 0x3fb8aa3b
	;; [unrolled: 1-line block ×4, first 2 shown]
	v_mov_b32_e32 v8, 0x7f800000
	s_mov_b32 s25, 0
	v_mov_b32_e32 v2, v7
	v_mov_b32_e32 v3, v7
.LBB28_24:                              ; =>This Inner Loop Header: Depth=1
	v_add_u32_e32 v6, 0xfffffc80, v4
	v_lshl_add_u64 v[26:27], v[6:7], 2, s[16:17]
	v_add_u32_e32 v6, 0xfffffd00, v4
	v_mov_b32_e32 v9, s21
	v_lshl_add_u64 v[30:31], v[6:7], 2, s[16:17]
	v_add_u32_e32 v6, 0xfffffd80, v4
	ds_read2_b64 v[10:13], v9 offset1:1
	ds_read2_b64 v[14:17], v9 offset0:2 offset1:3
	ds_read2_b64 v[18:21], v9 offset0:4 offset1:5
	ds_read2_b64 v[22:25], v9 offset0:6 offset1:7
	global_load_dword v33, v[26:27], off
	global_load_dword v35, v[30:31], off
	v_lshl_add_u64 v[26:27], v[6:7], 2, s[16:17]
	v_add_u32_e32 v6, 0xfffffe00, v4
	v_lshl_add_u64 v[30:31], v[6:7], 2, s[16:17]
	v_add_u32_e32 v6, 0xfffffe80, v4
	global_load_dword v37, v[26:27], off
	global_load_dword v39, v[30:31], off
	v_lshl_add_u64 v[26:27], v[6:7], 2, s[16:17]
	v_add_u32_e32 v6, 0xffffff00, v4
	s_waitcnt lgkmcnt(3)
	v_mov_b32_e32 v32, v11
	v_sub_f32_e32 v9, v12, v1
	v_mov_b32_e32 v34, v13
	global_load_dword v11, v[26:27], off
	v_lshl_add_u64 v[12:13], v[6:7], 2, s[16:17]
	s_waitcnt lgkmcnt(2)
	v_mov_b32_e32 v36, v15
	v_add_u32_e32 v6, 0xffffff80, v4
	global_load_dword v15, v[12:13], off
	v_mov_b32_e32 v5, v7
	v_lshl_add_u64 v[12:13], v[6:7], 2, s[16:17]
	v_lshl_add_u64 v[28:29], v[4:5], 2, s[16:17]
	v_sub_f32_e32 v5, v10, v1
	v_mov_b32_e32 v38, v17
	s_waitcnt lgkmcnt(1)
	v_mov_b32_e32 v10, v19
	global_load_dword v17, v[12:13], off
	global_load_dword v19, v[28:29], off
	v_sub_f32_e32 v30, v14, v1
	v_sub_f32_e32 v31, v16, v1
	v_sub_f32_e32 v40, v18, v1
	v_mov_b32_e32 v14, v21
	s_waitcnt lgkmcnt(0)
	v_sub_f32_e32 v21, v22, v1
	v_mov_b32_e32 v16, v23
	v_sub_f32_e32 v22, v24, v1
	v_mul_f32_e32 v23, 0x3fb8aa3b, v5
	v_mov_b32_e32 v18, v25
	v_mul_f32_e32 v24, 0x3fb8aa3b, v9
	v_mul_f32_e32 v25, 0x3fb8aa3b, v30
	;; [unrolled: 1-line block ×5, first 2 shown]
	v_fma_f32 v43, v5, s22, -v23
	v_rndne_f32_e32 v44, v23
	v_sub_f32_e32 v20, v20, v1
	v_fma_f32 v45, v9, s22, -v24
	v_rndne_f32_e32 v46, v24
	v_fma_f32 v47, v30, s22, -v25
	v_rndne_f32_e32 v48, v25
	;; [unrolled: 2-line block ×5, first 2 shown]
	v_fmac_f32_e32 v43, 0x32a5705f, v5
	v_sub_f32_e32 v12, v23, v44
	v_mul_f32_e32 v26, 0x3fb8aa3b, v31
	v_mul_f32_e32 v41, 0x3fb8aa3b, v20
	v_fmac_f32_e32 v45, 0x32a5705f, v9
	v_sub_f32_e32 v23, v24, v46
	v_fmac_f32_e32 v47, 0x32a5705f, v30
	v_sub_f32_e32 v25, v25, v48
	;; [unrolled: 2-line block ×5, first 2 shown]
	v_add_f32_e32 v12, v12, v43
	v_fma_f32 v49, v31, s22, -v26
	v_rndne_f32_e32 v50, v26
	v_fma_f32 v53, v20, s22, -v41
	v_rndne_f32_e32 v54, v41
	v_cvt_i32_f32_e32 v13, v44
	v_add_f32_e32 v23, v23, v45
	v_add_f32_e32 v25, v25, v47
	;; [unrolled: 1-line block ×5, first 2 shown]
	v_exp_f32_e32 v12, v12
	v_cvt_i32_f32_e32 v24, v46
	v_cvt_i32_f32_e32 v28, v48
	v_fmac_f32_e32 v49, 0x32a5705f, v31
	v_sub_f32_e32 v26, v26, v50
	v_cvt_i32_f32_e32 v29, v50
	v_cvt_i32_f32_e32 v44, v52
	v_fmac_f32_e32 v53, 0x32a5705f, v20
	v_sub_f32_e32 v41, v41, v54
	v_cvt_i32_f32_e32 v48, v56
	v_cvt_i32_f32_e32 v50, v58
	v_exp_f32_e32 v23, v23
	v_exp_f32_e32 v25, v25
	;; [unrolled: 1-line block ×5, first 2 shown]
	v_add_f32_e32 v26, v26, v49
	v_add_f32_e32 v41, v41, v53
	v_cvt_i32_f32_e32 v46, v54
	v_exp_f32_e32 v26, v26
	v_exp_f32_e32 v41, v41
	v_ldexp_f32 v12, v12, v13
	v_cmp_ngt_f32_e64 s[12:13], s23, v5
	v_ldexp_f32 v13, v23, v24
	v_cmp_ngt_f32_e32 vcc, s23, v9
	v_ldexp_f32 v23, v25, v28
	v_ldexp_f32 v25, v27, v44
	v_ldexp_f32 v27, v42, v48
	v_cmp_ngt_f32_e64 s[8:9], s23, v21
	v_ldexp_f32 v6, v6, v50
	v_cmp_ngt_f32_e64 s[10:11], s23, v22
	v_cndmask_b32_e64 v12, 0, v12, s[12:13]
	v_cmp_nlt_f32_e64 s[12:13], s24, v5
	v_cmp_ngt_f32_e64 s[0:1], s23, v30
	v_cndmask_b32_e32 v13, 0, v13, vcc
	v_cmp_nlt_f32_e32 vcc, s24, v9
	v_cndmask_b32_e64 v27, 0, v27, s[8:9]
	v_cmp_nlt_f32_e64 s[8:9], s24, v21
	v_cndmask_b32_e64 v21, 0, v6, s[10:11]
	v_cndmask_b32_e64 v6, v8, v12, s[12:13]
	v_ldexp_f32 v24, v26, v29
	v_cmp_ngt_f32_e64 s[2:3], s23, v31
	v_cmp_ngt_f32_e64 s[4:5], s23, v40
	v_ldexp_f32 v26, v41, v46
	v_cmp_ngt_f32_e64 s[6:7], s23, v20
	v_cndmask_b32_e64 v9, 0, v23, s[0:1]
	v_cmp_nlt_f32_e64 s[0:1], s24, v30
	v_cndmask_b32_e32 v12, v8, v13, vcc
	s_waitcnt vmcnt(7)
	v_pk_fma_f32 v[2:3], v[6:7], v[32:33], v[2:3] op_sel_hi:[0,1,1]
	v_cndmask_b32_e64 v23, 0, v24, s[2:3]
	v_cmp_nlt_f32_e64 s[2:3], s24, v31
	v_cndmask_b32_e64 v24, 0, v25, s[4:5]
	v_cndmask_b32_e64 v25, 0, v26, s[6:7]
	v_cmp_nlt_f32_e64 s[6:7], s24, v20
	v_cndmask_b32_e64 v20, v8, v9, s[0:1]
	s_waitcnt vmcnt(6)
	v_pk_fma_f32 v[2:3], v[12:13], v[34:35], v[2:3] op_sel_hi:[0,1,1]
	v_cmp_nlt_f32_e64 s[4:5], s24, v40
	v_cmp_nlt_f32_e64 s[10:11], s24, v22
	v_cndmask_b32_e64 v22, v8, v23, s[2:3]
	s_waitcnt vmcnt(5)
	v_pk_fma_f32 v[2:3], v[20:21], v[36:37], v[2:3] op_sel_hi:[0,1,1]
	v_cndmask_b32_e64 v24, v8, v24, s[4:5]
	s_waitcnt vmcnt(4)
	v_pk_fma_f32 v[2:3], v[22:23], v[38:39], v[2:3] op_sel_hi:[0,1,1]
	;; [unrolled: 3-line block ×4, first 2 shown]
	s_add_i32 s25, s25, 8
	s_add_i32 s21, s21, 64
	v_cndmask_b32_e64 v30, v8, v21, s[10:11]
	s_waitcnt vmcnt(1)
	v_pk_fma_f32 v[2:3], v[28:29], v[16:17], v[2:3] op_sel_hi:[0,1,1]
	s_cmp_eq_u32 s20, s25
	v_add_u32_e32 v4, 0x400, v4
	s_waitcnt vmcnt(0)
	v_pk_fma_f32 v[2:3], v[30:31], v[18:19], v[2:3] op_sel_hi:[0,1,1]
	s_cbranch_scc0 .LBB28_24
; %bb.25:
	s_and_b32 s0, s19, 7
	s_cmp_eq_u32 s0, 0
	s_cbranch_scc0 .LBB28_28
	s_branch .LBB28_30
.LBB28_26:
	s_waitcnt lgkmcnt(0)
	v_mov_b32_e32 v1, 0x7fc00000
	s_branch .LBB28_31
.LBB28_27:
	v_mov_b32_e32 v2, 0
	s_mov_b32 s20, 0
	v_mov_b32_e32 v3, v2
	s_and_b32 s0, s19, 7
	s_cmp_eq_u32 s0, 0
	s_cbranch_scc1 .LBB28_30
.LBB28_28:
	s_lshl_b32 s1, s20, 3
	v_lshl_or_b32 v4, s20, 7, v0
	s_add_i32 s1, s1, 0
	s_mov_b32 s2, 0x3fb8aa3b
	s_mov_b32 s3, 0xc2ce8ed0
	;; [unrolled: 1-line block ×3, first 2 shown]
	v_mov_b32_e32 v6, 0x7f800000
	v_mov_b32_e32 v5, 0
.LBB28_29:                              ; =>This Inner Loop Header: Depth=1
	v_lshl_add_u64 v[8:9], v[4:5], 2, s[16:17]
	global_load_dword v9, v[8:9], off
	v_mov_b32_e32 v7, s1
	ds_read_b64 v[10:11], v7
	s_add_i32 s1, s1, 8
	s_add_i32 s0, s0, -1
	v_add_u32_e32 v4, 0x80, v4
	s_cmp_lg_u32 s0, 0
	s_waitcnt lgkmcnt(0)
	v_sub_f32_e32 v7, v10, v1
	v_mul_f32_e32 v8, 0x3fb8aa3b, v7
	v_fma_f32 v10, v7, s2, -v8
	v_rndne_f32_e32 v12, v8
	v_fmac_f32_e32 v10, 0x32a5705f, v7
	v_sub_f32_e32 v8, v8, v12
	v_add_f32_e32 v8, v8, v10
	v_cvt_i32_f32_e32 v12, v12
	v_exp_f32_e32 v10, v8
	v_cmp_ngt_f32_e32 vcc, s3, v7
	v_mov_b32_e32 v8, v11
	v_ldexp_f32 v10, v10, v12
	v_cndmask_b32_e32 v10, 0, v10, vcc
	v_cmp_nlt_f32_e32 vcc, s4, v7
	s_nop 1
	v_cndmask_b32_e32 v10, v6, v10, vcc
	s_waitcnt vmcnt(0)
	v_pk_fma_f32 v[2:3], v[10:11], v[8:9], v[2:3] op_sel_hi:[0,1,1]
	s_cbranch_scc1 .LBB28_29
.LBB28_30:
	s_waitcnt lgkmcnt(0)
	v_div_scale_f32 v1, s[0:1], v2, v2, v3
	v_rcp_f32_e32 v4, v1
	v_div_scale_f32 v5, vcc, v3, v2, v3
	v_fma_f32 v6, -v1, v4, 1.0
	v_fmac_f32_e32 v4, v6, v4
	v_mul_f32_e32 v6, v5, v4
	v_fma_f32 v7, -v1, v6, v5
	v_fmac_f32_e32 v6, v7, v4
	v_fma_f32 v1, -v1, v6, v5
	v_div_fmas_f32 v1, v1, v4, v6
	v_div_fixup_f32 v1, v1, v2, v3
.LBB28_31:
	s_lshl_b32 s0, s18, 7
	s_ashr_i32 s1, s0, 31
	s_lshl_b64 s[0:1], s[0:1], 2
	s_add_u32 s0, s14, s0
	s_addc_u32 s1, s15, s1
	v_lshlrev_b32_e32 v0, 2, v0
	global_store_dword v0, v1, s[0:1]
	s_endpgm
	.section	.rodata,"a",@progbits
	.p2align	6, 0x0
	.amdhsa_kernel _ZL26flash_attn_combine_resultsILi128EEvPKfPK15HIP_vector_typeIfLj2EEPfi
		.amdhsa_group_segment_fixed_size 0
		.amdhsa_private_segment_fixed_size 0
		.amdhsa_kernarg_size 288
		.amdhsa_user_sgpr_count 2
		.amdhsa_user_sgpr_dispatch_ptr 0
		.amdhsa_user_sgpr_queue_ptr 0
		.amdhsa_user_sgpr_kernarg_segment_ptr 1
		.amdhsa_user_sgpr_dispatch_id 0
		.amdhsa_user_sgpr_kernarg_preload_length 0
		.amdhsa_user_sgpr_kernarg_preload_offset 0
		.amdhsa_user_sgpr_private_segment_size 0
		.amdhsa_uses_dynamic_stack 0
		.amdhsa_enable_private_segment 0
		.amdhsa_system_sgpr_workgroup_id_x 1
		.amdhsa_system_sgpr_workgroup_id_y 1
		.amdhsa_system_sgpr_workgroup_id_z 1
		.amdhsa_system_sgpr_workgroup_info 0
		.amdhsa_system_vgpr_workitem_id 0
		.amdhsa_next_free_vgpr 59
		.amdhsa_next_free_sgpr 26
		.amdhsa_accum_offset 60
		.amdhsa_reserve_vcc 1
		.amdhsa_float_round_mode_32 0
		.amdhsa_float_round_mode_16_64 0
		.amdhsa_float_denorm_mode_32 3
		.amdhsa_float_denorm_mode_16_64 3
		.amdhsa_dx10_clamp 1
		.amdhsa_ieee_mode 1
		.amdhsa_fp16_overflow 0
		.amdhsa_tg_split 0
		.amdhsa_exception_fp_ieee_invalid_op 0
		.amdhsa_exception_fp_denorm_src 0
		.amdhsa_exception_fp_ieee_div_zero 0
		.amdhsa_exception_fp_ieee_overflow 0
		.amdhsa_exception_fp_ieee_underflow 0
		.amdhsa_exception_fp_ieee_inexact 0
		.amdhsa_exception_int_div_zero 0
	.end_amdhsa_kernel
	.section	.text._ZL26flash_attn_combine_resultsILi128EEvPKfPK15HIP_vector_typeIfLj2EEPfi,"axG",@progbits,_ZL26flash_attn_combine_resultsILi128EEvPKfPK15HIP_vector_typeIfLj2EEPfi,comdat
.Lfunc_end28:
	.size	_ZL26flash_attn_combine_resultsILi128EEvPKfPK15HIP_vector_typeIfLj2EEPfi, .Lfunc_end28-_ZL26flash_attn_combine_resultsILi128EEvPKfPK15HIP_vector_typeIfLj2EEPfi
                                        ; -- End function
	.set _ZL26flash_attn_combine_resultsILi128EEvPKfPK15HIP_vector_typeIfLj2EEPfi.num_vgpr, 59
	.set _ZL26flash_attn_combine_resultsILi128EEvPKfPK15HIP_vector_typeIfLj2EEPfi.num_agpr, 0
	.set _ZL26flash_attn_combine_resultsILi128EEvPKfPK15HIP_vector_typeIfLj2EEPfi.numbered_sgpr, 26
	.set _ZL26flash_attn_combine_resultsILi128EEvPKfPK15HIP_vector_typeIfLj2EEPfi.num_named_barrier, 0
	.set _ZL26flash_attn_combine_resultsILi128EEvPKfPK15HIP_vector_typeIfLj2EEPfi.private_seg_size, 0
	.set _ZL26flash_attn_combine_resultsILi128EEvPKfPK15HIP_vector_typeIfLj2EEPfi.uses_vcc, 1
	.set _ZL26flash_attn_combine_resultsILi128EEvPKfPK15HIP_vector_typeIfLj2EEPfi.uses_flat_scratch, 0
	.set _ZL26flash_attn_combine_resultsILi128EEvPKfPK15HIP_vector_typeIfLj2EEPfi.has_dyn_sized_stack, 0
	.set _ZL26flash_attn_combine_resultsILi128EEvPKfPK15HIP_vector_typeIfLj2EEPfi.has_recursion, 0
	.set _ZL26flash_attn_combine_resultsILi128EEvPKfPK15HIP_vector_typeIfLj2EEPfi.has_indirect_call, 0
	.section	.AMDGPU.csdata,"",@progbits
; Kernel info:
; codeLenInByte = 2924
; TotalNumSgprs: 32
; NumVgprs: 59
; NumAgprs: 0
; TotalNumVgprs: 59
; ScratchSize: 0
; MemoryBound: 0
; FloatMode: 240
; IeeeMode: 1
; LDSByteSize: 0 bytes/workgroup (compile time only)
; SGPRBlocks: 3
; VGPRBlocks: 7
; NumSGPRsForWavesPerEU: 32
; NumVGPRsForWavesPerEU: 59
; AccumOffset: 60
; Occupancy: 8
; WaveLimiterHint : 0
; COMPUTE_PGM_RSRC2:SCRATCH_EN: 0
; COMPUTE_PGM_RSRC2:USER_SGPR: 2
; COMPUTE_PGM_RSRC2:TRAP_HANDLER: 0
; COMPUTE_PGM_RSRC2:TGID_X_EN: 1
; COMPUTE_PGM_RSRC2:TGID_Y_EN: 1
; COMPUTE_PGM_RSRC2:TGID_Z_EN: 1
; COMPUTE_PGM_RSRC2:TIDIG_COMP_CNT: 0
; COMPUTE_PGM_RSRC3_GFX90A:ACCUM_OFFSET: 14
; COMPUTE_PGM_RSRC3_GFX90A:TG_SPLIT: 0
	.section	.text._ZL18flash_attn_ext_f16ILi256ELi256ELi64ELi1ELb0ELb0EEvPKcS1_S1_S1_S1_PKiPfP15HIP_vector_typeIfLj2EEffffjfiS5_IjLj3EEiiiiiiiiiiiliiliiiiil,"axG",@progbits,_ZL18flash_attn_ext_f16ILi256ELi256ELi64ELi1ELb0ELb0EEvPKcS1_S1_S1_S1_PKiPfP15HIP_vector_typeIfLj2EEffffjfiS5_IjLj3EEiiiiiiiiiiiliiliiiiil,comdat
	.globl	_ZL18flash_attn_ext_f16ILi256ELi256ELi64ELi1ELb0ELb0EEvPKcS1_S1_S1_S1_PKiPfP15HIP_vector_typeIfLj2EEffffjfiS5_IjLj3EEiiiiiiiiiiiliiliiiiil ; -- Begin function _ZL18flash_attn_ext_f16ILi256ELi256ELi64ELi1ELb0ELb0EEvPKcS1_S1_S1_S1_PKiPfP15HIP_vector_typeIfLj2EEffffjfiS5_IjLj3EEiiiiiiiiiiiliiliiiiil
	.p2align	8
	.type	_ZL18flash_attn_ext_f16ILi256ELi256ELi64ELi1ELb0ELb0EEvPKcS1_S1_S1_S1_PKiPfP15HIP_vector_typeIfLj2EEffffjfiS5_IjLj3EEiiiiiiiiiiiliiliiiiil,@function
_ZL18flash_attn_ext_f16ILi256ELi256ELi64ELi1ELb0ELb0EEvPKcS1_S1_S1_S1_PKiPfP15HIP_vector_typeIfLj2EEffffjfiS5_IjLj3EEiiiiiiiiiiiliiliiiiil: ; @_ZL18flash_attn_ext_f16ILi256ELi256ELi64ELi1ELb0ELb0EEvPKcS1_S1_S1_S1_PKiPfP15HIP_vector_typeIfLj2EEffffjfiS5_IjLj3EEiiiiiiiiiiiliiliiiiil
; %bb.0:
	s_load_dwordx2 s[10:11], s[0:1], 0x80
	s_load_dwordx4 s[80:83], s[0:1], 0x64
	s_mov_b32 s54, s2
                                        ; implicit-def: $vgpr255 : SGPR spill to VGPR lane
	s_load_dword s49, s[0:1], 0xd0
	s_mov_b32 s4, 0
	s_waitcnt lgkmcnt(0)
	s_abs_i32 s2, s11
	v_cvt_f32_u32_e32 v1, s2
	s_sub_i32 s6, 0, s2
	s_abs_i32 s5, s81
	s_xor_b32 s3, s81, s11
	v_rcp_iflag_f32_e32 v1, v1
	s_ashr_i32 s3, s3, 31
	v_mul_f32_e32 v1, 0x4f7ffffe, v1
	v_cvt_u32_f32_e32 v1, v1
	s_nop 0
	v_readfirstlane_b32 s7, v1
	s_mul_i32 s6, s6, s7
	s_mul_hi_u32 s6, s7, s6
	s_add_i32 s7, s7, s6
	s_mul_hi_u32 s6, s5, s7
	s_mul_i32 s7, s6, s2
	s_sub_i32 s5, s5, s7
	s_add_i32 s8, s6, 1
	s_sub_i32 s7, s5, s2
	s_cmp_ge_u32 s5, s2
	s_cselect_b32 s6, s8, s6
	s_cselect_b32 s5, s7, s5
	s_add_i32 s7, s6, 1
	s_cmp_ge_u32 s5, s2
	s_cselect_b32 s2, s7, s6
	s_add_i32 s5, s10, 63
	s_xor_b32 s2, s2, s3
	s_ashr_i32 s6, s5, 31
	s_sub_i32 s3, s2, s3
	s_lshr_b32 s2, s6, 26
	s_add_i32 s5, s5, s2
	s_add_i32 s2, s80, 63
	s_lshr_b32 s2, s2, 6
	s_ashr_i32 s5, s5, 6
	v_writelane_b32 v255, s2, 0
	v_writelane_b32 v255, s5, 1
	s_mul_i32 s99, s2, s5
	v_writelane_b32 v255, s3, 2
	s_mov_b32 s2, s10
	s_mul_i32 s90, s99, s3
	v_writelane_b32 v255, s2, 3
	s_nop 1
	v_writelane_b32 v255, s3, 4
	s_mul_i32 s2, s90, s11
	s_mul_i32 s8, s2, s82
	s_ashr_i32 s9, s8, 31
	v_writelane_b32 v255, s2, 5
	s_mul_i32 s2, s9, s54
	s_mul_hi_u32 s3, s8, s54
	s_add_i32 s5, s3, s2
	s_add_u32 s2, s0, 0xd0
	s_addc_u32 s3, s1, 0
	v_writelane_b32 v255, s2, 6
	s_cmp_lg_u64 s[4:5], 0
	s_mul_i32 s4, s8, s54
	v_writelane_b32 v255, s3, 7
	s_cbranch_scc0 .LBB29_2
; %bb.1:
	s_add_u32 s2, s49, 0
	s_addc_u32 s3, 0, 0
	s_xor_b64 s[6:7], s[2:3], 0
	v_cvt_f32_u32_e32 v1, s6
	v_cvt_f32_u32_e32 v2, s7
	s_sub_u32 s12, 0, s6
	s_subb_u32 s13, 0, s7
	s_mov_b64 s[2:3], 0
	v_fmamk_f32 v1, v2, 0x4f800000, v1
	v_rcp_f32_e32 v1, v1
	s_nop 0
	v_mul_f32_e32 v1, 0x5f7ffffc, v1
	v_mul_f32_e32 v2, 0x2f800000, v1
	v_trunc_f32_e32 v2, v2
	v_fmamk_f32 v1, v2, 0xcf800000, v1
	v_cvt_u32_f32_e32 v2, v2
	v_cvt_u32_f32_e32 v1, v1
	v_readfirstlane_b32 s14, v2
	v_readfirstlane_b32 s10, v1
	s_mul_i32 s11, s12, s14
	s_mul_hi_u32 s16, s12, s10
	s_mul_i32 s15, s13, s10
	s_add_i32 s11, s16, s11
	s_add_i32 s11, s11, s15
	s_mul_i32 s17, s12, s10
	s_mul_i32 s16, s10, s11
	s_mul_hi_u32 s18, s10, s17
	s_mul_hi_u32 s15, s10, s11
	s_add_u32 s16, s18, s16
	s_addc_u32 s15, 0, s15
	s_mul_hi_u32 s19, s14, s17
	s_mul_i32 s17, s14, s17
	s_add_u32 s16, s16, s17
	s_mul_hi_u32 s18, s14, s11
	s_addc_u32 s15, s15, s19
	s_addc_u32 s16, s18, 0
	s_mul_i32 s11, s14, s11
	s_add_u32 s11, s15, s11
	s_addc_u32 s15, 0, s16
	s_add_u32 s16, s10, s11
	s_cselect_b64 s[10:11], -1, 0
	s_cmp_lg_u64 s[10:11], 0
	s_addc_u32 s14, s14, s15
	s_mul_i32 s10, s12, s14
	s_mul_hi_u32 s11, s12, s16
	s_add_i32 s10, s11, s10
	s_mul_i32 s13, s13, s16
	s_add_i32 s10, s10, s13
	s_mul_i32 s12, s12, s16
	s_mul_hi_u32 s13, s14, s12
	s_mul_i32 s15, s14, s12
	s_mul_i32 s18, s16, s10
	s_mul_hi_u32 s12, s16, s12
	s_mul_hi_u32 s17, s16, s10
	s_add_u32 s12, s12, s18
	s_addc_u32 s17, 0, s17
	s_add_u32 s12, s12, s15
	s_mul_hi_u32 s11, s14, s10
	s_addc_u32 s12, s17, s13
	s_addc_u32 s11, s11, 0
	s_mul_i32 s10, s14, s10
	s_add_u32 s10, s12, s10
	s_addc_u32 s12, 0, s11
	s_add_u32 s15, s16, s10
	s_cselect_b64 s[10:11], -1, 0
	s_cmp_lg_u64 s[10:11], 0
	s_addc_u32 s14, s14, s12
	s_ashr_i32 s10, s5, 31
	s_add_u32 s12, s4, s10
	s_mov_b32 s11, s10
	s_addc_u32 s13, s5, s10
	s_xor_b64 s[12:13], s[12:13], s[10:11]
	s_mul_i32 s16, s12, s14
	s_mul_hi_u32 s17, s12, s15
	s_mul_hi_u32 s5, s12, s14
	s_add_u32 s16, s17, s16
	s_addc_u32 s5, 0, s5
	s_mul_hi_u32 s18, s13, s15
	s_mul_i32 s15, s13, s15
	s_add_u32 s15, s16, s15
	s_mul_hi_u32 s17, s13, s14
	s_addc_u32 s5, s5, s18
	s_addc_u32 s15, s17, 0
	s_mul_i32 s14, s13, s14
	s_add_u32 s5, s5, s14
	s_addc_u32 s18, 0, s15
	s_mul_i32 s14, s6, s18
	s_mul_hi_u32 s15, s6, s5
	s_add_i32 s14, s15, s14
	s_mul_i32 s15, s7, s5
	s_add_i32 s19, s14, s15
	s_sub_i32 s16, s13, s19
	s_mul_i32 s14, s6, s5
	s_sub_u32 s12, s12, s14
	s_cselect_b64 s[14:15], -1, 0
	s_cmp_lg_u64 s[14:15], 0
	s_subb_u32 s20, s16, s7
	s_sub_u32 s21, s12, s6
	s_cselect_b64 s[16:17], -1, 0
	s_cmp_lg_u64 s[16:17], 0
	s_subb_u32 s16, s20, 0
	s_cmp_ge_u32 s16, s7
	s_cselect_b32 s17, -1, 0
	s_cmp_ge_u32 s21, s6
	s_cselect_b32 s20, -1, 0
	s_cmp_eq_u32 s16, s7
	s_cselect_b32 s16, s20, s17
	s_add_u32 s17, s5, 1
	s_addc_u32 s20, s18, 0
	s_add_u32 s21, s5, 2
	s_addc_u32 s22, s18, 0
	s_cmp_lg_u32 s16, 0
	s_cselect_b32 s16, s21, s17
	s_cselect_b32 s17, s22, s20
	s_cmp_lg_u64 s[14:15], 0
	s_subb_u32 s13, s13, s19
	s_cmp_ge_u32 s13, s7
	s_cselect_b32 s14, -1, 0
	s_cmp_ge_u32 s12, s6
	s_cselect_b32 s6, -1, 0
	s_cmp_eq_u32 s13, s7
	s_cselect_b32 s6, s6, s14
	s_cmp_lg_u32 s6, 0
	s_cselect_b32 s7, s17, s18
	s_cselect_b32 s6, s16, s5
	s_xor_b64 s[10:11], s[10:11], 0
	s_xor_b64 s[6:7], s[6:7], s[10:11]
	s_sub_u32 s62, s6, s10
	s_branch .LBB29_3
.LBB29_2:
	s_mov_b64 s[2:3], -1
                                        ; implicit-def: $sgpr62_sgpr63
.LBB29_3:
	s_load_dwordx2 s[6:7], s[0:1], 0x74
	v_cvt_f32_u32_e32 v1, s49
	s_andn2_b64 vcc, exec, s[2:3]
	s_waitcnt lgkmcnt(0)
	v_writelane_b32 v255, s6, 8
	s_nop 1
	v_writelane_b32 v255, s7, 9
	s_cbranch_vccnz .LBB29_5
; %bb.4:
	v_rcp_iflag_f32_e32 v2, v1
	s_sub_i32 s2, 0, s49
	v_mul_f32_e32 v2, 0x4f7ffffe, v2
	v_cvt_u32_f32_e32 v2, v2
	s_nop 0
	v_readfirstlane_b32 s3, v2
	s_mul_i32 s2, s2, s3
	s_mul_hi_u32 s2, s3, s2
	s_add_i32 s3, s3, s2
	s_mul_hi_u32 s2, s4, s3
	s_mul_i32 s5, s2, s49
	s_sub_i32 s4, s4, s5
	s_add_i32 s3, s2, 1
	s_sub_i32 s5, s4, s49
	s_cmp_ge_u32 s4, s49
	s_cselect_b32 s2, s3, s2
	s_cselect_b32 s4, s5, s4
	s_add_i32 s3, s2, 1
	s_cmp_ge_u32 s4, s49
	s_cselect_b32 s62, s3, s2
.LBB29_5:
	s_add_i32 s2, s54, 1
	s_mul_i32 s3, s9, s2
	s_mul_hi_u32 s4, s8, s2
	s_add_i32 s7, s4, s3
	s_mov_b32 s6, 0
	s_cmp_lg_u64 s[6:7], 0
	s_mul_i32 s6, s8, s2
	s_cbranch_scc0 .LBB29_523
; %bb.6:
	s_add_u32 s2, s49, 0
	s_addc_u32 s3, 0, 0
	s_xor_b64 s[4:5], s[2:3], 0
	v_cvt_f32_u32_e32 v2, s4
	v_cvt_f32_u32_e32 v3, s5
	s_sub_u32 s10, 0, s4
	s_subb_u32 s11, 0, s5
	v_fmamk_f32 v2, v3, 0x4f800000, v2
	v_rcp_f32_e32 v2, v2
	s_nop 0
	v_mul_f32_e32 v2, 0x5f7ffffc, v2
	v_mul_f32_e32 v3, 0x2f800000, v2
	v_trunc_f32_e32 v3, v3
	v_fmamk_f32 v2, v3, 0xcf800000, v2
	v_cvt_u32_f32_e32 v3, v3
	v_cvt_u32_f32_e32 v2, v2
	v_readfirstlane_b32 s12, v3
	v_readfirstlane_b32 s8, v2
	s_mul_i32 s9, s10, s12
	s_mul_hi_u32 s14, s10, s8
	s_mul_i32 s13, s11, s8
	s_add_i32 s9, s14, s9
	s_add_i32 s9, s9, s13
	s_mul_i32 s15, s10, s8
	s_mul_i32 s14, s8, s9
	s_mul_hi_u32 s16, s8, s15
	s_mul_hi_u32 s13, s8, s9
	s_add_u32 s14, s16, s14
	s_addc_u32 s13, 0, s13
	s_mul_hi_u32 s17, s12, s15
	s_mul_i32 s15, s12, s15
	s_add_u32 s14, s14, s15
	s_mul_hi_u32 s16, s12, s9
	s_addc_u32 s13, s13, s17
	s_addc_u32 s14, s16, 0
	s_mul_i32 s9, s12, s9
	s_add_u32 s9, s13, s9
	s_addc_u32 s13, 0, s14
	s_add_u32 s14, s8, s9
	s_cselect_b64 s[8:9], -1, 0
	s_cmp_lg_u64 s[8:9], 0
	s_addc_u32 s12, s12, s13
	s_mul_i32 s8, s10, s12
	s_mul_hi_u32 s9, s10, s14
	s_add_i32 s8, s9, s8
	s_mul_i32 s11, s11, s14
	s_add_i32 s8, s8, s11
	s_mul_i32 s10, s10, s14
	s_mul_hi_u32 s11, s12, s10
	s_mul_i32 s13, s12, s10
	s_mul_i32 s16, s14, s8
	s_mul_hi_u32 s10, s14, s10
	s_mul_hi_u32 s15, s14, s8
	s_add_u32 s10, s10, s16
	s_addc_u32 s15, 0, s15
	s_add_u32 s10, s10, s13
	s_mul_hi_u32 s9, s12, s8
	s_addc_u32 s10, s15, s11
	s_addc_u32 s9, s9, 0
	s_mul_i32 s8, s12, s8
	s_add_u32 s8, s10, s8
	s_addc_u32 s10, 0, s9
	s_add_u32 s13, s14, s8
	s_cselect_b64 s[8:9], -1, 0
	s_cmp_lg_u64 s[8:9], 0
	s_addc_u32 s12, s12, s10
	s_ashr_i32 s8, s7, 31
	s_add_u32 s10, s6, s8
	s_mov_b32 s9, s8
	s_addc_u32 s11, s7, s8
	s_xor_b64 s[10:11], s[10:11], s[8:9]
	s_mul_i32 s14, s10, s12
	s_mul_hi_u32 s15, s10, s13
	s_mul_hi_u32 s7, s10, s12
	s_add_u32 s14, s15, s14
	s_addc_u32 s7, 0, s7
	s_mul_hi_u32 s16, s11, s13
	s_mul_i32 s13, s11, s13
	s_add_u32 s13, s14, s13
	s_mul_hi_u32 s15, s11, s12
	s_addc_u32 s7, s7, s16
	s_addc_u32 s13, s15, 0
	s_mul_i32 s12, s11, s12
	s_add_u32 s7, s7, s12
	s_addc_u32 s16, 0, s13
	s_mul_i32 s12, s4, s16
	s_mul_hi_u32 s13, s4, s7
	s_add_i32 s12, s13, s12
	s_mul_i32 s13, s5, s7
	s_add_i32 s17, s12, s13
	s_sub_i32 s14, s11, s17
	s_mul_i32 s12, s4, s7
	s_sub_u32 s10, s10, s12
	s_cselect_b64 s[12:13], -1, 0
	s_cmp_lg_u64 s[12:13], 0
	s_subb_u32 s18, s14, s5
	s_sub_u32 s19, s10, s4
	s_cselect_b64 s[14:15], -1, 0
	s_cmp_lg_u64 s[14:15], 0
	s_subb_u32 s14, s18, 0
	s_cmp_ge_u32 s14, s5
	s_cselect_b32 s15, -1, 0
	s_cmp_ge_u32 s19, s4
	s_cselect_b32 s18, -1, 0
	s_cmp_eq_u32 s14, s5
	s_cselect_b32 s14, s18, s15
	s_add_u32 s15, s7, 1
	s_addc_u32 s18, s16, 0
	s_add_u32 s19, s7, 2
	s_addc_u32 s20, s16, 0
	s_cmp_lg_u32 s14, 0
	s_cselect_b32 s14, s19, s15
	s_cselect_b32 s15, s20, s18
	s_cmp_lg_u64 s[12:13], 0
	s_subb_u32 s11, s11, s17
	s_cmp_ge_u32 s11, s5
	s_cselect_b32 s12, -1, 0
	s_cmp_ge_u32 s10, s4
	s_cselect_b32 s4, -1, 0
	s_cmp_eq_u32 s11, s5
	s_cselect_b32 s4, s4, s12
	s_cmp_lg_u32 s4, 0
	s_cselect_b32 s5, s15, s16
	s_cselect_b32 s4, s14, s7
	s_xor_b64 s[8:9], s[8:9], 0
	s_xor_b64 s[4:5], s[4:5], s[8:9]
	s_sub_u32 s4, s4, s8
	v_writelane_b32 v255, s4, 10
	s_nop 1
	v_writelane_b32 v255, s5, 11
	s_load_dwordx2 s[96:97], s[0:1], 0x5c
	s_cbranch_execnz .LBB29_8
.LBB29_7:
	v_rcp_iflag_f32_e32 v1, v1
	s_sub_i32 s2, 0, s49
	v_mul_f32_e32 v1, 0x4f7ffffe, v1
	v_cvt_u32_f32_e32 v1, v1
	s_nop 0
	v_readfirstlane_b32 s3, v1
	s_mul_i32 s2, s2, s3
	s_mul_hi_u32 s2, s3, s2
	s_add_i32 s3, s3, s2
	s_mul_hi_u32 s2, s6, s3
	s_mul_i32 s4, s2, s49
	s_sub_i32 s4, s6, s4
	s_add_i32 s3, s2, 1
	s_sub_i32 s5, s4, s49
	s_cmp_ge_u32 s4, s49
	s_cselect_b32 s2, s3, s2
	s_cselect_b32 s4, s5, s4
	s_add_i32 s3, s2, 1
	s_cmp_ge_u32 s4, s49
	s_cselect_b32 s2, s3, s2
	v_writelane_b32 v255, s2, 10
	s_nop 1
	v_writelane_b32 v255, s3, 11
.LBB29_8:
	s_load_dwordx16 s[64:79], s[0:1], 0x0
	s_load_dwordx4 s[12:15], s[0:1], 0x40
	s_load_dword s2, s[0:1], 0x50
	s_ashr_i32 s63, s83, 3
	v_bfe_u32 v123, v0, 10, 10
	s_mov_b32 s91, 0
	s_waitcnt lgkmcnt(0)
	v_cvt_f16_f32_e32 v23, s12
	v_writelane_b32 v255, s2, 12
	s_load_dwordx2 s[2:3], s[0:1], 0x8c
	s_load_dwordx4 s[84:87], s[0:1], 0x98
	s_load_dwordx2 s[4:5], s[0:1], 0xa8
	s_load_dwordx2 s[16:17], s[0:1], 0xb8
	s_nop 0
	s_load_dwordx2 s[0:1], s[0:1], 0xc8
	v_lshlrev_b32_e32 v241, 3, v123
	s_waitcnt lgkmcnt(0)
	s_ashr_i32 s94, s2, 2
	s_ashr_i32 s82, s86, 2
	v_writelane_b32 v255, s4, 13
	s_ashr_i32 s98, s17, 1
	v_add_u32_e32 v196, 8, v123
	v_writelane_b32 v255, s5, 14
	v_writelane_b32 v255, s0, 15
	v_add_u32_e32 v195, 16, v123
	v_add_u32_e32 v194, 24, v123
	v_writelane_b32 v255, s1, 16
	s_mov_b32 s1, s3
	v_readlane_b32 s4, v255, 1
	s_abs_i32 s33, s4
	v_cvt_f32_u32_e32 v1, s33
	s_sub_i32 s2, 0, s33
	v_writelane_b32 v255, s0, 17
	v_add_u32_e32 v193, 32, v123
	v_rcp_iflag_f32_e32 v1, v1
	v_writelane_b32 v255, s1, 18
	s_ashr_i32 s1, s4, 31
	v_writelane_b32 v255, s1, 19
	v_mul_f32_e32 v1, 0x4f7ffffe, v1
	v_cvt_u32_f32_e32 v1, v1
	s_abs_i32 s1, s62
	s_ashr_i32 s0, s62, 31
	v_add_u32_e32 v192, 40, v123
	v_readfirstlane_b32 s3, v1
	s_mul_i32 s2, s2, s3
	s_mul_hi_u32 s2, s3, s2
	s_add_i32 s2, s3, s2
	v_writelane_b32 v255, s2, 20
	s_mul_hi_u32 s2, s1, s2
	s_mul_i32 s2, s2, s33
	s_sub_i32 s1, s1, s2
	s_sub_i32 s2, s1, s33
	s_cmp_ge_u32 s1, s33
	s_cselect_b32 s1, s2, s1
	s_sub_i32 s2, s1, s33
	s_cmp_ge_u32 s1, s33
	s_cselect_b32 s1, s2, s1
	s_xor_b32 s1, s1, s0
	s_sub_i32 s42, s1, s0
	v_readlane_b32 s0, v255, 10
	s_mov_b32 s8, s0
	s_sub_i32 s0, s0, s62
	s_add_i32 s2, s0, s42
	s_min_i32 s86, s4, s2
	s_cmp_gt_i32 s8, s62
	v_readlane_b32 s1, v255, 11
	s_cselect_b64 s[6:7], -1, 0
	s_cmp_le_i32 s8, s62
	s_cselect_b64 s[0:1], -1, 0
	s_cmp_gt_i32 s4, s2
	s_cselect_b64 s[2:3], -1, 0
	s_or_b64 s[0:1], s[2:3], s[0:1]
	s_and_b64 vcc, exec, s[0:1]
	v_add_u32_e32 v99, 48, v123
	v_add_u32_e32 v95, 56, v123
	v_lshlrev_b32_e32 v240, 4, v123
	s_cbranch_vccz .LBB29_11
; %bb.9:
	s_andn2_b64 vcc, exec, s[6:7]
	s_cbranch_vccz .LBB29_473
.LBB29_10:
	s_endpgm
.LBB29_11:
	s_cmp_lg_u64 s[70:71], 0
	v_writelane_b32 v255, s49, 21
	s_cselect_b64 s[0:1], -1, 0
	v_writelane_b32 v255, s0, 22
	s_cmp_eq_u64 s[72:73], 0
	s_mov_b64 s[2:3], s[14:15]
	v_writelane_b32 v255, s1, 23
	s_mul_i32 s0, s80, s81
	v_writelane_b32 v255, s0, 24
	s_cselect_b64 s[0:1], -1, 0
	v_writelane_b32 v255, s0, 25
	v_and_b32_e32 v94, 0x3ff, v0
	v_lshlrev_b32_e32 v1, 2, v94
	v_writelane_b32 v255, s1, 26
	s_mov_b32 s1, s13
	v_writelane_b32 v255, s0, 27
	v_bfe_u32 v8, v0, 5, 5
	v_and_b32_e32 v3, 15, v0
	v_writelane_b32 v255, s1, 28
	v_lshrrev_b32_e32 v5, 1, v0
	v_lshl_add_u32 v200, v123, 1, v8
	v_and_b32_e32 v98, 0x7c, v1
	v_writelane_b32 v255, s2, 29
	v_add_u32_e32 v198, 0, v1
	v_mul_u32_u24_e32 v4, 0x210, v3
	v_and_b32_e32 v5, 0xf8, v5
	v_mul_u32_u24_e32 v8, 0x210, v200
	v_lshlrev_b32_e32 v1, 2, v98
	v_writelane_b32 v255, s3, 30
	v_cmp_nle_f32_e64 s[0:1], s13, 0
	v_and_b32_e32 v2, 0xff0, v241
	s_movk_i32 s6, 0x210
	v_add3_u32 v4, 0, v4, v5
	v_and_b32_e32 v6, 16, v240
	v_add3_u32 v201, 0, v8, v1
	v_bfe_u32 v1, v0, 2, 8
	v_writelane_b32 v255, s0, 31
	s_cmp_lg_u64 s[74:75], 0
	v_mad_u32_u24 v199, v2, s6, v4
	v_and_b32_e32 v7, 8, v241
	s_movk_i32 s2, 0x420
	v_mad_u32_u24 v202, v6, s6, v4
	v_and_b32_e32 v4, 0x7c, v1
	v_or_b32_e32 v1, 3, v1
	v_writelane_b32 v255, s1, 32
	s_cselect_b64 s[0:1], -1, 0
	v_mad_u32_u24 v7, v7, s2, 0
	v_mul_u32_u24_e32 v1, 0x210, v1
	v_lshlrev_b32_e32 v8, 1, v3
	v_writelane_b32 v255, s0, 33
	v_add3_u32 v205, v7, v1, v8
	v_bfe_u32 v1, v0, 10, 1
	v_writelane_b32 v255, s1, 34
	v_cmp_eq_u32_e64 s[2:3], 0, v1
	v_and_b32_e32 v1, 0x400, v0
	v_add_u32_e32 v203, v4, v6
	v_writelane_b32 v255, s2, 35
	v_or_b32_e32 v2, v2, v3
	v_add_u16_e32 v6, v4, v6
	v_writelane_b32 v255, s3, 36
	v_cmp_ne_u32_e64 s[2:3], 0, v1
	v_or_b32_e32 v1, v241, v94
	v_lshlrev_b32_e32 v96, 3, v1
	v_or_b32_e32 v1, v240, v3
	v_mul_u32_u24_e32 v1, 0x110, v1
	v_add3_u32 v206, 0, v1, v5
	v_lshrrev_b32_e32 v1, 10, v0
	v_bfe_u32 v207, v1, 1, 9
	v_mul_u32_u24_e32 v4, 0x210, v4
	v_writelane_b32 v255, s2, 37
	v_bfe_u32 v3, v123, 1, 4
	s_movk_i32 s4, 0x1e0
	v_add_u32_e32 v208, 4, v207
	v_add_u32_e32 v10, 20, v207
	;; [unrolled: 1-line block ×3, first 2 shown]
	v_add3_u32 v204, v7, v4, v8
	v_writelane_b32 v255, s3, 38
	v_and_or_b32 v1, v1, s4, v3
	v_lshlrev_b32_e32 v4, 1, v208
	v_and_b32_e32 v5, 15, v208
	s_movk_i32 s4, 0x3e0
	v_add_u32_e32 v7, 8, v207
	v_lshlrev_b32_e32 v9, 1, v10
	v_and_b32_e32 v10, 15, v10
	v_add_u32_e32 v11, 24, v207
	v_lshlrev_b32_e32 v13, 1, v14
	v_and_b32_e32 v14, 15, v14
	v_add_u32_e32 v15, 40, v207
	v_writelane_b32 v255, s54, 39
	v_and_or_b32 v4, v4, s4, v5
	v_lshlrev_b32_e32 v5, 1, v7
	v_mov_b32_e32 v137, v7
	v_and_b32_e32 v7, 15, v7
	v_add_u32_e32 v8, 12, v207
	v_and_or_b32 v9, v9, s4, v10
	v_lshlrev_b32_e32 v10, 1, v11
	v_and_b32_e32 v11, 15, v11
	v_add_u32_e32 v12, 28, v207
	v_and_or_b32 v13, v13, s4, v14
	v_lshlrev_b32_e32 v14, 1, v15
	v_and_b32_e32 v15, 15, v15
	v_add_u32_e32 v16, 44, v207
	v_writelane_b32 v255, s90, 40
	s_lshl_b32 s90, s54, 6
	v_and_or_b32 v5, v5, s4, v7
	v_lshlrev_b32_e32 v7, 1, v8
	v_and_b32_e32 v8, 15, v8
	v_and_or_b32 v10, v10, s4, v11
	v_lshlrev_b32_e32 v11, 1, v12
	v_and_b32_e32 v12, 15, v12
	;; [unrolled: 3-line block ×3, first 2 shown]
	s_mov_b32 s30, s99
	s_ashr_i32 s99, s98, 31
	s_ashr_i32 s95, s94, 31
	;; [unrolled: 1-line block ×3, first 2 shown]
	s_lshl_b32 s14, s94, 4
	s_lshl_b32 s24, s82, 4
	s_lshl_b64 s[2:3], s[90:91], 3
	v_and_or_b32 v7, v7, s4, v8
	v_add_u32_e32 v8, 16, v207
	v_and_or_b32 v11, v11, s4, v12
	v_add_u32_e32 v12, 32, v207
	;; [unrolled: 2-line block ×3, first 2 shown]
	s_add_u32 s2, s78, s2
	v_lshlrev_b32_e32 v8, 1, v8
	v_lshlrev_b32_e32 v12, 1, v12
	v_lshlrev_b32_e32 v16, 1, v16
	v_add_u32_e32 v17, 52, v207
	v_readlane_b32 s26, v255, 5
	s_addc_u32 s3, s79, s3
	v_and_or_b32 v8, v8, s4, v3
	v_and_or_b32 v12, v12, s4, v3
	;; [unrolled: 1-line block ×3, first 2 shown]
	v_lshlrev_b32_e32 v16, 1, v17
	v_and_b32_e32 v17, 15, v17
	s_abs_i32 s8, s26
	v_and_or_b32 v16, v16, s4, v17
	v_cvt_f32_u32_e32 v17, s8
	v_readlane_b32 s90, v255, 40
	v_add_u32_e32 v19, 56, v207
	s_abs_i32 s9, s90
	v_rcp_iflag_f32_e32 v17, v17
	v_lshlrev_b32_e32 v18, 1, v19
	v_and_b32_e32 v19, 15, v19
	v_add_u32_e32 v20, 60, v207
	v_mul_f32_e32 v17, 0x4f7ffffe, v17
	v_cvt_u32_f32_e32 v17, v17
	v_cvt_f32_u32_e32 v21, s9
	v_and_or_b32 v18, v18, s4, v19
	v_lshlrev_b32_e32 v19, 1, v20
	v_and_b32_e32 v20, 15, v20
	v_and_or_b32 v19, v19, s4, v20
	s_sub_i32 s4, 0, s8
	v_mul_lo_u32 v20, s4, v17
	s_abs_i32 s4, s30
	v_rcp_iflag_f32_e32 v21, v21
	v_cvt_f32_u32_e32 v22, s4
	v_mul_hi_u32 v20, v17, v20
	v_add_u32_e32 v223, v17, v20
	v_mul_f32_e32 v21, 0x4f7ffffe, v21
	v_rcp_iflag_f32_e32 v17, v22
	v_cvt_u32_f32_e32 v21, v21
	s_abs_i32 s27, s16
	v_cvt_f32_u32_e32 v22, s27
	v_writelane_b32 v255, s8, 41
	s_sub_i32 s8, 0, s9
	v_mul_f32_e32 v17, 0x4f7ffffe, v17
	v_mul_lo_u32 v20, s8, v21
	v_cvt_u32_f32_e32 v17, v17
	v_writelane_b32 v255, s9, 42
	v_mul_hi_u32 v20, v21, v20
	s_mov_b32 s8, s16
	v_writelane_b32 v255, s8, 43
	v_add_u32_e32 v224, v21, v20
	v_rcp_iflag_f32_e32 v20, v22
	v_writelane_b32 v255, s9, 44
	s_sub_i32 s8, 0, s4
	v_mul_lo_u32 v21, s8, v17
	v_mul_hi_u32 v21, v17, v21
	v_mul_u32_u24_e32 v233, 0x110, v1
	v_mul_u32_u24_e32 v1, 0x110, v7
	s_movk_i32 s5, 0x90
	v_add_u32_e32 v225, v17, v21
	v_mul_f32_e32 v17, 0x4f7ffffe, v20
	scratch_store_dword off, v1, off offset:80 ; 4-byte Folded Spill
	v_mul_u32_u24_e32 v1, 0x110, v8
	v_cvt_u32_f32_e32 v17, v17
	v_mad_u32_u24 v2, v2, s5, 0
	s_lshl_b32 s5, s81, 7
	scratch_store_dword off, v1, off offset:84 ; 4-byte Folded Spill
	v_mul_u32_u24_e32 v1, 0x110, v9
	v_writelane_b32 v255, s5, 45
	scratch_store_dword off, v1, off offset:92 ; 4-byte Folded Spill
	v_mul_u32_u24_e32 v1, 0x110, v10
	s_ashr_i32 s5, s26, 31
	scratch_store_dword off, v1, off offset:96 ; 4-byte Folded Spill
	v_mul_u32_u24_e32 v1, 0x110, v11
	v_writelane_b32 v255, s5, 46
	s_ashr_i32 s5, s90, 31
	scratch_store_dword off, v1, off offset:100 ; 4-byte Folded Spill
	v_mul_u32_u24_e32 v1, 0x110, v12
	v_writelane_b32 v255, s5, 47
	s_ashr_i32 s5, s30, 31
	v_readfirstlane_b32 s25, v17
	v_lshrrev_b16_e32 v6, 1, v6
	v_add_u32_e32 v227, 32, v203
	v_add_u32_e32 v229, 34, v203
	scratch_store_dword off, v1, off offset:104 ; 4-byte Folded Spill
	v_mul_u32_u24_e32 v1, 0x110, v13
	v_writelane_b32 v255, s5, 48
	s_sub_i32 s5, 0, s27
	v_lshl_add_u32 v226, v6, 2, v2
	v_lshl_add_u32 v228, v227, 1, v2
	v_lshl_add_u32 v230, v229, 1, v2
	v_add_u32_e32 v2, v240, v94
	scratch_store_dword off, v1, off offset:108 ; 4-byte Folded Spill
	v_mul_u32_u24_e32 v1, 0x110, v14
	s_mul_i32 s5, s5, s25
	v_mov_b32_e32 v97, 0
	v_mul_lo_u32 v108, s82, v200
	v_mul_u32_u24_e32 v231, 0x110, v2
	v_and_b32_e32 v2, 31, v0
	scratch_store_dword off, v1, off offset:112 ; 4-byte Folded Spill
	v_mul_u32_u24_e32 v1, 0x110, v15
	s_mul_hi_u32 s5, s25, s5
	v_ashrrev_i32_e32 v109, 31, v108
	v_add_u32_e32 v110, s24, v108
	v_add_u32_e32 v6, v240, v2
	scratch_store_dword off, v1, off offset:116 ; 4-byte Folded Spill
	v_mul_u32_u24_e32 v1, 0x110, v3
	v_writelane_b32 v255, s27, 49
	s_add_i32 s5, s25, s5
	v_lshlrev_b32_e32 v118, 4, v2
	v_lshl_add_u64 v[2:3], s[2:3], 0, v[96:97]
	v_ashrrev_i32_e32 v111, 31, v110
	v_add_u32_e32 v112, s24, v110
	v_writelane_b32 v255, s5, 50
	scratch_store_dwordx2 off, v[2:3], off offset:72 ; 8-byte Folded Spill
	v_lshl_add_u64 v[2:3], v[108:109], 2, s[68:69]
	v_cmp_gt_u32_e64 s[2:3], 16, v94
	v_mul_lo_u32 v100, s94, v200
	v_ashrrev_i32_e32 v113, 31, v112
	v_add_u32_e32 v114, s24, v112
	scratch_store_dword off, v1, off offset:120 ; 4-byte Folded Spill
	v_mul_u32_u24_e32 v1, 0x110, v16
	scratch_store_dwordx2 off, v[2:3], off offset:16 ; 8-byte Folded Spill
	v_lshl_add_u64 v[2:3], v[110:111], 2, s[68:69]
	v_writelane_b32 v255, s2, 51
	v_add_u32_e32 v102, s14, v100
	v_ashrrev_i32_e32 v115, 31, v114
	scratch_store_dword off, v1, off offset:124 ; 4-byte Folded Spill
	v_mul_u32_u24_e32 v1, 0x110, v18
	scratch_store_dwordx2 off, v[2:3], off offset:24 ; 8-byte Folded Spill
	v_lshl_add_u64 v[2:3], v[112:113], 2, s[68:69]
	v_writelane_b32 v255, s3, 52
	v_cmp_gt_u32_e64 s[2:3], 32, v94
	v_ashrrev_i32_e32 v101, 31, v100
	v_add_u32_e32 v104, s14, v102
	scratch_store_dword off, v1, off offset:128 ; 4-byte Folded Spill
	v_mul_u32_u24_e32 v1, 0x110, v19
	scratch_store_dwordx2 off, v[2:3], off offset:32 ; 8-byte Folded Spill
	v_lshl_add_u64 v[2:3], v[114:115], 2, s[68:69]
	v_writelane_b32 v255, s2, 53
	v_ashrrev_i32_e32 v103, 31, v102
	v_add_u32_e32 v106, s14, v104
	scratch_store_dword off, v1, off offset:132 ; 4-byte Folded Spill
                                        ; implicit-def: $vgpr1
	scratch_store_dwordx2 off, v[2:3], off offset:40 ; 8-byte Folded Spill
	v_lshl_add_u64 v[2:3], v[100:101], 2, s[66:67]
	v_writelane_b32 v255, s3, 54
	s_lshl_b64 s[2:3], s[98:99], 1
	s_mov_b64 s[92:93], src_private_base
	s_mov_b32 s7, 0x10001
	v_ashrrev_i32_e32 v105, 31, v104
	v_ashrrev_i32_e32 v107, 31, v106
	v_lshlrev_b32_e32 v116, 1, v94
	v_mbcnt_lo_u32_b32 v1, -1, 0
	v_mad_u32_u24 v240, v123, s6, v198
	scratch_store_dwordx2 off, v[2:3], off offset:48 ; 8-byte Folded Spill
	v_lshl_add_u64 v[2:3], v[102:103], 2, s[66:67]
	v_writelane_b32 v255, s2, 55
	v_cmp_lt_u32_e64 s[0:1], 63, v94
	v_cmp_gt_u32_e64 s[52:53], 64, v200
	v_cmp_gt_u32_e64 s[8:9], 48, v200
	;; [unrolled: 1-line block ×9, first 2 shown]
	v_mul_u32_u24_e32 v232, 0x110, v6
	v_mul_u32_u24_e32 v234, 0x110, v4
	;; [unrolled: 1-line block ×3, first 2 shown]
	v_mov_b32_e32 v117, v97
	v_mov_b32_e32 v119, v97
	s_mov_b32 s81, 0x42b17218
	s_mov_b32 s5, 0x3fb8aa3b
	;; [unrolled: 1-line block ×4, first 2 shown]
	v_mbcnt_hi_u32_b32 v249, -1, v1
	v_mov_b32_e32 v128, v97
	v_mov_b32_e32 v129, v97
	;; [unrolled: 1-line block ×4, first 2 shown]
	v_mul_lo_u32 v250, v23, s7
	s_mov_b32 s92, 0x5040100
	v_sub_u32_e32 v251, v198, v116
	v_mul_u32_u24_e32 v252, 0x90, v123
	v_add_u32_e32 v253, 16, v200
	v_add_u32_e32 v254, 0x2100, v201
	;; [unrolled: 1-line block ×6, first 2 shown]
	v_or_b32_e32 v245, 1, v203
	v_or_b32_e32 v244, 2, v203
	;; [unrolled: 1-line block ×3, first 2 shown]
	v_add_u32_e32 v215, 33, v203
	v_add_u32_e32 v242, 35, v203
	v_mul_u32_u24_e32 v241, 0x210, v123
	v_add_u32_e32 v221, 0x1080, v240
	v_add_u32_e32 v222, 0x2100, v240
	;; [unrolled: 1-line block ×7, first 2 shown]
	v_mov_b32_e32 v214, 0x7f800000
	v_mov_b32_e32 v213, 0x7fc00000
	;; [unrolled: 1-line block ×3, first 2 shown]
	v_cmp_gt_u32_e64 s[24:25], 31, v203
	v_add_u32_e32 v122, 64, v94
	scratch_store_dwordx2 off, v[2:3], off offset:56 ; 8-byte Folded Spill
	v_lshl_add_u64 v[2:3], v[104:105], 2, s[66:67]
	v_lshl_add_u64 v[138:139], v[106:107], 2, s[66:67]
	v_cmp_gt_u32_e64 s[26:27], 30, v203
	v_cmp_gt_u32_e64 s[28:29], 29, v203
	v_writelane_b32 v255, s3, 56
	s_mov_b32 s99, s30
	s_lshl_b64 s[30:31], s[82:83], 8
	s_lshl_b64 s[2:3], s[94:95], 8
	s_mov_b64 s[88:89], 0x80
	scratch_store_dword off, v23, off offset:88 ; 4-byte Folded Spill
	scratch_store_dwordx2 off, v[2:3], off offset:64 ; 8-byte Folded Spill
	s_branch .LBB29_14
.LBB29_12:                              ;   in Loop: Header=BB29_14 Depth=1
	s_or_b64 exec, exec, s[36:37]
	s_barrier
.LBB29_13:                              ;   in Loop: Header=BB29_14 Depth=1
	v_readlane_b32 s38, v255, 1
	s_add_i32 s6, s62, s38
	s_abs_i32 s36, s6
	v_readlane_b32 s37, v255, 20
	s_mul_hi_u32 s37, s36, s37
	s_mul_i32 s37, s37, s33
	s_sub_i32 s36, s36, s37
	s_ashr_i32 s7, s6, 31
	s_sub_i32 s37, s36, s33
	s_cmp_ge_u32 s36, s33
	s_cselect_b32 s36, s37, s36
	s_sub_i32 s37, s36, s33
	s_cmp_ge_u32 s36, s33
	s_cselect_b32 s36, s37, s36
	s_xor_b32 s36, s36, s7
	s_sub_i32 s7, s7, s36
	s_add_i32 s62, s6, s7
	v_readlane_b32 s6, v255, 10
	s_sub_i32 s36, s6, s62
	s_min_i32 s86, s38, s36
	v_readlane_b32 s7, v255, 11
	s_cmp_gt_i32 s6, s62
	s_cselect_b64 s[6:7], -1, 0
	s_cmp_le_i32 s38, s36
	s_cselect_b64 s[36:37], -1, 0
	s_and_b64 s[36:37], s[36:37], s[6:7]
	s_mov_b32 s42, 0
	s_and_b64 vcc, exec, s[36:37]
	s_cbranch_vccz .LBB29_472
.LBB29_14:                              ; =>This Loop Header: Depth=1
                                        ;     Child Loop BB29_288 Depth 2
                                        ;     Child Loop BB29_56 Depth 2
	s_ashr_i32 s6, s62, 31
	v_readlane_b32 s7, v255, 46
	s_xor_b32 s6, s6, s7
	s_abs_i32 s7, s62
	v_mul_hi_u32 v1, s7, v223
	v_readlane_b32 s36, v255, 41
	v_add_u32_e32 v3, 1, v1
	s_nop 0
	v_mul_lo_u32 v2, v1, s36
	v_sub_u32_e32 v2, s7, v2
	v_subrev_u32_e32 v4, s36, v2
	v_cmp_le_u32_e32 vcc, s36, v2
	s_nop 1
	v_cndmask_b32_e32 v1, v1, v3, vcc
	v_cndmask_b32_e32 v2, v2, v4, vcc
	v_add_u32_e32 v3, 1, v1
	v_cmp_le_u32_e32 vcc, s36, v2
	s_nop 1
	v_cndmask_b32_e32 v1, v1, v3, vcc
	v_xor_b32_e32 v1, s6, v1
	v_subrev_u32_e32 v1, s6, v1
	v_readlane_b32 s6, v255, 22
	v_readlane_b32 s7, v255, 23
	s_andn2_b64 vcc, exec, s[6:7]
	v_ashrrev_i32_e32 v4, 31, v1
	s_cbranch_vccnz .LBB29_16
; %bb.15:                               ;   in Loop: Header=BB29_14 Depth=1
	v_sub_u32_e32 v2, 0, v1
	v_max_i32_e32 v2, v1, v2
	v_readlane_b32 s6, v255, 50
	s_nop 1
	v_mul_hi_u32 v3, v2, s6
	v_readlane_b32 s6, v255, 49
	s_nop 1
	v_mul_lo_u32 v3, v3, s6
	v_sub_u32_e32 v2, v2, v3
	v_subrev_u32_e32 v3, s6, v2
	v_cmp_le_u32_e32 vcc, s6, v2
	s_nop 1
	v_cndmask_b32_e32 v2, v2, v3, vcc
	v_subrev_u32_e32 v3, s6, v2
	v_cmp_le_u32_e32 vcc, s6, v2
	v_readlane_b32 s6, v255, 15
	v_readlane_b32 s7, v255, 16
	v_cndmask_b32_e32 v2, v2, v3, vcc
	v_xor_b32_e32 v2, v2, v4
	v_sub_u32_e32 v2, v2, v4
	v_ashrrev_i32_e32 v3, 31, v2
	v_mul_lo_u32 v3, s6, v3
	v_mul_hi_u32 v5, s6, v2
	v_add_u32_e32 v3, v5, v3
	v_mul_lo_u32 v5, s7, v2
	v_add_u32_e32 v3, v3, v5
	v_mul_lo_u32 v2, s6, v2
	v_lshl_add_u64 v[148:149], s[70:71], 0, v[2:3]
	s_branch .LBB29_17
.LBB29_16:                              ;   in Loop: Header=BB29_14 Depth=1
	v_mov_b64_e32 v[148:149], 0
.LBB29_17:                              ;   in Loop: Header=BB29_14 Depth=1
	v_readlane_b32 s6, v255, 5
	v_mov_b32_e32 v146, 1.0
	s_nop 0
	v_mul_lo_u32 v2, v1, s6
	v_sub_u32_e32 v2, s62, v2
	v_sub_u32_e32 v5, 0, v2
	v_ashrrev_i32_e32 v3, 31, v2
	v_readlane_b32 s6, v255, 47
	v_max_i32_e32 v5, v2, v5
	v_mul_hi_u32 v6, v5, v224
	v_xor_b32_e32 v3, s6, v3
	v_readlane_b32 s6, v255, 42
	s_nop 1
	v_mul_lo_u32 v7, v6, s6
	v_sub_u32_e32 v5, v5, v7
	v_add_u32_e32 v7, 1, v6
	v_subrev_u32_e32 v8, s6, v5
	v_cmp_le_u32_e32 vcc, s6, v5
	s_nop 1
	v_cndmask_b32_e32 v6, v6, v7, vcc
	v_cndmask_b32_e32 v5, v5, v8, vcc
	v_add_u32_e32 v7, 1, v6
	v_cmp_le_u32_e32 vcc, s6, v5
	v_readlane_b32 s6, v255, 48
	s_nop 0
	v_cndmask_b32_e32 v5, v6, v7, vcc
	v_xor_b32_e32 v5, v5, v3
	v_sub_u32_e32 v5, v5, v3
	v_mul_lo_u32 v3, v5, s90
	v_sub_u32_e32 v3, v2, v3
	v_sub_u32_e32 v6, 0, v3
	v_max_i32_e32 v6, v3, v6
	v_mul_hi_u32 v7, v6, v225
	v_mul_lo_u32 v8, v7, s4
	v_sub_u32_e32 v6, v6, v8
	v_add_u32_e32 v8, 1, v7
	v_subrev_u32_e32 v9, s4, v6
	v_cmp_le_u32_e32 vcc, s4, v6
	v_ashrrev_i32_e32 v2, 31, v3
	v_xor_b32_e32 v2, s6, v2
	v_cndmask_b32_e32 v7, v7, v8, vcc
	v_cndmask_b32_e32 v6, v6, v9, vcc
	v_add_u32_e32 v8, 1, v7
	v_cmp_le_u32_e32 vcc, s4, v6
	v_readlane_b32 s6, v255, 2
	s_nop 0
	v_cndmask_b32_e32 v6, v7, v8, vcc
	v_xor_b32_e32 v6, v6, v2
	v_sub_u32_e32 v6, v6, v2
	v_mul_lo_u32 v2, v5, s6
	v_readlane_b32 s6, v255, 31
	v_readlane_b32 s7, v255, 32
	v_add_u32_e32 v2, v2, v6
	s_andn2_b64 vcc, exec, s[6:7]
	s_cbranch_vccnz .LBB29_19
; %bb.18:                               ;   in Loop: Header=BB29_14 Depth=1
	v_readlane_b32 s36, v255, 27
	v_readlane_b32 s6, v255, 12
	;; [unrolled: 1-line block ×4, first 2 shown]
	v_subrev_co_u32_e32 v9, vcc, s6, v2
	s_nop 0
	v_mov_b32_e32 v7, s39
	v_mov_b32_e32 v8, s38
	v_lshlrev_b32_e32 v9, 1, v9
	v_cndmask_b32_e32 v7, v7, v8, vcc
	v_add_u32_e32 v8, 1, v2
	v_or_b32_e32 v9, 1, v9
	v_cndmask_b32_e32 v8, v9, v8, vcc
	v_cvt_f32_i32_e32 v8, v8
	v_cmp_neq_f32_e32 vcc, 1.0, v7
	s_mov_b32 s6, 0x3f2aaaab
	s_movk_i32 s7, 0x204
	v_cndmask_b32_e32 v24, 1.0, v8, vcc
	v_cmp_neq_f32_e32 vcc, 0, v24
	v_readlane_b32 s37, v255, 28
	s_brev_b32 s40, -2
	v_cndmask_b32_e32 v7, 1.0, v7, vcc
	v_frexp_mant_f32_e64 v8, |v7|
	v_cmp_gt_f32_e32 vcc, s6, v8
	s_mov_b32 s6, 0x3f317218
	v_cmp_gt_f32_e64 s[38:39], 0, v24
	v_cndmask_b32_e64 v9, 1.0, 2.0, vcc
	v_mul_f32_e32 v8, v8, v9
	v_add_f32_e32 v11, 1.0, v8
	v_rcp_f32_e32 v16, v11
	v_add_f32_e32 v9, -1.0, v11
	v_sub_f32_e32 v13, v8, v9
	v_add_f32_e32 v9, -1.0, v8
	v_mul_f32_e32 v17, v9, v16
	v_mul_f32_e32 v10, v11, v17
	v_fma_f32 v12, v17, v11, -v10
	v_fmac_f32_e32 v12, v17, v13
	v_add_f32_e32 v8, v10, v12
	v_sub_f32_e32 v11, v9, v8
	v_pk_add_f32 v[14:15], v[8:9], v[10:11] neg_lo:[0,1] neg_hi:[0,1]
	v_mov_b32_e32 v13, v8
	v_pk_add_f32 v[8:9], v[14:15], v[12:13] neg_lo:[0,1] neg_hi:[0,1]
	v_mov_b32_e32 v12, 0x3e91f4c4
	v_add_f32_e32 v8, v8, v9
	v_add_f32_e32 v8, v11, v8
	v_mul_f32_e32 v9, v16, v8
	v_add_f32_e32 v8, v17, v9
	v_sub_f32_e32 v10, v8, v17
	v_sub_f32_e32 v18, v9, v10
	v_mul_f32_e32 v9, v8, v8
	v_fma_f32 v11, v8, v8, -v9
	v_add_f32_e32 v10, v18, v18
	v_fmac_f32_e32 v11, v8, v10
	v_add_f32_e32 v10, v9, v11
	v_fmamk_f32 v12, v10, 0x3e76c4e1, v12
	v_fmaak_f32 v12, v10, v12, 0x3ecccdef
	v_sub_f32_e32 v9, v10, v9
	v_sub_f32_e32 v19, v11, v9
	v_mul_f32_e32 v9, v10, v12
	v_fma_f32 v11, v10, v12, -v9
	v_fmac_f32_e32 v11, v19, v12
	v_add_f32_e32 v12, v9, v11
	v_add_f32_e32 v13, 0x3f2aaaaa, v12
	v_sub_f32_e32 v9, v12, v9
	v_sub_f32_e32 v9, v11, v9
	v_add_f32_e32 v11, 0xbf2aaaaa, v13
	v_add_f32_e32 v9, 0x31739010, v9
	v_sub_f32_e32 v11, v12, v11
	v_pk_mul_f32 v[14:15], v[8:9], v[10:11]
	v_pk_add_f32 v[16:17], v[8:9], v[10:11]
	v_fma_f32 v12, v10, v8, -v14
	v_fmac_f32_e32 v12, v10, v18
	v_mov_b32_e32 v15, v17
	v_fmac_f32_e32 v12, v19, v8
	v_pk_add_f32 v[10:11], v[14:15], v[12:13]
	v_ldexp_f32 v20, v18, 1
	v_sub_f32_e32 v9, v10, v14
	v_sub_f32_e32 v9, v12, v9
	;; [unrolled: 1-line block ×3, first 2 shown]
	v_add_f32_e32 v16, v17, v12
	v_pk_mul_f32 v[12:13], v[10:11], v[10:11] op_sel:[0,1] op_sel_hi:[1,0]
	v_cvt_f64_f32_e64 v[14:15], |v7|
	v_frexp_exp_i32_f64_e32 v13, v[14:15]
	v_subbrev_co_u32_e32 v13, vcc, 0, v13, vcc
	v_cvt_f32_i32_e32 v13, v13
	v_fma_f32 v14, v10, v11, -v12
	v_fmac_f32_e32 v14, v10, v16
	v_fmac_f32_e32 v14, v9, v11
	v_mul_f32_e32 v10, 0x3f317218, v13
	v_fma_f32 v16, v13, s6, -v10
	v_fmac_f32_e32 v16, 0xb102e308, v13
	v_ldexp_f32 v17, v8, 1
	v_add_f32_e32 v11, v12, v14
	v_pk_add_f32 v[8:9], v[10:11], v[16:17]
	v_mov_b32_e32 v18, v11
	v_mov_b32_e32 v19, v9
	;; [unrolled: 1-line block ×3, first 2 shown]
	v_pk_add_f32 v[12:13], v[18:19], v[12:13] neg_lo:[0,1] neg_hi:[0,1]
	v_mov_b32_e32 v15, v11
	v_pk_add_f32 v[12:13], v[14:15], v[12:13] neg_lo:[0,1] neg_hi:[0,1]
	v_mov_b32_e32 v17, v8
	v_add_f32_e32 v11, v20, v12
	v_add_f32_e32 v11, v11, v13
	v_pk_add_f32 v[12:13], v[8:9], v[10:11] neg_lo:[0,1] neg_hi:[0,1]
	v_pk_add_f32 v[14:15], v[8:9], v[10:11]
	v_mov_b32_e32 v22, v9
	v_mov_b32_e32 v13, v15
	v_pk_add_f32 v[18:19], v[16:17], v[12:13] neg_lo:[0,1] neg_hi:[0,1]
	v_pk_add_f32 v[12:13], v[16:17], v[12:13]
	v_mov_b32_e32 v10, v11
	v_pk_add_f32 v[16:17], v[12:13], v[8:9] op_sel:[1,0] op_sel_hi:[0,1] neg_lo:[0,1] neg_hi:[0,1]
	v_pk_add_f32 v[20:21], v[14:15], v[16:17] op_sel_hi:[1,0] neg_lo:[0,1] neg_hi:[0,1]
	v_mov_b32_e32 v14, v15
	v_mov_b32_e32 v15, v13
	;; [unrolled: 1-line block ×3, first 2 shown]
	v_pk_add_f32 v[14:15], v[14:15], v[22:23] neg_lo:[0,1] neg_hi:[0,1]
	v_mov_b32_e32 v11, v8
	v_pk_add_f32 v[8:9], v[10:11], v[14:15] neg_lo:[0,1] neg_hi:[0,1]
	v_mov_b32_e32 v20, v18
	v_pk_add_f32 v[10:11], v[20:21], v[8:9]
	v_mov_b32_e32 v19, v13
	v_pk_add_f32 v[14:15], v[10:11], v[10:11] op_sel:[0,1] op_sel_hi:[1,0]
	s_mov_b32 s6, 0x7f800000
	v_pk_add_f32 v[12:13], v[12:13], v[14:15] op_sel:[1,0] op_sel_hi:[0,1]
	v_mov_b32_e32 v11, v12
	v_pk_add_f32 v[16:17], v[10:11], v[18:19] neg_lo:[0,1] neg_hi:[0,1]
	v_mov_b32_e32 v9, v14
	v_sub_f32_e32 v10, v10, v16
	v_pk_add_f32 v[8:9], v[8:9], v[16:17] neg_lo:[0,1] neg_hi:[0,1]
	v_sub_f32_e32 v10, v18, v10
	v_add_f32_e32 v8, v8, v10
	v_add_f32_e32 v8, v8, v9
	;; [unrolled: 1-line block ×3, first 2 shown]
	v_sub_f32_e32 v10, v9, v12
	v_sub_f32_e32 v8, v8, v10
	v_mul_f32_e32 v10, v24, v9
	v_fma_f32 v9, v24, v9, -v10
	v_fmac_f32_e32 v9, v24, v8
	v_add_f32_e32 v8, v10, v9
	v_cmp_class_f32_e64 vcc, v10, s7
	v_sub_f32_e32 v11, v8, v10
	v_sub_f32_e32 v9, v9, v11
	v_cndmask_b32_e32 v8, v8, v10, vcc
	v_mov_b32_e32 v10, 0x37000000
	v_cmp_eq_f32_e32 vcc, s81, v8
	s_nop 1
	v_cndmask_b32_e32 v10, 0, v10, vcc
	v_sub_f32_e32 v11, v8, v10
	v_mul_f32_e32 v12, 0x3fb8aa3b, v11
	v_fma_f32 v13, v11, s5, -v12
	v_rndne_f32_e32 v14, v12
	v_fmac_f32_e32 v13, 0x32a5705f, v11
	v_sub_f32_e32 v12, v12, v14
	v_add_f32_e32 v12, v12, v13
	v_exp_f32_e32 v12, v12
	v_cvt_i32_f32_e32 v13, v14
	v_cmp_neq_f32_e64 vcc, |v8|, s6
	s_nop 1
	v_cndmask_b32_e32 v8, 0, v9, vcc
	v_ldexp_f32 v9, v12, v13
	v_cmp_ngt_f32_e32 vcc, s34, v11
	v_add_f32_e32 v8, v10, v8
	s_nop 0
	v_cndmask_b32_e32 v9, 0, v9, vcc
	v_cmp_nlt_f32_e32 vcc, s81, v11
	s_nop 1
	v_cndmask_b32_e32 v9, v214, v9, vcc
	v_fma_f32 v8, v9, v8, v9
	v_cmp_class_f32_e64 vcc, v9, s7
	v_cmp_class_f32_e64 s[6:7], v7, s7
	s_nop 0
	v_cndmask_b32_e32 v8, v8, v9, vcc
	v_trunc_f32_e32 v9, v24
	v_cmp_eq_f32_e32 vcc, v9, v24
	v_mul_f32_e32 v9, 0.5, v24
	v_trunc_f32_e32 v10, v9
	v_cmp_neq_f32_e64 s[36:37], v10, v9
	s_and_b64 s[36:37], vcc, s[36:37]
	s_nop 0
	v_cndmask_b32_e64 v9, 1.0, v7, s[36:37]
	v_bfi_b32 v8, s40, v8, v9
	v_cndmask_b32_e32 v9, v213, v8, vcc
	v_cmp_gt_f32_e32 vcc, 0, v7
	v_cndmask_b32_e64 v10, 0, v7, s[36:37]
	s_nop 0
	v_cndmask_b32_e32 v8, v8, v9, vcc
	v_cmp_eq_f32_e32 vcc, 0, v7
	s_xor_b64 s[38:39], s[38:39], vcc
	v_cndmask_b32_e64 v9, v214, 0, s[38:39]
	v_bfi_b32 v9, s40, v9, v10
	s_or_b64 vcc, vcc, s[6:7]
	v_cndmask_b32_e32 v8, v8, v9, vcc
	v_cmp_o_f32_e32 vcc, v7, v7
	s_nop 1
	v_cndmask_b32_e32 v146, v213, v8, vcc
.LBB29_19:                              ;   in Loop: Header=BB29_14 Depth=1
	v_mul_lo_u32 v6, v6, s99
	v_sub_u32_e32 v3, v3, v6
	v_ashrrev_i32_e32 v6, 31, v3
	v_readlane_b32 s6, v255, 19
	v_sub_u32_e32 v7, 0, v3
	v_max_i32_e32 v3, v3, v7
	v_xor_b32_e32 v6, s6, v6
	v_readlane_b32 s6, v255, 20
	s_nop 1
	v_mul_hi_u32 v7, v3, s6
	v_mul_lo_u32 v8, v7, s33
	v_sub_u32_e32 v3, v3, v8
	v_add_u32_e32 v8, 1, v7
	v_subrev_u32_e32 v9, s33, v3
	v_cmp_le_u32_e32 vcc, s33, v3
	v_readlane_b32 s6, v255, 33
	v_readlane_b32 s7, v255, 34
	v_cndmask_b32_e32 v7, v7, v8, vcc
	v_cndmask_b32_e32 v3, v3, v9, vcc
	v_add_u32_e32 v8, 1, v7
	v_cmp_le_u32_e32 vcc, s33, v3
	s_nop 1
	v_cndmask_b32_e32 v3, v7, v8, vcc
	v_xor_b32_e32 v3, v3, v6
	s_andn2_b64 vcc, exec, s[6:7]
	v_sub_u32_e32 v6, v3, v6
	s_cbranch_vccnz .LBB29_21
; %bb.20:                               ;   in Loop: Header=BB29_14 Depth=1
	v_readlane_b32 s6, v255, 0
	s_nop 1
	v_mul_lo_u32 v3, v1, s6
	v_add_u32_e32 v8, v6, v3
	v_ashrrev_i32_e32 v9, 31, v8
	v_lshlrev_b64 v[8:9], 2, v[8:9]
	v_lshl_add_u64 v[8:9], s[74:75], 0, v[8:9]
	global_load_dword v3, v[8:9], off
	s_waitcnt vmcnt(0)
	v_readfirstlane_b32 s6, v3
	s_ashr_i32 s7, s6, 31
	s_lshr_b32 s7, s7, 26
	s_add_i32 s6, s6, s7
	s_ashr_i32 s6, s6, 6
	s_min_i32 s86, s86, s6
.LBB29_21:                              ;   in Loop: Header=BB29_14 Depth=1
	v_readlane_b32 s6, v255, 24
	v_mul_lo_u32 v154, v5, s87
	v_ashrrev_i32_e32 v155, 31, v154
	v_mul_lo_u32 v3, s6, v1
	v_add_u32_e32 v3, v2, v3
	v_readlane_b32 s6, v255, 13
	v_lshlrev_b32_e32 v96, 7, v3
	v_readlane_b32 s7, v255, 14
	v_mul_lo_u32 v3, s6, v4
	v_mul_hi_u32 v7, s6, v1
	v_add_u32_e32 v3, v7, v3
	v_mul_lo_u32 v7, s7, v1
	v_lshlrev_b64 v[8:9], 3, v[96:97]
	v_add_u32_e32 v153, v3, v7
	v_mul_lo_u32 v152, s6, v1
	v_lshl_add_u64 v[140:141], s[76:77], 0, v[8:9]
	v_lshl_add_u64 v[8:9], s[68:69], 0, v[152:153]
	v_ashrrev_i32_e32 v3, 31, v2
	v_lshl_add_u64 v[144:145], v[8:9], 0, v[154:155]
	v_lshlrev_b64 v[8:9], 2, v[2:3]
	v_readlane_b32 s6, v255, 25
	v_lshl_add_u64 v[8:9], s[72:73], 0, v[8:9]
	v_readlane_b32 s7, v255, 26
	v_mul_lo_u32 v156, s84, v1
	v_lshlrev_b32_e32 v211, 6, v6
	v_cndmask_b32_e64 v143, v9, 0, s[6:7]
	v_cndmask_b32_e64 v142, v8, 0, s[6:7]
	v_readlane_b32 s6, v255, 8
	v_readlane_b32 s7, v255, 9
	s_cmp_lg_u32 s42, 0
	v_mul_lo_u32 v2, v2, s6
	v_mul_lo_u32 v8, v1, s7
	v_ashrrev_i32_e32 v9, 31, v8
	v_lshl_add_u64 v[8:9], s[64:65], 0, v[8:9]
	v_ashrrev_i32_e32 v3, 31, v2
	v_lshl_add_u64 v[160:161], v[8:9], 0, v[2:3]
	v_mul_lo_u32 v2, s84, v4
	v_mul_hi_u32 v3, s84, v1
	v_readlane_b32 s6, v255, 17
	v_add_u32_e32 v2, v3, v2
	v_mul_lo_u32 v3, s85, v1
	v_readlane_b32 s7, v255, 18
	v_add_u32_e32 v157, v2, v3
	v_lshl_add_u64 v[2:3], s[66:67], 0, v[156:157]
	v_mul_lo_u32 v158, v5, s7
	v_ashrrev_i32_e32 v159, 31, v158
	v_lshl_add_u64 v[150:151], v[2:3], 0, v[158:159]
	v_add_u32_e32 v238, v123, v211
	s_cbranch_scc0 .LBB29_66
; %bb.22:                               ;   in Loop: Header=BB29_14 Depth=1
	v_cmp_le_i32_e32 vcc, s80, v238
	s_and_saveexec_b64 s[6:7], vcc
	s_xor_b64 s[6:7], exec, s[6:7]
; %bb.23:                               ;   in Loop: Header=BB29_14 Depth=1
	v_add_u32_e32 v1, v198, v241
	ds_write2st64_b32 v1, v97, v97 offset1:1
; %bb.24:                               ;   in Loop: Header=BB29_14 Depth=1
	s_andn2_saveexec_b64 s[6:7], s[6:7]
	s_cbranch_execz .LBB29_26
; %bb.25:                               ;   in Loop: Header=BB29_14 Depth=1
	v_mad_u64_u32 v[2:3], s[36:37], v238, s63, v[94:95]
	v_ashrrev_i32_e32 v3, 31, v2
	v_lshl_add_u64 v[2:3], v[2:3], 3, v[160:161]
	global_load_dwordx2 v[4:5], v[2:3], off
	s_waitcnt vmcnt(0)
	v_cvt_pk_f16_f32 v1, v4, v5
	global_load_dwordx2 v[2:3], v[2:3], off offset:512
	v_pk_mul_f16 v1, v1, v250
	s_waitcnt vmcnt(0)
	v_cvt_pk_f16_f32 v2, v2, v3
	v_pk_mul_f16 v2, v2, v250
	ds_write2st64_b32 v240, v1, v2 offset1:1
.LBB29_26:                              ;   in Loop: Header=BB29_14 Depth=1
	s_or_b64 exec, exec, s[6:7]
	v_add_u32_e32 v186, v196, v211
	v_cmp_le_i32_e32 vcc, s80, v186
	s_and_saveexec_b64 s[6:7], vcc
	s_xor_b64 s[6:7], exec, s[6:7]
; %bb.27:                               ;   in Loop: Header=BB29_14 Depth=1
	v_add_u32_e32 v1, v198, v241
	v_add_u32_e32 v1, 0x80, v1
	ds_write2st64_b32 v1, v97, v97 offset0:16 offset1:17
; %bb.28:                               ;   in Loop: Header=BB29_14 Depth=1
	s_andn2_saveexec_b64 s[6:7], s[6:7]
	s_cbranch_execz .LBB29_30
; %bb.29:                               ;   in Loop: Header=BB29_14 Depth=1
	v_mad_u64_u32 v[2:3], s[36:37], v186, s63, v[94:95]
	v_ashrrev_i32_e32 v3, 31, v2
	v_lshl_add_u64 v[2:3], v[2:3], 3, v[160:161]
	global_load_dwordx2 v[4:5], v[2:3], off
	s_waitcnt vmcnt(0)
	v_cvt_pk_f16_f32 v1, v4, v5
	global_load_dwordx2 v[2:3], v[2:3], off offset:512
	v_pk_mul_f16 v1, v1, v250
	s_waitcnt vmcnt(0)
	v_cvt_pk_f16_f32 v2, v2, v3
	v_pk_mul_f16 v2, v2, v250
	ds_write2st64_b32 v221, v1, v2 offset1:1
.LBB29_30:                              ;   in Loop: Header=BB29_14 Depth=1
	s_or_b64 exec, exec, s[6:7]
	v_add_u32_e32 v187, v195, v211
	v_cmp_le_i32_e32 vcc, s80, v187
	s_and_saveexec_b64 s[6:7], vcc
	s_xor_b64 s[6:7], exec, s[6:7]
; %bb.31:                               ;   in Loop: Header=BB29_14 Depth=1
	v_add_u32_e32 v1, v198, v241
	ds_write2st64_b32 v1, v97, v97 offset0:33 offset1:34
; %bb.32:                               ;   in Loop: Header=BB29_14 Depth=1
	s_andn2_saveexec_b64 s[6:7], s[6:7]
	s_cbranch_execz .LBB29_34
; %bb.33:                               ;   in Loop: Header=BB29_14 Depth=1
	v_mad_u64_u32 v[2:3], s[36:37], v187, s63, v[94:95]
	v_ashrrev_i32_e32 v3, 31, v2
	v_lshl_add_u64 v[2:3], v[2:3], 3, v[160:161]
	global_load_dwordx2 v[4:5], v[2:3], off
	s_waitcnt vmcnt(0)
	v_cvt_pk_f16_f32 v1, v4, v5
	global_load_dwordx2 v[2:3], v[2:3], off offset:512
	v_pk_mul_f16 v1, v1, v250
	s_waitcnt vmcnt(0)
	v_cvt_pk_f16_f32 v2, v2, v3
	v_pk_mul_f16 v2, v2, v250
	ds_write2st64_b32 v222, v1, v2 offset1:1
.LBB29_34:                              ;   in Loop: Header=BB29_14 Depth=1
	s_or_b64 exec, exec, s[6:7]
	v_add_u32_e32 v189, v194, v211
	v_cmp_le_i32_e32 vcc, s80, v189
	s_and_saveexec_b64 s[6:7], vcc
	s_xor_b64 s[6:7], exec, s[6:7]
; %bb.35:                               ;   in Loop: Header=BB29_14 Depth=1
	v_add_u32_e32 v1, v198, v241
	v_add_u32_e32 v1, 0x80, v1
	ds_write2st64_b32 v1, v97, v97 offset0:49 offset1:50
; %bb.36:                               ;   in Loop: Header=BB29_14 Depth=1
	s_andn2_saveexec_b64 s[6:7], s[6:7]
	s_cbranch_execz .LBB29_38
; %bb.37:                               ;   in Loop: Header=BB29_14 Depth=1
	v_mad_u64_u32 v[2:3], s[36:37], v189, s63, v[94:95]
	v_ashrrev_i32_e32 v3, 31, v2
	v_lshl_add_u64 v[2:3], v[2:3], 3, v[160:161]
	global_load_dwordx2 v[4:5], v[2:3], off
	s_waitcnt vmcnt(0)
	v_cvt_pk_f16_f32 v1, v4, v5
	global_load_dwordx2 v[2:3], v[2:3], off offset:512
	v_pk_mul_f16 v1, v1, v250
	s_waitcnt vmcnt(0)
	v_cvt_pk_f16_f32 v2, v2, v3
	v_pk_mul_f16 v2, v2, v250
	ds_write2st64_b32 v220, v1, v2 offset1:1
.LBB29_38:                              ;   in Loop: Header=BB29_14 Depth=1
	s_or_b64 exec, exec, s[6:7]
	v_add_u32_e32 v188, v193, v211
	v_cmp_le_i32_e32 vcc, s80, v188
	s_and_saveexec_b64 s[6:7], vcc
	s_xor_b64 s[6:7], exec, s[6:7]
; %bb.39:                               ;   in Loop: Header=BB29_14 Depth=1
	v_add_u32_e32 v1, v198, v241
	ds_write2st64_b32 v1, v97, v97 offset0:66 offset1:67
	;; [unrolled: 51-line block ×3, first 2 shown]
; %bb.48:                               ;   in Loop: Header=BB29_14 Depth=1
	s_andn2_saveexec_b64 s[6:7], s[6:7]
	s_cbranch_execz .LBB29_50
; %bb.49:                               ;   in Loop: Header=BB29_14 Depth=1
	v_mad_u64_u32 v[2:3], s[36:37], v210, s63, v[94:95]
	v_ashrrev_i32_e32 v3, 31, v2
	v_lshl_add_u64 v[2:3], v[2:3], 3, v[160:161]
	global_load_dwordx2 v[4:5], v[2:3], off
	s_waitcnt vmcnt(0)
	v_cvt_pk_f16_f32 v1, v4, v5
	global_load_dwordx2 v[2:3], v[2:3], off offset:512
	v_pk_mul_f16 v1, v1, v250
	s_waitcnt vmcnt(0)
	v_cvt_pk_f16_f32 v2, v2, v3
	v_pk_mul_f16 v2, v2, v250
	ds_write2st64_b32 v216, v1, v2 offset1:1
.LBB29_50:                              ;   in Loop: Header=BB29_14 Depth=1
	s_or_b64 exec, exec, s[6:7]
	v_add_u32_e32 v197, v95, v211
	v_cmp_le_i32_e32 vcc, s80, v197
	s_and_saveexec_b64 s[6:7], vcc
	s_xor_b64 s[6:7], exec, s[6:7]
; %bb.51:                               ;   in Loop: Header=BB29_14 Depth=1
	v_add_u32_e32 v1, v198, v241
	v_add_u32_e32 v1, 0x80, v1
	ds_write2st64_b32 v1, v97, v97 offset0:115 offset1:116
; %bb.52:                               ;   in Loop: Header=BB29_14 Depth=1
	s_andn2_saveexec_b64 s[6:7], s[6:7]
	s_cbranch_execz .LBB29_54
; %bb.53:                               ;   in Loop: Header=BB29_14 Depth=1
	v_mad_u64_u32 v[2:3], s[36:37], v197, s63, v[94:95]
	v_ashrrev_i32_e32 v3, 31, v2
	v_lshl_add_u64 v[2:3], v[2:3], 3, v[160:161]
	global_load_dwordx2 v[4:5], v[2:3], off
	s_waitcnt vmcnt(0)
	v_cvt_pk_f16_f32 v1, v4, v5
	global_load_dwordx2 v[2:3], v[2:3], off offset:512
	v_pk_mul_f16 v1, v1, v250
	s_waitcnt vmcnt(0)
	v_cvt_pk_f16_f32 v2, v2, v3
	v_pk_mul_f16 v2, v2, v250
	ds_write2st64_b32 v239, v1, v2 offset1:1
.LBB29_54:                              ;   in Loop: Header=BB29_14 Depth=1
	s_or_b64 exec, exec, s[6:7]
	s_waitcnt lgkmcnt(0)
	s_barrier
	ds_read2_b64 v[30:33], v199 offset1:4
	ds_read2_b64 v[26:29], v199 offset0:8 offset1:12
	ds_read2_b64 v[22:25], v199 offset0:16 offset1:20
	;; [unrolled: 1-line block ×7, first 2 shown]
	s_add_i32 s43, s86, -1
	s_cmp_ge_i32 s42, s43
	s_waitcnt lgkmcnt(0)
	s_barrier
	s_cbranch_scc1 .LBB29_67
; %bb.55:                               ;   in Loop: Header=BB29_14 Depth=1
	v_mul_hi_u32 v1, s96, v238
	v_add_u32_e32 v1, v238, v1
	v_lshrrev_b32_e32 v1, s97, v1
	v_mul_lo_u32 v1, v1, s80
	v_sub_u32_e32 v1, v238, v1
	v_mad_i64_i32 v[164:165], s[6:7], v1, s98, 0
	v_mul_hi_u32 v1, s96, v186
	v_add_u32_e32 v1, v186, v1
	v_lshrrev_b32_e32 v1, s97, v1
	v_mul_lo_u32 v1, v1, s80
	v_sub_u32_e32 v1, v186, v1
	v_mad_i64_i32 v[166:167], s[6:7], v1, s98, 0
	;; [unrolled: 6-line block ×8, first 2 shown]
	v_and_b32_e32 v1, 64, v249
	v_add_u32_e32 v1, 64, v1
	v_xor_b32_e32 v34, 32, v249
	v_cmp_lt_i32_e32 vcc, v34, v1
	v_lshlrev_b32_e32 v96, 1, v94
	v_cmp_ne_u64_e64 s[36:37], 0, v[148:149]
	v_cndmask_b32_e32 v34, v249, v34, vcc
	v_lshlrev_b32_e32 v190, 2, v34
	v_xor_b32_e32 v34, 16, v249
	v_cmp_lt_i32_e32 vcc, v34, v1
	v_lshl_add_u64 v[162:163], v[148:149], 0, v[96:97]
	v_mov_b32_e32 v180, v146
	v_cndmask_b32_e32 v1, v249, v34, vcc
	v_lshlrev_b32_e32 v209, 2, v1
	v_mov_b32_e32 v181, v146
	s_lshl_b32 s40, s42, 6
	v_mov_b32_e32 v124, 0
	v_mov_b32_e32 v61, 0xfeffffff
	;; [unrolled: 1-line block ×34, first 2 shown]
.LBB29_56:                              ;   Parent Loop BB29_14 Depth=1
                                        ; =>  This Inner Loop Header: Depth=2
	v_cndmask_b32_e64 v1, 0, 1, s[36:37]
	v_cmp_ne_u32_e64 s[38:39], 1, v1
	s_andn2_b64 vcc, exec, s[36:37]
	s_ashr_i32 s41, s40, 31
	s_cbranch_vccnz .LBB29_62
; %bb.57:                               ;   in Loop: Header=BB29_56 Depth=2
	s_and_saveexec_b64 s[6:7], s[0:1]
	s_xor_b64 s[6:7], exec, s[6:7]
	s_cbranch_execz .LBB29_59
; %bb.58:                               ;   in Loop: Header=BB29_56 Depth=2
	v_add_u32_e32 v1, v251, v252
	ds_write_b16 v1, v97 offset:33792
	ds_write_b16 v1, v97 offset:34944
	;; [unrolled: 1-line block ×4, first 2 shown]
.LBB29_59:                              ;   in Loop: Header=BB29_56 Depth=2
	s_or_saveexec_b64 s[6:7], s[6:7]
	v_mov_b32_e32 v1, 0
	v_mov_b32_e32 v34, 0
	v_mov_b32_e32 v35, 0
	v_mov_b32_e32 v36, 0
	s_xor_b64 exec, exec, s[6:7]
	s_cbranch_execz .LBB29_61
; %bb.60:                               ;   in Loop: Header=BB29_56 Depth=2
	v_lshl_add_u64 v[36:37], s[40:41], 1, v[162:163]
	v_lshl_add_u64 v[34:35], v[164:165], 1, v[36:37]
	global_load_ushort v1, v[34:35], off
	v_lshl_add_u64 v[34:35], v[166:167], 1, v[36:37]
	global_load_ushort v38, v[34:35], off
	;; [unrolled: 2-line block ×4, first 2 shown]
	v_add_u32_e32 v35, v251, v252
	s_waitcnt vmcnt(3)
	ds_write_b16 v35, v1 offset:33792
	s_waitcnt vmcnt(2)
	ds_write_b16 v35, v38 offset:34944
	;; [unrolled: 2-line block ×4, first 2 shown]
	v_lshl_add_u64 v[34:35], v[172:173], 1, v[36:37]
	global_load_ushort v1, v[34:35], off
	v_lshl_add_u64 v[34:35], v[174:175], 1, v[36:37]
	v_lshl_add_u64 v[38:39], v[176:177], 1, v[36:37]
	;; [unrolled: 1-line block ×3, first 2 shown]
	global_load_ushort v34, v[34:35], off
	s_nop 0
	global_load_ushort v36, v[36:37], off
	s_nop 0
	global_load_ushort v35, v[38:39], off
.LBB29_61:                              ;   in Loop: Header=BB29_56 Depth=2
	s_or_b64 exec, exec, s[6:7]
	v_add_u32_e32 v37, v251, v252
	s_waitcnt vmcnt(3)
	ds_write_b16 v37, v1 offset:38400
	s_waitcnt vmcnt(2)
	ds_write_b16 v37, v34 offset:39552
	;; [unrolled: 2-line block ×3, first 2 shown]
	ds_write_b16 v37, v36 offset:41856
.LBB29_62:                              ;   in Loop: Header=BB29_56 Depth=2
	s_mul_hi_i32 s7, s40, s94
	s_mul_i32 s6, s40, s94
	s_lshl_b64 s[6:7], s[6:7], 2
	v_lshl_add_u64 v[34:35], v[150:151], 0, s[6:7]
	v_lshl_add_u64 v[36:37], v[100:101], 2, v[34:35]
	v_lshlrev_b32_e32 v96, 2, v98
	v_lshl_add_u64 v[36:37], v[36:37], 0, v[96:97]
	v_mov_b32_e32 v1, s93
	v_lshl_add_u64 v[38:39], v[102:103], 2, v[34:35]
	v_lshl_add_u64 v[42:43], v[104:105], 2, v[34:35]
	;; [unrolled: 1-line block ×3, first 2 shown]
	v_cndmask_b32_e64 v37, v1, v37, s[52:53]
	v_cndmask_b32_e64 v36, v212, v36, s[52:53]
	v_lshl_add_u64 v[34:35], v[34:35], 0, v[96:97]
	scratch_store_dwordx4 off, v[128:131], off
	v_cndmask_b32_e64 v45, v1, v35, s[12:13]
	v_cndmask_b32_e64 v44, v212, v34, s[12:13]
	flat_load_dwordx4 v[34:37], v[36:37]
	v_lshl_add_u64 v[38:39], v[38:39], 0, v[96:97]
	v_cndmask_b32_e64 v39, v1, v39, s[8:9]
	v_cndmask_b32_e64 v38, v212, v38, s[8:9]
	v_lshl_add_u64 v[42:43], v[42:43], 0, v[96:97]
	v_cndmask_b32_e64 v43, v1, v43, s[10:11]
	v_cndmask_b32_e64 v42, v212, v42, s[10:11]
	v_add_u32_e32 v1, 0x4000, v202
	s_and_b64 vcc, exec, s[38:39]
	s_waitcnt vmcnt(0) lgkmcnt(0)
	ds_write_b128 v201, v[34:37]
	flat_load_dwordx4 v[34:37], v[38:39]
	s_waitcnt vmcnt(0) lgkmcnt(0)
	ds_write_b128 v254, v[34:37]
	flat_load_dwordx4 v[34:37], v[42:43]
	s_waitcnt vmcnt(0) lgkmcnt(0)
	ds_write_b128 v248, v[34:37]
	flat_load_dwordx4 v[34:37], v[44:45]
	s_waitcnt vmcnt(0) lgkmcnt(0)
	ds_write_b128 v246, v[34:37]
	s_waitcnt lgkmcnt(0)
	s_barrier
	ds_read2_b64 v[34:37], v202 offset1:4
	s_waitcnt lgkmcnt(0)
	v_mfma_f32_16x16x16_f16 v[42:45], v[34:35], v[30:31], 0
	v_mfma_f32_16x16x16_f16 v[34:37], v[36:37], v[32:33], v[42:45]
	s_nop 6
	ds_read2_b64 v[42:45], v202 offset0:8 offset1:12
	s_waitcnt lgkmcnt(0)
	v_mfma_f32_16x16x16_f16 v[34:37], v[42:43], v[26:27], v[34:37]
	v_mfma_f32_16x16x16_f16 v[34:37], v[44:45], v[28:29], v[34:37]
	ds_read2_b64 v[42:45], v202 offset0:16 offset1:20
	s_waitcnt lgkmcnt(0)
	v_mfma_f32_16x16x16_f16 v[34:37], v[42:43], v[22:23], v[34:37]
	v_mfma_f32_16x16x16_f16 v[34:37], v[44:45], v[24:25], v[34:37]
	;; [unrolled: 4-line block ×8, first 2 shown]
	s_nop 6
	ds_read2_b64 v[132:135], v1 offset0:72 offset1:76
	s_waitcnt lgkmcnt(0)
	v_mfma_f32_16x16x16_f16 v[42:45], v[132:133], v[26:27], v[42:45]
	v_mfma_f32_16x16x16_f16 v[42:45], v[134:135], v[28:29], v[42:45]
	ds_read2_b64 v[132:135], v1 offset0:80 offset1:84
	s_waitcnt lgkmcnt(0)
	v_mfma_f32_16x16x16_f16 v[42:45], v[132:133], v[22:23], v[42:45]
	v_mfma_f32_16x16x16_f16 v[42:45], v[134:135], v[24:25], v[42:45]
	;; [unrolled: 4-line block ×6, first 2 shown]
	ds_read2_b64 v[132:135], v1 offset0:120 offset1:124
	s_waitcnt lgkmcnt(0)
	s_barrier
	v_mfma_f32_16x16x16_f16 v[42:45], v[132:133], v[2:3], v[42:45]
	v_mfma_f32_16x16x16_f16 v[42:45], v[134:135], v[4:5], v[42:45]
	s_cbranch_vccnz .LBB29_64
; %bb.63:                               ;   in Loop: Header=BB29_56 Depth=2
	v_add_u32_e32 v1, 0x8400, v226
	ds_read2_b32 v[34:35], v1 offset1:1
	ds_read_b32 v1, v228 offset:33792
	v_mov_b32_e32 v147, v146
	s_waitcnt lgkmcnt(1)
	v_cvt_f32_f16_e32 v64, v34
	v_cvt_f32_f16_sdwa v65, v34 dst_sel:DWORD dst_unused:UNUSED_PAD src0_sel:WORD_1
	v_cvt_f32_f16_e32 v34, v35
	v_cvt_f32_f16_sdwa v35, v35 dst_sel:DWORD dst_unused:UNUSED_PAD src0_sel:WORD_1
	v_pk_fma_f32 v[36:37], v[180:181], v[64:65], v[36:37]
	v_pk_fma_f32 v[38:39], v[146:147], v[34:35], v[38:39]
	s_waitcnt lgkmcnt(0)
	v_cvt_f32_f16_sdwa v35, v1 dst_sel:DWORD dst_unused:UNUSED_PAD src0_sel:WORD_1
	v_cvt_f32_f16_e32 v34, v1
	ds_read_b32 v1, v230 offset:33792
	v_pk_fma_f32 v[42:43], v[180:181], v[34:35], v[42:43]
	s_waitcnt lgkmcnt(0)
	v_cvt_f32_f16_sdwa v65, v1 dst_sel:DWORD dst_unused:UNUSED_PAD src0_sel:WORD_1
	v_cvt_f32_f16_e32 v64, v1
	v_pk_fma_f32 v[44:45], v[146:147], v[64:65], v[44:45]
.LBB29_64:                              ;   in Loop: Header=BB29_56 Depth=2
	v_add_f32_e32 v1, 0x40051340, v36
	v_max_f32_e32 v34, v61, v61
	v_max_f32_e32 v1, v34, v1
	v_cndmask_b32_e64 v1, v61, v1, s[14:15]
	v_add_f32_e32 v34, 0x40051340, v37
	v_max_f32_e32 v35, v1, v1
	v_max_f32_e32 v34, v35, v34
	v_cndmask_b32_e64 v1, v1, v34, s[16:17]
	;; [unrolled: 4-line block ×8, first 2 shown]
	ds_bpermute_b32 v34, v190, v1
	v_max_f32_e32 v1, v1, v1
	s_mul_hi_i32 s7, s40, s82
	s_mul_i32 s6, s40, s82
	s_lshl_b64 s[6:7], s[6:7], 2
	s_waitcnt lgkmcnt(0)
	v_max_f32_e32 v34, v34, v34
	v_max_f32_e32 v1, v1, v34
	ds_bpermute_b32 v34, v209, v1
	scratch_store_dwordx4 off, v[128:131], off
	s_add_i32 s42, s42, 1
	s_add_i32 s40, s40, 64
	s_cmp_lt_i32 s42, s43
	s_waitcnt lgkmcnt(0)
	v_max_f32_e32 v34, v34, v34
	v_max_f32_e32 v120, v1, v34
	v_sub_f32_e32 v1, v36, v120
	v_mul_f32_e32 v34, 0x3fb8aa3b, v1
	v_fma_f32 v35, v1, s5, -v34
	v_rndne_f32_e32 v36, v34
	v_fmac_f32_e32 v35, 0x32a5705f, v1
	v_sub_f32_e32 v34, v34, v36
	v_add_f32_e32 v34, v34, v35
	v_exp_f32_e32 v34, v34
	v_cvt_i32_f32_e32 v35, v36
	v_cmp_ngt_f32_e32 vcc, s34, v1
	v_ldexp_f32 v34, v34, v35
	s_nop 0
	v_cndmask_b32_e32 v34, 0, v34, vcc
	v_cmp_nlt_f32_e32 vcc, s81, v1
	s_nop 1
	v_cndmask_b32_e32 v1, v214, v34, vcc
	v_cndmask_b32_e64 v36, 0, v1, s[14:15]
	v_sub_f32_e32 v1, v37, v120
	v_mul_f32_e32 v34, 0x3fb8aa3b, v1
	v_fma_f32 v35, v1, s5, -v34
	v_rndne_f32_e32 v37, v34
	v_fmac_f32_e32 v35, 0x32a5705f, v1
	v_sub_f32_e32 v34, v34, v37
	v_add_f32_e32 v34, v34, v35
	v_exp_f32_e32 v34, v34
	v_cvt_i32_f32_e32 v35, v37
	v_cmp_ngt_f32_e32 vcc, s34, v1
	v_ldexp_f32 v34, v34, v35
	s_nop 0
	v_cndmask_b32_e32 v34, 0, v34, vcc
	v_cmp_nlt_f32_e32 vcc, s81, v1
	v_mov_b32_e32 v1, s91
	s_nop 0
	v_cndmask_b32_e32 v34, v214, v34, vcc
	v_add_f32_e32 v37, v34, v36
	v_cndmask_b32_e64 v35, v1, v34, s[16:17]
	v_sub_f32_e32 v34, v38, v120
	v_cndmask_b32_e64 v1, v36, v37, s[16:17]
	v_mul_f32_e32 v37, 0x3fb8aa3b, v34
	v_fma_f32 v38, v34, s5, -v37
	v_rndne_f32_e32 v40, v37
	v_fmac_f32_e32 v38, 0x32a5705f, v34
	v_sub_f32_e32 v37, v37, v40
	v_add_f32_e32 v37, v37, v38
	v_exp_f32_e32 v37, v37
	v_cvt_i32_f32_e32 v38, v40
	v_cmp_ngt_f32_e32 vcc, s34, v34
	v_cvt_pk_f16_f32 v184, v36, v35
	v_ldexp_f32 v37, v37, v38
	v_cndmask_b32_e32 v37, 0, v37, vcc
	v_cmp_nlt_f32_e32 vcc, s81, v34
	v_mov_b32_e32 v34, s91
	s_nop 0
	v_cndmask_b32_e32 v37, v214, v37, vcc
	v_cndmask_b32_e64 v40, v34, v37, s[18:19]
	v_sub_f32_e32 v34, v39, v120
	v_add_f32_e32 v38, v1, v37
	v_mul_f32_e32 v37, 0x3fb8aa3b, v34
	v_cndmask_b32_e64 v1, v1, v38, s[18:19]
	v_fma_f32 v38, v34, s5, -v37
	v_rndne_f32_e32 v39, v37
	v_fmac_f32_e32 v38, 0x32a5705f, v34
	v_sub_f32_e32 v37, v37, v39
	v_add_f32_e32 v37, v37, v38
	v_exp_f32_e32 v37, v37
	v_cvt_i32_f32_e32 v38, v39
	v_cmp_ngt_f32_e32 vcc, s34, v34
	v_ldexp_f32 v37, v37, v38
	s_nop 0
	v_cndmask_b32_e32 v37, 0, v37, vcc
	v_cmp_nlt_f32_e32 vcc, s81, v34
	s_nop 1
	v_cndmask_b32_e32 v34, v214, v37, vcc
	v_mov_b32_e32 v37, s91
	v_add_f32_e32 v38, v1, v34
	v_cndmask_b32_e64 v60, v37, v34, s[20:21]
	v_sub_f32_e32 v34, v42, v120
	v_mul_f32_e32 v37, 0x3fb8aa3b, v34
	v_cndmask_b32_e64 v1, v1, v38, s[20:21]
	v_fma_f32 v38, v34, s5, -v37
	v_rndne_f32_e32 v39, v37
	v_fmac_f32_e32 v38, 0x32a5705f, v34
	v_sub_f32_e32 v37, v37, v39
	v_add_f32_e32 v37, v37, v38
	v_exp_f32_e32 v37, v37
	v_cvt_i32_f32_e32 v38, v39
	v_cmp_ngt_f32_e32 vcc, s34, v34
	v_cvt_pk_f16_f32 v185, v40, v60
	v_ldexp_f32 v37, v37, v38
	v_cndmask_b32_e32 v37, 0, v37, vcc
	v_cmp_nlt_f32_e32 vcc, s81, v34
	v_mov_b32_e32 v34, s91
	s_nop 0
	v_cndmask_b32_e32 v37, v214, v37, vcc
	v_add_f32_e32 v38, v37, v1
	v_cndmask_b32_e64 v34, v34, v37, s[22:23]
	v_cndmask_b32_e64 v37, v1, v38, s[22:23]
	v_sub_f32_e32 v1, v43, v120
	v_mul_f32_e32 v38, 0x3fb8aa3b, v1
	v_fma_f32 v39, v1, s5, -v38
	v_rndne_f32_e32 v42, v38
	v_fmac_f32_e32 v39, 0x32a5705f, v1
	v_sub_f32_e32 v38, v38, v42
	v_add_f32_e32 v38, v38, v39
	v_exp_f32_e32 v38, v38
	v_cvt_i32_f32_e32 v39, v42
	v_cmp_ngt_f32_e32 vcc, s34, v1
	v_ldexp_f32 v38, v38, v39
	s_nop 0
	v_cndmask_b32_e32 v38, 0, v38, vcc
	v_cmp_nlt_f32_e32 vcc, s81, v1
	v_mov_b32_e32 v1, s91
	s_nop 0
	v_cndmask_b32_e32 v38, v214, v38, vcc
	v_add_f32_e32 v39, v38, v37
	v_cndmask_b32_e64 v1, v1, v38, s[24:25]
	v_sub_f32_e32 v38, v44, v120
	v_cndmask_b32_e64 v37, v37, v39, s[24:25]
	v_mul_f32_e32 v39, 0x3fb8aa3b, v38
	v_fma_f32 v42, v38, s5, -v39
	v_rndne_f32_e32 v43, v39
	v_fmac_f32_e32 v42, 0x32a5705f, v38
	v_sub_f32_e32 v39, v39, v43
	v_add_f32_e32 v39, v39, v42
	v_exp_f32_e32 v39, v39
	v_cvt_i32_f32_e32 v42, v43
	v_cmp_ngt_f32_e32 vcc, s34, v38
	v_cvt_pk_f16_f32 v182, v34, v1
	v_ldexp_f32 v39, v39, v42
	v_cndmask_b32_e32 v39, 0, v39, vcc
	v_cmp_nlt_f32_e32 vcc, s81, v38
	v_mov_b32_e32 v38, s91
	s_nop 0
	v_cndmask_b32_e32 v39, v214, v39, vcc
	v_add_f32_e32 v42, v39, v37
	v_cndmask_b32_e64 v38, v38, v39, s[26:27]
	v_cndmask_b32_e64 v39, v37, v42, s[26:27]
	v_sub_f32_e32 v37, v45, v120
	v_mul_f32_e32 v42, 0x3fb8aa3b, v37
	v_fma_f32 v43, v37, s5, -v42
	v_rndne_f32_e32 v44, v42
	v_fmac_f32_e32 v43, 0x32a5705f, v37
	v_sub_f32_e32 v42, v42, v44
	v_add_f32_e32 v42, v42, v43
	v_exp_f32_e32 v42, v42
	v_cvt_i32_f32_e32 v43, v44
	v_cmp_ngt_f32_e32 vcc, s34, v37
	v_ldexp_f32 v42, v42, v43
	s_nop 0
	v_cndmask_b32_e32 v42, 0, v42, vcc
	v_cmp_nlt_f32_e32 vcc, s81, v37
	v_mov_b32_e32 v37, s91
	s_nop 0
	v_cndmask_b32_e32 v42, v214, v42, vcc
	v_add_f32_e32 v43, v42, v39
	v_cndmask_b32_e64 v121, v39, v43, s[28:29]
	v_sub_f32_e32 v39, v61, v120
	v_cndmask_b32_e64 v37, v37, v42, s[28:29]
	v_mul_f32_e32 v42, 0x3fb8aa3b, v39
	v_fma_f32 v43, v39, s5, -v42
	v_rndne_f32_e32 v44, v42
	v_fmac_f32_e32 v43, 0x32a5705f, v39
	v_sub_f32_e32 v42, v42, v44
	v_add_f32_e32 v42, v42, v43
	v_exp_f32_e32 v42, v42
	v_cvt_i32_f32_e32 v43, v44
	v_cmp_ngt_f32_e32 vcc, s34, v39
	v_lshl_add_u64 v[44:45], v[144:145], 0, s[6:7]
	v_cvt_pk_f16_f32 v183, v38, v37
	v_ldexp_f32 v42, v42, v43
	v_cndmask_b32_e32 v42, 0, v42, vcc
	v_cmp_nlt_f32_e32 vcc, s81, v39
	s_nop 1
	v_cndmask_b32_e32 v42, v214, v42, vcc
	v_cmp_le_f32_e32 vcc, s35, v39
	s_nop 1
	v_cndmask_b32_e32 v39, 0, v42, vcc
	v_fmac_f32_e32 v121, v41, v39
	v_cvt_f16_f32_e32 v39, v39
	v_mul_u32_u24_e32 v42, 0x10001, v39
	v_pk_mul_f16 v57, v57, v42
	v_pk_mul_f16 v56, v56, v42
	;; [unrolled: 1-line block ×32, first 2 shown]
	v_lshl_add_u64 v[42:43], v[108:109], 2, v[44:45]
	v_lshl_add_u64 v[42:43], v[42:43], 0, v[96:97]
	v_mov_b32_e32 v46, s93
	v_cndmask_b32_e64 v65, v46, v43, s[52:53]
	v_cndmask_b32_e64 v64, v212, v42, s[52:53]
	flat_load_dwordx4 v[124:127], v[64:65]
	v_lshl_add_u64 v[42:43], v[110:111], 2, v[44:45]
	v_lshl_add_u64 v[42:43], v[42:43], 0, v[96:97]
	v_cndmask_b32_e64 v69, v46, v43, s[8:9]
	v_cndmask_b32_e64 v68, v212, v42, s[8:9]
	v_lshl_add_u64 v[42:43], v[112:113], 2, v[44:45]
	v_lshl_add_u64 v[42:43], v[42:43], 0, v[96:97]
	v_lshl_add_u64 v[44:45], v[114:115], 2, v[44:45]
	v_cndmask_b32_e64 v43, v46, v43, s[10:11]
	v_cndmask_b32_e64 v42, v212, v42, s[10:11]
	v_lshl_add_u64 v[44:45], v[44:45], 0, v[96:97]
	v_cndmask_b32_e64 v47, v46, v45, s[12:13]
	v_cndmask_b32_e64 v46, v212, v44, s[12:13]
	s_waitcnt vmcnt(0) lgkmcnt(0)
	ds_write_b128 v201, v[124:127]
	flat_load_dwordx4 v[124:127], v[68:69]
	s_waitcnt vmcnt(0) lgkmcnt(0)
	ds_write_b128 v254, v[124:127]
	flat_load_dwordx4 v[42:45], v[42:43]
	v_cvt_f32_f16_e32 v124, v49
	v_cvt_f32_f16_sdwa v125, v49 dst_sel:DWORD dst_unused:UNUSED_PAD src0_sel:WORD_1
	v_cvt_f32_f16_e32 v126, v48
	v_cvt_f32_f16_sdwa v127, v48 dst_sel:DWORD dst_unused:UNUSED_PAD src0_sel:WORD_1
	s_waitcnt vmcnt(0) lgkmcnt(0)
	ds_write_b128 v248, v[42:45]
	flat_load_dwordx4 v[42:45], v[46:47]
	s_waitcnt vmcnt(0) lgkmcnt(0)
	ds_write_b128 v246, v[42:45]
	s_waitcnt lgkmcnt(0)
	s_barrier
	ds_read_u16 v46, v204 offset:528
	ds_read_u16 v47, v204 offset:1056
	v_cvt_f32_f16_e32 v42, v57
	v_cvt_f32_f16_sdwa v43, v57 dst_sel:DWORD dst_unused:UNUSED_PAD src0_sel:WORD_1
	v_cvt_f32_f16_e32 v44, v56
	v_cvt_f32_f16_sdwa v45, v56 dst_sel:DWORD dst_unused:UNUSED_PAD src0_sel:WORD_1
	ds_read_u16 v56, v205
	ds_read_u16 v57, v205 offset:32
	s_waitcnt lgkmcnt(1)
	v_perm_b32 v47, v56, v47, s92
	ds_read_u16 v56, v204
	ds_read_u16 v61, v204 offset:32
	s_waitcnt lgkmcnt(1)
	v_perm_b32 v46, v46, v56, s92
	s_nop 1
	v_mfma_f32_16x16x16_f16 v[42:45], v[46:47], v[184:185], v[42:45]
	ds_read_u16 v46, v204 offset:16896
	ds_read_u16 v56, v204 offset:17424
	;; [unrolled: 1-line block ×6, first 2 shown]
	s_nop 1
	v_cvt_f16_f32_e32 v35, v42
	v_cvt_f16_f32_e32 v36, v43
	;; [unrolled: 1-line block ×4, first 2 shown]
	s_waitcnt lgkmcnt(2)
	v_perm_b32 v47, v60, v47, s92
	v_perm_b32 v46, v56, v46, s92
	v_cvt_f32_f16_e32 v42, v35
	v_cvt_f32_f16_e32 v43, v36
	;; [unrolled: 1-line block ×5, first 2 shown]
	v_cvt_f32_f16_sdwa v41, v41 dst_sel:DWORD dst_unused:UNUSED_PAD src0_sel:WORD_1
	v_mfma_f32_16x16x16_f16 v[34:37], v[46:47], v[182:183], v[42:45]
	s_nop 2
	v_cvt_f32_f16_e32 v42, v39
	v_cvt_f32_f16_sdwa v43, v39 dst_sel:DWORD dst_unused:UNUSED_PAD src0_sel:WORD_1
	s_waitcnt lgkmcnt(0)
	v_perm_b32 v39, v57, v38, s92
	v_perm_b32 v38, v1, v61, s92
	s_nop 1
	v_mfma_f32_16x16x16_f16 v[38:41], v[38:39], v[184:185], v[40:43]
	s_nop 2
	ds_read_u16 v42, v204 offset:16928
	ds_read_u16 v44, v204 offset:17456
	;; [unrolled: 1-line block ×4, first 2 shown]
	s_nop 0
	v_cvt_f16_f32_e32 v1, v38
	v_cvt_f16_f32_e32 v39, v39
	;; [unrolled: 1-line block ×4, first 2 shown]
	v_cvt_f32_f16_e32 v38, v1
	ds_read_u16 v1, v204 offset:64
	ds_read_u16 v46, v204 offset:592
	;; [unrolled: 1-line block ×4, first 2 shown]
	s_waitcnt lgkmcnt(4)
	v_perm_b32 v43, v45, v43, s92
	v_perm_b32 v42, v44, v42, s92
	v_cvt_f32_f16_e32 v39, v39
	v_cvt_f32_f16_e32 v40, v40
	;; [unrolled: 1-line block ×3, first 2 shown]
	s_waitcnt lgkmcnt(0)
	v_perm_b32 v47, v56, v47, s92
	v_perm_b32 v46, v46, v1, s92
	v_mfma_f32_16x16x16_f16 v[38:41], v[42:43], v[182:183], v[38:41]
	v_cvt_f32_f16_e32 v42, v53
	v_cvt_f32_f16_sdwa v43, v53 dst_sel:DWORD dst_unused:UNUSED_PAD src0_sel:WORD_1
	v_cvt_f32_f16_e32 v44, v52
	v_cvt_f32_f16_sdwa v45, v52 dst_sel:DWORD dst_unused:UNUSED_PAD src0_sel:WORD_1
	s_nop 1
	v_mfma_f32_16x16x16_f16 v[42:45], v[46:47], v[184:185], v[42:45]
	ds_read_u16 v46, v204 offset:16960
	ds_read_u16 v52, v204 offset:17488
	;; [unrolled: 1-line block ×4, first 2 shown]
	s_nop 3
	v_cvt_f16_f32_e32 v1, v42
	v_cvt_f16_f32_e32 v43, v43
	;; [unrolled: 1-line block ×4, first 2 shown]
	s_waitcnt lgkmcnt(0)
	v_perm_b32 v47, v53, v47, s92
	v_perm_b32 v46, v52, v46, s92
	v_cvt_f32_f16_e32 v42, v1
	v_cvt_f32_f16_e32 v43, v43
	v_cvt_f32_f16_e32 v44, v44
	v_cvt_f32_f16_e32 v45, v45
	s_nop 1
	v_mfma_f32_16x16x16_f16 v[42:45], v[46:47], v[182:183], v[42:45]
	ds_read_u16 v1, v204 offset:96
	ds_read_u16 v46, v204 offset:624
	;; [unrolled: 1-line block ×4, first 2 shown]
	s_waitcnt lgkmcnt(2)
	v_perm_b32 v46, v46, v1, s92
	s_waitcnt lgkmcnt(0)
	v_perm_b32 v47, v52, v47, s92
	ds_read_u16 v52, v204 offset:16992
	ds_read_u16 v56, v204 offset:17520
	;; [unrolled: 1-line block ×4, first 2 shown]
	v_mfma_f32_16x16x16_f16 v[46:49], v[46:47], v[184:185], v[124:127]
	s_waitcnt lgkmcnt(0)
	v_perm_b32 v53, v57, v53, s92
	v_perm_b32 v52, v56, v52, s92
	v_cvt_f32_f16_e32 v124, v51
	s_nop 3
	v_cvt_f16_f32_e32 v1, v46
	v_cvt_f16_f32_e32 v47, v47
	;; [unrolled: 1-line block ×4, first 2 shown]
	v_cvt_f32_f16_e32 v46, v1
	v_cvt_f32_f16_e32 v47, v47
	;; [unrolled: 1-line block ×4, first 2 shown]
	v_cvt_f32_f16_sdwa v125, v51 dst_sel:DWORD dst_unused:UNUSED_PAD src0_sel:WORD_1
	v_cvt_f32_f16_e32 v126, v50
	v_mfma_f32_16x16x16_f16 v[46:49], v[52:53], v[182:183], v[46:49]
	ds_read_u16 v1, v204 offset:128
	ds_read_u16 v52, v204 offset:656
	;; [unrolled: 1-line block ×4, first 2 shown]
	v_cvt_f32_f16_sdwa v127, v50 dst_sel:DWORD dst_unused:UNUSED_PAD src0_sel:WORD_1
	s_waitcnt lgkmcnt(2)
	v_perm_b32 v50, v52, v1, s92
	s_nop 0
	v_cvt_pk_f16_f32 v47, v46, v47
	s_waitcnt lgkmcnt(0)
	v_perm_b32 v51, v56, v53, s92
	ds_read_u16 v56, v204 offset:17024
	ds_read_u16 v60, v204 offset:17552
	ds_read_u16 v57, v204 offset:18080
	ds_read_u16 v61, v205 offset:17024
	v_mfma_f32_16x16x16_f16 v[50:53], v[50:51], v[184:185], v[124:127]
	s_waitcnt lgkmcnt(0)
	v_perm_b32 v57, v61, v57, s92
	v_perm_b32 v56, v60, v56, s92
	v_cvt_f32_f16_e32 v124, v55
	s_nop 3
	v_cvt_f16_f32_e32 v1, v50
	v_cvt_f16_f32_e32 v51, v51
	v_cvt_f16_f32_e32 v52, v52
	v_cvt_f16_f32_e32 v53, v53
	v_cvt_f32_f16_e32 v50, v1
	v_cvt_f32_f16_e32 v51, v51
	v_cvt_f32_f16_e32 v52, v52
	v_cvt_f32_f16_e32 v53, v53
	v_cvt_f32_f16_sdwa v125, v55 dst_sel:DWORD dst_unused:UNUSED_PAD src0_sel:WORD_1
	v_cvt_f32_f16_e32 v126, v54
	v_mfma_f32_16x16x16_f16 v[50:53], v[56:57], v[182:183], v[50:53]
	ds_read_u16 v1, v204 offset:160
	ds_read_u16 v56, v204 offset:688
	ds_read_u16 v57, v204 offset:1216
	ds_read_u16 v60, v205 offset:160
	v_cvt_f32_f16_sdwa v127, v54 dst_sel:DWORD dst_unused:UNUSED_PAD src0_sel:WORD_1
	v_cvt_pk_f16_f32 v46, v48, v49
	s_waitcnt lgkmcnt(2)
	v_perm_b32 v54, v56, v1, s92
	v_cvt_pk_f16_f32 v51, v50, v51
	s_waitcnt lgkmcnt(0)
	v_perm_b32 v55, v60, v57, s92
	ds_read_u16 v60, v204 offset:17056
	ds_read_u16 v64, v204 offset:17584
	ds_read_u16 v61, v204 offset:18112
	ds_read_u16 v65, v205 offset:17056
	v_mfma_f32_16x16x16_f16 v[54:57], v[54:55], v[184:185], v[124:127]
	s_waitcnt lgkmcnt(0)
	v_perm_b32 v61, v65, v61, s92
	v_perm_b32 v60, v64, v60, s92
	v_cvt_f32_f16_e32 v124, v59
	s_nop 3
	v_cvt_f16_f32_e32 v1, v54
	v_cvt_f16_f32_e32 v55, v55
	v_cvt_f16_f32_e32 v56, v56
	v_cvt_f16_f32_e32 v57, v57
	v_cvt_f32_f16_e32 v54, v1
	v_cvt_f32_f16_e32 v55, v55
	v_cvt_f32_f16_e32 v56, v56
	v_cvt_f32_f16_e32 v57, v57
	v_cvt_f32_f16_sdwa v125, v59 dst_sel:DWORD dst_unused:UNUSED_PAD src0_sel:WORD_1
	v_cvt_f32_f16_e32 v126, v58
	v_mfma_f32_16x16x16_f16 v[54:57], v[60:61], v[182:183], v[54:57]
	ds_read_u16 v1, v204 offset:192
	ds_read_u16 v60, v204 offset:720
	ds_read_u16 v61, v204 offset:1248
	ds_read_u16 v64, v205 offset:192
	v_cvt_f32_f16_sdwa v127, v58 dst_sel:DWORD dst_unused:UNUSED_PAD src0_sel:WORD_1
	v_cvt_pk_f16_f32 v50, v52, v53
	s_waitcnt lgkmcnt(2)
	v_perm_b32 v58, v60, v1, s92
	;; [unrolled: 32-line block ×3, first 2 shown]
	v_cvt_pk_f16_f32 v59, v58, v59
	s_waitcnt lgkmcnt(0)
	v_perm_b32 v63, v68, v65, s92
	v_cvt_pk_f16_f32 v58, v60, v61
	v_cvt_pk_f16_f32 v49, v42, v43
	v_mfma_f32_16x16x16_f16 v[62:65], v[62:63], v[184:185], v[124:127]
	v_cvt_pk_f16_f32 v48, v44, v45
	v_cvt_pk_f16_f32 v52, v38, v39
	;; [unrolled: 1-line block ×3, first 2 shown]
	s_nop 4
	v_cvt_f16_f32_e32 v1, v62
	v_cvt_f16_f32_e32 v62, v63
	;; [unrolled: 1-line block ×4, first 2 shown]
	ds_read_u16 v65, v204 offset:17120
	ds_read_u16 v68, v204 offset:17648
	;; [unrolled: 1-line block ×4, first 2 shown]
	v_cvt_f32_f16_e32 v124, v1
	v_cvt_f32_f16_e32 v125, v62
	v_cvt_f32_f16_e32 v126, v63
	s_waitcnt lgkmcnt(2)
	v_perm_b32 v62, v68, v65, s92
	s_waitcnt lgkmcnt(0)
	v_perm_b32 v63, v72, v69, s92
	ds_read_u16 v1, v204 offset:256
	ds_read_u16 v68, v204 offset:784
	;; [unrolled: 1-line block ×4, first 2 shown]
	v_cvt_f32_f16_e32 v127, v64
	v_cvt_pk_f16_f32 v57, v34, v35
	v_cvt_pk_f16_f32 v56, v36, v37
	v_mfma_f32_16x16x16_f16 v[62:65], v[62:63], v[182:183], v[124:127]
	s_nop 2
	v_cvt_f32_f16_e32 v124, v67
	v_cvt_f32_f16_sdwa v125, v67 dst_sel:DWORD dst_unused:UNUSED_PAD src0_sel:WORD_1
	v_cvt_f32_f16_e32 v126, v66
	v_cvt_f32_f16_sdwa v127, v66 dst_sel:DWORD dst_unused:UNUSED_PAD src0_sel:WORD_1
	s_waitcnt lgkmcnt(0)
	v_perm_b32 v67, v72, v69, s92
	v_perm_b32 v66, v68, v1, s92
	ds_read_u16 v72, v204 offset:17152
	ds_read_u16 v76, v204 offset:17680
	ds_read_u16 v73, v204 offset:18208
	ds_read_u16 v77, v205 offset:17152
	v_mfma_f32_16x16x16_f16 v[66:69], v[66:67], v[184:185], v[124:127]
	s_waitcnt lgkmcnt(0)
	v_perm_b32 v73, v77, v73, s92
	v_perm_b32 v72, v76, v72, s92
	v_cvt_f32_f16_e32 v124, v71
	s_nop 3
	v_cvt_f16_f32_e32 v1, v66
	v_cvt_f16_f32_e32 v67, v67
	v_cvt_f16_f32_e32 v68, v68
	v_cvt_f16_f32_e32 v69, v69
	v_cvt_f32_f16_e32 v66, v1
	v_cvt_f32_f16_e32 v67, v67
	v_cvt_f32_f16_e32 v68, v68
	v_cvt_f32_f16_e32 v69, v69
	v_cvt_f32_f16_sdwa v125, v71 dst_sel:DWORD dst_unused:UNUSED_PAD src0_sel:WORD_1
	v_cvt_f32_f16_e32 v126, v70
	v_mfma_f32_16x16x16_f16 v[66:69], v[72:73], v[182:183], v[66:69]
	ds_read_u16 v1, v204 offset:288
	ds_read_u16 v72, v204 offset:816
	ds_read_u16 v73, v204 offset:1344
	ds_read_u16 v76, v205 offset:288
	v_cvt_f32_f16_sdwa v127, v70 dst_sel:DWORD dst_unused:UNUSED_PAD src0_sel:WORD_1
	v_cvt_pk_f16_f32 v63, v62, v63
	s_waitcnt lgkmcnt(2)
	v_perm_b32 v70, v72, v1, s92
	v_cvt_pk_f16_f32 v67, v66, v67
	s_waitcnt lgkmcnt(0)
	v_perm_b32 v71, v76, v73, s92
	ds_read_u16 v76, v204 offset:17184
	ds_read_u16 v80, v204 offset:17712
	ds_read_u16 v77, v204 offset:18240
	ds_read_u16 v81, v205 offset:17184
	v_mfma_f32_16x16x16_f16 v[70:73], v[70:71], v[184:185], v[124:127]
	s_waitcnt lgkmcnt(0)
	v_perm_b32 v77, v81, v77, s92
	v_perm_b32 v76, v80, v76, s92
	v_cvt_f32_f16_e32 v124, v75
	s_nop 3
	v_cvt_f16_f32_e32 v1, v70
	v_cvt_f16_f32_e32 v71, v71
	v_cvt_f16_f32_e32 v72, v72
	v_cvt_f16_f32_e32 v73, v73
	v_cvt_f32_f16_e32 v70, v1
	v_cvt_f32_f16_e32 v71, v71
	v_cvt_f32_f16_e32 v72, v72
	v_cvt_f32_f16_e32 v73, v73
	v_cvt_f32_f16_sdwa v125, v75 dst_sel:DWORD dst_unused:UNUSED_PAD src0_sel:WORD_1
	v_cvt_f32_f16_e32 v126, v74
	v_mfma_f32_16x16x16_f16 v[70:73], v[76:77], v[182:183], v[70:73]
	ds_read_u16 v1, v204 offset:320
	ds_read_u16 v76, v204 offset:848
	ds_read_u16 v77, v204 offset:1376
	ds_read_u16 v80, v205 offset:320
	v_cvt_f32_f16_sdwa v127, v74 dst_sel:DWORD dst_unused:UNUSED_PAD src0_sel:WORD_1
	v_cvt_pk_f16_f32 v66, v68, v69
	s_waitcnt lgkmcnt(2)
	v_perm_b32 v74, v76, v1, s92
	v_cvt_pk_f16_f32 v71, v70, v71
	s_waitcnt lgkmcnt(0)
	v_perm_b32 v75, v80, v77, s92
	ds_read_u16 v80, v204 offset:17216
	ds_read_u16 v84, v204 offset:17744
	ds_read_u16 v81, v204 offset:18272
	ds_read_u16 v85, v205 offset:17216
	v_mfma_f32_16x16x16_f16 v[74:77], v[74:75], v[184:185], v[124:127]
	s_waitcnt lgkmcnt(0)
	v_perm_b32 v81, v85, v81, s92
	v_perm_b32 v80, v84, v80, s92
	v_cvt_f32_f16_e32 v124, v79
	s_nop 3
	v_cvt_f16_f32_e32 v1, v74
	v_cvt_f16_f32_e32 v75, v75
	v_cvt_f16_f32_e32 v76, v76
	v_cvt_f16_f32_e32 v77, v77
	v_cvt_f32_f16_e32 v74, v1
	v_cvt_f32_f16_e32 v75, v75
	v_cvt_f32_f16_e32 v76, v76
	v_cvt_f32_f16_e32 v77, v77
	v_cvt_f32_f16_sdwa v125, v79 dst_sel:DWORD dst_unused:UNUSED_PAD src0_sel:WORD_1
	v_cvt_f32_f16_e32 v126, v78
	v_mfma_f32_16x16x16_f16 v[74:77], v[80:81], v[182:183], v[74:77]
	ds_read_u16 v1, v204 offset:352
	ds_read_u16 v80, v204 offset:880
	ds_read_u16 v81, v204 offset:1408
	ds_read_u16 v84, v205 offset:352
	v_cvt_f32_f16_sdwa v127, v78 dst_sel:DWORD dst_unused:UNUSED_PAD src0_sel:WORD_1
	v_cvt_pk_f16_f32 v70, v72, v73
	s_waitcnt lgkmcnt(2)
	v_perm_b32 v78, v80, v1, s92
	v_cvt_pk_f16_f32 v75, v74, v75
	s_waitcnt lgkmcnt(0)
	v_perm_b32 v79, v84, v81, s92
	ds_read_u16 v84, v204 offset:17248
	ds_read_u16 v88, v204 offset:17776
	ds_read_u16 v85, v204 offset:18304
	ds_read_u16 v89, v205 offset:17248
	v_mfma_f32_16x16x16_f16 v[78:81], v[78:79], v[184:185], v[124:127]
	s_waitcnt lgkmcnt(0)
	v_perm_b32 v85, v89, v85, s92
	v_perm_b32 v84, v88, v84, s92
	v_cvt_f32_f16_e32 v124, v83
	s_nop 3
	v_cvt_f16_f32_e32 v1, v78
	v_cvt_f16_f32_e32 v79, v79
	v_cvt_f16_f32_e32 v80, v80
	v_cvt_f16_f32_e32 v81, v81
	v_cvt_f32_f16_e32 v78, v1
	v_cvt_f32_f16_e32 v79, v79
	v_cvt_f32_f16_e32 v80, v80
	v_cvt_f32_f16_e32 v81, v81
	v_cvt_f32_f16_sdwa v125, v83 dst_sel:DWORD dst_unused:UNUSED_PAD src0_sel:WORD_1
	v_cvt_f32_f16_e32 v126, v82
	v_mfma_f32_16x16x16_f16 v[78:81], v[84:85], v[182:183], v[78:81]
	ds_read_u16 v1, v204 offset:384
	ds_read_u16 v84, v204 offset:912
	ds_read_u16 v85, v204 offset:1440
	ds_read_u16 v88, v205 offset:384
	v_cvt_f32_f16_sdwa v127, v82 dst_sel:DWORD dst_unused:UNUSED_PAD src0_sel:WORD_1
	v_cvt_pk_f16_f32 v74, v76, v77
	s_waitcnt lgkmcnt(2)
	v_perm_b32 v82, v84, v1, s92
	v_cvt_pk_f16_f32 v79, v78, v79
	s_waitcnt lgkmcnt(0)
	v_perm_b32 v83, v88, v85, s92
	ds_read_u16 v88, v204 offset:17280
	ds_read_u16 v92, v204 offset:17808
	ds_read_u16 v89, v204 offset:18336
	ds_read_u16 v93, v205 offset:17280
	v_mfma_f32_16x16x16_f16 v[82:85], v[82:83], v[184:185], v[124:127]
	s_waitcnt lgkmcnt(0)
	v_perm_b32 v89, v93, v89, s92
	v_perm_b32 v88, v92, v88, s92
	v_cvt_f32_f16_e32 v124, v87
	s_nop 3
	v_cvt_f16_f32_e32 v1, v82
	v_cvt_f16_f32_e32 v83, v83
	v_cvt_f16_f32_e32 v84, v84
	v_cvt_f16_f32_e32 v85, v85
	v_cvt_f32_f16_e32 v82, v1
	v_cvt_f32_f16_e32 v83, v83
	v_cvt_f32_f16_e32 v84, v84
	v_cvt_f32_f16_e32 v85, v85
	v_cvt_f32_f16_sdwa v125, v87 dst_sel:DWORD dst_unused:UNUSED_PAD src0_sel:WORD_1
	v_cvt_f32_f16_e32 v126, v86
	v_mfma_f32_16x16x16_f16 v[82:85], v[88:89], v[182:183], v[82:85]
	ds_read_u16 v1, v204 offset:416
	ds_read_u16 v88, v204 offset:944
	ds_read_u16 v89, v204 offset:1472
	ds_read_u16 v92, v205 offset:416
	v_cvt_f32_f16_sdwa v127, v86 dst_sel:DWORD dst_unused:UNUSED_PAD src0_sel:WORD_1
	v_cvt_pk_f16_f32 v78, v80, v81
	s_waitcnt lgkmcnt(2)
	v_perm_b32 v86, v88, v1, s92
	v_cvt_pk_f16_f32 v83, v82, v83
	s_waitcnt lgkmcnt(0)
	v_perm_b32 v87, v92, v89, s92
	v_cvt_pk_f16_f32 v82, v84, v85
	v_cvt_pk_f16_f32 v62, v64, v65
	v_mfma_f32_16x16x16_f16 v[86:89], v[86:87], v[184:185], v[124:127]
	ds_read_u16 v92, v204 offset:17312
	ds_read_u16 v96, v204 offset:17840
	;; [unrolled: 1-line block ×4, first 2 shown]
	v_cvt_f32_f16_sdwa v125, v91 dst_sel:DWORD dst_unused:UNUSED_PAD src0_sel:WORD_1
	v_cvt_f32_f16_e32 v126, v90
	s_nop 1
	v_cvt_f16_f32_e32 v1, v86
	v_cvt_f16_f32_e32 v87, v87
	;; [unrolled: 1-line block ×4, first 2 shown]
	s_waitcnt lgkmcnt(0)
	v_perm_b32 v93, v124, v93, s92
	v_perm_b32 v92, v96, v92, s92
	v_cvt_f32_f16_e32 v86, v1
	v_cvt_f32_f16_e32 v87, v87
	;; [unrolled: 1-line block ×5, first 2 shown]
	v_cvt_f32_f16_sdwa v127, v90 dst_sel:DWORD dst_unused:UNUSED_PAD src0_sel:WORD_1
	v_mfma_f32_16x16x16_f16 v[86:89], v[92:93], v[182:183], v[86:89]
	ds_read_u16 v1, v204 offset:448
	ds_read_u16 v92, v204 offset:976
	;; [unrolled: 1-line block ×4, first 2 shown]
	s_waitcnt lgkmcnt(2)
	v_perm_b32 v90, v92, v1, s92
	s_nop 1
	v_cvt_pk_f16_f32 v87, v86, v87
	s_waitcnt lgkmcnt(0)
	v_perm_b32 v91, v96, v93, s92
	v_cvt_pk_f16_f32 v86, v88, v89
	s_nop 0
	v_mfma_f32_16x16x16_f16 v[90:93], v[90:91], v[184:185], v[124:127]
	ds_read_u16 v96, v204 offset:17344
	s_nop 1
	ds_read_u16 v124, v204 offset:17872
	ds_read_u16 v125, v204 offset:18400
	;; [unrolled: 1-line block ×3, first 2 shown]
	v_cvt_f32_f16_sdwa v127, v147 dst_sel:DWORD dst_unused:UNUSED_PAD src0_sel:WORD_1
	s_nop 0
	v_cvt_f16_f32_e32 v1, v90
	v_cvt_f16_f32_e32 v91, v91
	;; [unrolled: 1-line block ×4, first 2 shown]
	v_cvt_f32_f16_e32 v90, v1
	s_waitcnt lgkmcnt(2)
	v_perm_b32 v124, v124, v96, s92
	ds_read_u16 v1, v204 offset:480
	ds_read_u16 v96, v204 offset:1008
	;; [unrolled: 1-line block ×4, first 2 shown]
	s_waitcnt lgkmcnt(4)
	v_perm_b32 v125, v126, v125, s92
	v_cvt_f32_f16_e32 v91, v91
	v_cvt_f32_f16_e32 v92, v92
	;; [unrolled: 1-line block ×3, first 2 shown]
	s_waitcnt lgkmcnt(0)
	v_perm_b32 v133, v133, v132, s92
	v_perm_b32 v132, v96, v1, s92
	v_mfma_f32_16x16x16_f16 v[90:93], v[124:125], v[182:183], v[90:93]
	v_cvt_f32_f16_e32 v124, v191
	v_cvt_f32_f16_sdwa v125, v191 dst_sel:DWORD dst_unused:UNUSED_PAD src0_sel:WORD_1
	v_cvt_f32_f16_e32 v126, v147
	s_nop 1
	v_mfma_f32_16x16x16_f16 v[124:127], v[132:133], v[184:185], v[124:127]
	s_nop 1
	v_cvt_pk_f16_f32 v91, v90, v91
	v_cvt_pk_f16_f32 v90, v92, v93
	s_nop 3
	v_cvt_f16_f32_e32 v147, v126
	v_cvt_f16_f32_e32 v184, v127
	ds_read_u16 v1, v204 offset:17376
	ds_read_u16 v96, v204 offset:17904
	ds_read_u16 v126, v204 offset:18432
	ds_read_u16 v127, v205 offset:17376
	v_cvt_f16_f32_e32 v124, v124
	v_cvt_f16_f32_e32 v125, v125
	v_cvt_f32_f16_e32 v134, v147
	v_cvt_f32_f16_e32 v135, v184
	;; [unrolled: 1-line block ×4, first 2 shown]
	s_waitcnt lgkmcnt(0)
	v_perm_b32 v125, v127, v126, s92
	v_perm_b32 v124, v96, v1, s92
	s_barrier
	s_nop 0
	v_mfma_f32_16x16x16_f16 v[124:127], v[124:125], v[182:183], v[132:135]
	s_nop 7
	v_cvt_pk_f16_f32 v124, v124, v125
	v_cvt_pk_f16_f32 v125, v126, v127
	s_cbranch_scc0 .LBB29_68
; %bb.65:                               ;   in Loop: Header=BB29_56 Depth=2
	v_mov_b32_e32 v41, v121
	v_mov_b32_e32 v61, v120
	s_branch .LBB29_56
.LBB29_66:                              ;   in Loop: Header=BB29_14 Depth=1
	s_cbranch_execz .LBB29_13
	s_branch .LBB29_249
.LBB29_67:                              ;   in Loop: Header=BB29_14 Depth=1
	v_mov_b32_e32 v120, 0xfeffffff
	v_mov_b32_e32 v121, 0
	;; [unrolled: 1-line block ×34, first 2 shown]
.LBB29_68:                              ;   in Loop: Header=BB29_14 Depth=1
	s_lshl_b32 s6, s42, 6
	v_readlane_b32 s36, v255, 3
	v_cmp_eq_u64_e32 vcc, 0, v[148:149]
	s_sub_i32 s60, s36, s6
	v_cmp_ne_u64_e64 s[44:45], 0, v[148:149]
	s_ashr_i32 s7, s6, 31
	v_readlane_b32 s37, v255, 4
	s_cbranch_vccnz .LBB29_78
; %bb.69:                               ;   in Loop: Header=BB29_14 Depth=1
	v_cmp_le_i32_e32 vcc, s60, v94
	s_and_saveexec_b64 s[36:37], vcc
	s_xor_b64 s[36:37], exec, s[36:37]
	s_cbranch_execz .LBB29_71
; %bb.70:                               ;   in Loop: Header=BB29_14 Depth=1
	v_add_u32_e32 v1, v251, v252
	ds_write_b16 v1, v97 offset:33792
	ds_write_b16 v1, v97 offset:34944
                                        ; implicit-def: $vgpr186
                                        ; implicit-def: $vgpr187
                                        ; implicit-def: $vgpr189
.LBB29_71:                              ;   in Loop: Header=BB29_14 Depth=1
	s_or_saveexec_b64 s[36:37], s[36:37]
	s_lshl_b64 s[38:39], s[6:7], 1
	v_lshl_add_u64 v[34:35], v[148:149], 0, s[38:39]
	v_lshlrev_b32_e32 v96, 1, v94
	v_lshl_add_u64 v[34:35], v[34:35], 0, v[96:97]
	v_mov_b32_e32 v36, 0
	v_mov_b32_e32 v37, 0
	s_xor_b64 exec, exec, s[36:37]
	s_cbranch_execz .LBB29_73
; %bb.72:                               ;   in Loop: Header=BB29_14 Depth=1
	v_mul_hi_u32 v1, s96, v238
	v_add_u32_e32 v1, v238, v1
	v_lshrrev_b32_e32 v1, s97, v1
	v_mul_lo_u32 v1, v1, s80
	v_sub_u32_e32 v1, v238, v1
	v_mad_i64_i32 v[36:37], s[38:39], v1, s98, 0
	v_lshl_add_u64 v[36:37], v[36:37], 1, v[34:35]
	global_load_ushort v1, v[36:37], off
	v_mul_hi_u32 v36, s96, v186
	v_add_u32_e32 v36, v186, v36
	v_lshrrev_b32_e32 v36, s97, v36
	v_mul_lo_u32 v36, v36, s80
	v_sub_u32_e32 v36, v186, v36
	v_mad_i64_i32 v[36:37], s[38:39], v36, s98, 0
	v_lshl_add_u64 v[36:37], v[36:37], 1, v[34:35]
	global_load_ushort v36, v[36:37], off
	v_add_u32_e32 v37, v251, v252
	s_waitcnt vmcnt(1)
	ds_write_b16 v37, v1 offset:33792
	s_waitcnt vmcnt(0)
	ds_write_b16 v37, v36 offset:34944
	v_mul_hi_u32 v1, s96, v187
	v_add_u32_e32 v1, v187, v1
	v_lshrrev_b32_e32 v1, s97, v1
	v_mul_lo_u32 v1, v1, s80
	v_sub_u32_e32 v1, v187, v1
	v_mad_i64_i32 v[36:37], s[38:39], v1, s98, 0
	v_mul_hi_u32 v1, s96, v189
	v_add_u32_e32 v1, v189, v1
	v_lshrrev_b32_e32 v1, s97, v1
	v_mul_lo_u32 v1, v1, s80
	v_sub_u32_e32 v1, v189, v1
	v_mad_i64_i32 v[38:39], s[38:39], v1, s98, 0
	v_lshl_add_u64 v[36:37], v[36:37], 1, v[34:35]
	v_lshl_add_u64 v[38:39], v[38:39], 1, v[34:35]
	global_load_ushort v36, v[36:37], off
	s_nop 0
	global_load_ushort v37, v[38:39], off
.LBB29_73:                              ;   in Loop: Header=BB29_14 Depth=1
	s_or_b64 exec, exec, s[36:37]
	v_add_u32_e32 v1, v251, v252
	s_waitcnt vmcnt(1)
	ds_write_b16 v1, v36 offset:36096
	s_waitcnt vmcnt(0)
	ds_write_b16 v1, v37 offset:37248
	s_and_saveexec_b64 s[36:37], vcc
	s_xor_b64 s[36:37], exec, s[36:37]
	s_cbranch_execz .LBB29_75
; %bb.74:                               ;   in Loop: Header=BB29_14 Depth=1
	ds_write_b16 v1, v97 offset:38400
	ds_write_b16 v1, v97 offset:39552
                                        ; implicit-def: $vgpr188
                                        ; implicit-def: $vgpr34_vgpr35
                                        ; implicit-def: $vgpr237
                                        ; implicit-def: $vgpr210
                                        ; implicit-def: $vgpr197
.LBB29_75:                              ;   in Loop: Header=BB29_14 Depth=1
	s_or_saveexec_b64 s[36:37], s[36:37]
	v_mov_b32_e32 v36, 0
	v_mov_b32_e32 v37, 0
	s_xor_b64 exec, exec, s[36:37]
	s_cbranch_execz .LBB29_77
; %bb.76:                               ;   in Loop: Header=BB29_14 Depth=1
	v_mul_hi_u32 v36, s96, v188
	v_add_u32_e32 v36, v188, v36
	v_lshrrev_b32_e32 v36, s97, v36
	v_mul_lo_u32 v36, v36, s80
	v_sub_u32_e32 v36, v188, v36
	v_mad_i64_i32 v[36:37], s[38:39], v36, s98, 0
	v_lshl_add_u64 v[36:37], v[36:37], 1, v[34:35]
	global_load_ushort v38, v[36:37], off
	v_mul_hi_u32 v36, s96, v237
	v_add_u32_e32 v36, v237, v36
	v_lshrrev_b32_e32 v36, s97, v36
	v_mul_lo_u32 v36, v36, s80
	v_sub_u32_e32 v36, v237, v36
	v_mad_i64_i32 v[36:37], s[38:39], v36, s98, 0
	v_lshl_add_u64 v[36:37], v[36:37], 1, v[34:35]
	global_load_ushort v36, v[36:37], off
	s_waitcnt vmcnt(1)
	ds_write_b16 v1, v38 offset:38400
	s_waitcnt vmcnt(0)
	ds_write_b16 v1, v36 offset:39552
	v_mul_hi_u32 v36, s96, v210
	v_add_u32_e32 v36, v210, v36
	v_lshrrev_b32_e32 v36, s97, v36
	v_mul_lo_u32 v36, v36, s80
	v_sub_u32_e32 v36, v210, v36
	v_mad_i64_i32 v[36:37], s[38:39], v36, s98, 0
	v_lshl_add_u64 v[36:37], v[36:37], 1, v[34:35]
	global_load_ushort v36, v[36:37], off
	v_mul_hi_u32 v37, s96, v197
	v_add_u32_e32 v37, v197, v37
	v_lshrrev_b32_e32 v37, s97, v37
	v_mul_lo_u32 v37, v37, s80
	v_sub_u32_e32 v37, v197, v37
	v_mad_i64_i32 v[38:39], s[38:39], v37, s98, 0
	v_lshl_add_u64 v[34:35], v[38:39], 1, v[34:35]
	global_load_ushort v37, v[34:35], off
.LBB29_77:                              ;   in Loop: Header=BB29_14 Depth=1
	s_or_b64 exec, exec, s[36:37]
	s_waitcnt vmcnt(1)
	ds_write_b16 v1, v36 offset:40704
	s_waitcnt vmcnt(0)
	ds_write_b16 v1, v37 offset:41856
.LBB29_78:                              ;   in Loop: Header=BB29_14 Depth=1
	s_mul_hi_i32 s37, s6, s94
	s_mul_i32 s36, s6, s94
	s_lshl_b64 s[36:37], s[36:37], 2
	v_lshl_add_u64 v[34:35], v[150:151], 0, s[36:37]
	v_lshl_add_u64 v[36:37], v[100:101], 2, v[34:35]
	v_lshlrev_b32_e32 v96, 2, v98
	v_cmp_gt_i32_e64 s[36:37], s60, v200
	v_lshl_add_u64 v[36:37], v[36:37], 0, v[96:97]
	v_mov_b32_e32 v1, s93
	v_lshl_add_u64 v[38:39], v[102:103], 2, v[34:35]
	v_lshl_add_u64 v[40:41], v[104:105], 2, v[34:35]
	;; [unrolled: 1-line block ×3, first 2 shown]
	v_cndmask_b32_e64 v37, v1, v37, s[36:37]
	v_cndmask_b32_e64 v36, v212, v36, s[36:37]
	v_cmp_gt_i32_e64 s[42:43], s60, v247
	v_lshl_add_u64 v[34:35], v[34:35], 0, v[96:97]
	scratch_store_dwordx4 off, v[128:131], off
	v_cndmask_b32_e64 v43, v1, v35, s[42:43]
	v_cndmask_b32_e64 v42, v212, v34, s[42:43]
	flat_load_dwordx4 v[34:37], v[36:37]
	v_cmp_gt_i32_e64 s[38:39], s60, v253
	v_lshl_add_u64 v[38:39], v[38:39], 0, v[96:97]
	v_cmp_gt_i32_e64 s[40:41], s60, v219
	v_cndmask_b32_e64 v39, v1, v39, s[38:39]
	v_cndmask_b32_e64 v38, v212, v38, s[38:39]
	v_lshl_add_u64 v[40:41], v[40:41], 0, v[96:97]
	v_cndmask_b32_e64 v41, v1, v41, s[40:41]
	v_cndmask_b32_e64 v40, v212, v40, s[40:41]
	v_add_u32_e32 v1, 0x4000, v202
	s_andn2_b64 vcc, exec, s[44:45]
	s_waitcnt vmcnt(0) lgkmcnt(0)
	ds_write_b128 v201, v[34:37]
	flat_load_dwordx4 v[34:37], v[38:39]
	s_waitcnt vmcnt(0) lgkmcnt(0)
	ds_write_b128 v254, v[34:37]
	flat_load_dwordx4 v[34:37], v[40:41]
	;; [unrolled: 3-line block ×3, first 2 shown]
	s_waitcnt vmcnt(0) lgkmcnt(0)
	ds_write_b128 v246, v[34:37]
	s_waitcnt lgkmcnt(0)
	s_barrier
	ds_read2_b64 v[34:37], v202 offset1:4
	s_waitcnt lgkmcnt(0)
	v_mfma_f32_16x16x16_f16 v[38:41], v[34:35], v[30:31], 0
	v_mfma_f32_16x16x16_f16 v[34:37], v[36:37], v[32:33], v[38:41]
	s_nop 6
	ds_read2_b64 v[38:41], v202 offset0:8 offset1:12
	s_waitcnt lgkmcnt(0)
	v_mfma_f32_16x16x16_f16 v[34:37], v[38:39], v[26:27], v[34:37]
	v_mfma_f32_16x16x16_f16 v[34:37], v[40:41], v[28:29], v[34:37]
	ds_read2_b64 v[38:41], v202 offset0:16 offset1:20
	s_waitcnt lgkmcnt(0)
	v_mfma_f32_16x16x16_f16 v[34:37], v[38:39], v[22:23], v[34:37]
	v_mfma_f32_16x16x16_f16 v[34:37], v[40:41], v[24:25], v[34:37]
	;; [unrolled: 4-line block ×9, first 2 shown]
	s_nop 6
	ds_read2_b64 v[30:33], v1 offset0:80 offset1:84
	s_waitcnt lgkmcnt(0)
	v_mfma_f32_16x16x16_f16 v[26:29], v[30:31], v[22:23], v[26:29]
	v_mfma_f32_16x16x16_f16 v[22:25], v[32:33], v[24:25], v[26:29]
	s_nop 6
	ds_read2_b64 v[26:29], v1 offset0:88 offset1:92
	s_waitcnt lgkmcnt(0)
	v_mfma_f32_16x16x16_f16 v[22:25], v[26:27], v[18:19], v[22:25]
	v_mfma_f32_16x16x16_f16 v[18:21], v[28:29], v[20:21], v[22:25]
	;; [unrolled: 5-line block ×5, first 2 shown]
	s_nop 6
	ds_read2_b64 v[10:13], v1 offset0:120 offset1:124
	s_waitcnt lgkmcnt(0)
	v_mfma_f32_16x16x16_f16 v[6:9], v[10:11], v[2:3], v[6:9]
	s_barrier
	v_mfma_f32_16x16x16_f16 v[6:9], v[12:13], v[4:5], v[6:9]
	s_cbranch_vccnz .LBB29_80
; %bb.79:                               ;   in Loop: Header=BB29_14 Depth=1
	v_add_u32_e32 v1, 0x8400, v226
	ds_read2_b32 v[2:3], v1 offset1:1
	ds_read_b32 v1, v228 offset:33792
	s_waitcnt lgkmcnt(1)
	v_cvt_f32_f16_e32 v4, v2
	v_cvt_f32_f16_sdwa v5, v2 dst_sel:DWORD dst_unused:UNUSED_PAD src0_sel:WORD_1
	v_cvt_f32_f16_e32 v2, v3
	v_cvt_f32_f16_sdwa v3, v3 dst_sel:DWORD dst_unused:UNUSED_PAD src0_sel:WORD_1
	v_pk_fma_f32 v[34:35], v[146:147], v[4:5], v[34:35] op_sel_hi:[0,1,1]
	v_pk_fma_f32 v[36:37], v[146:147], v[2:3], v[36:37] op_sel_hi:[0,1,1]
	s_waitcnt lgkmcnt(0)
	v_cvt_f32_f16_sdwa v3, v1 dst_sel:DWORD dst_unused:UNUSED_PAD src0_sel:WORD_1
	v_cvt_f32_f16_e32 v2, v1
	ds_read_b32 v1, v230 offset:33792
	v_pk_fma_f32 v[6:7], v[146:147], v[2:3], v[6:7] op_sel_hi:[0,1,1]
	s_waitcnt lgkmcnt(0)
	v_cvt_f32_f16_sdwa v5, v1 dst_sel:DWORD dst_unused:UNUSED_PAD src0_sel:WORD_1
	v_cvt_f32_f16_e32 v4, v1
	v_pk_fma_f32 v[8:9], v[146:147], v[4:5], v[8:9] op_sel_hi:[0,1,1]
.LBB29_80:                              ;   in Loop: Header=BB29_14 Depth=1
	v_add_f32_e32 v1, 0x40051340, v34
	v_max_f32_e32 v2, v120, v120
	v_cmp_gt_u32_e64 s[54:55], s60, v203
	v_max_f32_e32 v1, v2, v1
	v_add_f32_e32 v2, 0x40051340, v35
	v_cndmask_b32_e64 v1, v120, v1, s[54:55]
	v_max_f32_e32 v3, v1, v1
	v_cmp_gt_u32_e64 s[56:57], s60, v245
	v_max_f32_e32 v2, v3, v2
	v_cmp_gt_u32_e64 s[58:59], s60, v244
	v_cndmask_b32_e64 v1, v1, v2, s[56:57]
	v_add_f32_e32 v2, 0x40051340, v36
	v_max_f32_e32 v3, v1, v1
	v_max_f32_e32 v2, v3, v2
	v_cndmask_b32_e64 v1, v1, v2, s[58:59]
	v_add_f32_e32 v2, 0x40051340, v37
	v_max_f32_e32 v3, v1, v1
	v_cmp_gt_u32_e64 s[50:51], s60, v243
	v_max_f32_e32 v2, v3, v2
	v_cmp_gt_u32_e64 s[48:49], s60, v227
	v_cndmask_b32_e64 v1, v1, v2, s[50:51]
	v_add_f32_e32 v2, 0x40051340, v6
	v_max_f32_e32 v3, v1, v1
	v_max_f32_e32 v2, v3, v2
	v_cndmask_b32_e64 v1, v1, v2, s[48:49]
	v_add_f32_e32 v2, 0x40051340, v7
	;; [unrolled: 10-line block ×3, first 2 shown]
	v_max_f32_e32 v3, v1, v1
	v_cmp_gt_u32_e32 vcc, s60, v242
	v_max_f32_e32 v2, v3, v2
	v_xor_b32_e32 v3, 32, v249
	v_cndmask_b32_e32 v1, v1, v2, vcc
	v_and_b32_e32 v2, 64, v249
	v_add_u32_e32 v2, 64, v2
	v_cmp_lt_i32_e64 s[60:61], v3, v2
	s_mul_hi_i32 s7, s6, s82
	s_mul_i32 s6, s6, s82
	v_cndmask_b32_e64 v3, v249, v3, s[60:61]
	v_lshlrev_b32_e32 v39, 2, v3
	ds_bpermute_b32 v3, v39, v1
	v_max_f32_e32 v1, v1, v1
	s_lshl_b64 s[6:7], s[6:7], 2
	scratch_store_dwordx4 off, v[128:131], off
	s_waitcnt lgkmcnt(0)
	v_max_f32_e32 v3, v3, v3
	v_max_f32_e32 v1, v1, v3
	v_xor_b32_e32 v3, 16, v249
	v_cmp_lt_i32_e64 s[60:61], v3, v2
	s_nop 1
	v_cndmask_b32_e64 v2, v249, v3, s[60:61]
	v_lshlrev_b32_e32 v40, 2, v2
	ds_bpermute_b32 v2, v40, v1
	s_waitcnt lgkmcnt(0)
	v_max_f32_e32 v2, v2, v2
	v_max_f32_e32 v38, v1, v2
	v_sub_f32_e32 v1, v34, v38
	v_mul_f32_e32 v2, 0x3fb8aa3b, v1
	v_fma_f32 v3, v1, s5, -v2
	v_rndne_f32_e32 v4, v2
	v_fmac_f32_e32 v3, 0x32a5705f, v1
	v_sub_f32_e32 v2, v2, v4
	v_add_f32_e32 v2, v2, v3
	v_exp_f32_e32 v2, v2
	v_cvt_i32_f32_e32 v3, v4
	v_cmp_ngt_f32_e64 s[60:61], s34, v1
	v_sub_f32_e32 v6, v6, v38
	v_sub_f32_e32 v8, v8, v38
	v_ldexp_f32 v2, v2, v3
	v_cndmask_b32_e64 v2, 0, v2, s[60:61]
	v_cmp_nlt_f32_e64 s[60:61], s81, v1
	s_nop 1
	v_cndmask_b32_e64 v1, v214, v2, s[60:61]
	v_cndmask_b32_e64 v2, 0, v1, s[54:55]
	v_sub_f32_e32 v1, v35, v38
	v_mul_f32_e32 v3, 0x3fb8aa3b, v1
	v_fma_f32 v4, v1, s5, -v3
	v_rndne_f32_e32 v5, v3
	v_fmac_f32_e32 v4, 0x32a5705f, v1
	v_sub_f32_e32 v3, v3, v5
	v_add_f32_e32 v3, v3, v4
	v_exp_f32_e32 v3, v3
	v_cvt_i32_f32_e32 v4, v5
	v_cmp_ngt_f32_e64 s[54:55], s34, v1
	v_ldexp_f32 v3, v3, v4
	s_nop 0
	v_cndmask_b32_e64 v3, 0, v3, s[54:55]
	v_cmp_nlt_f32_e64 s[54:55], s81, v1
	v_mov_b32_e32 v1, s91
	s_nop 0
	v_cndmask_b32_e64 v3, v214, v3, s[54:55]
	v_add_f32_e32 v4, v3, v2
	v_cndmask_b32_e64 v1, v1, v3, s[56:57]
	v_cndmask_b32_e64 v3, v2, v4, s[56:57]
	v_sub_f32_e32 v4, v36, v38
	v_mul_f32_e32 v5, 0x3fb8aa3b, v4
	v_fma_f32 v10, v4, s5, -v5
	v_rndne_f32_e32 v11, v5
	v_fmac_f32_e32 v10, 0x32a5705f, v4
	v_sub_f32_e32 v5, v5, v11
	v_add_f32_e32 v5, v5, v10
	v_exp_f32_e32 v5, v5
	v_cvt_i32_f32_e32 v10, v11
	v_cmp_ngt_f32_e64 s[54:55], s34, v4
	v_ldexp_f32 v5, v5, v10
	s_nop 0
	v_cndmask_b32_e64 v5, 0, v5, s[54:55]
	v_cmp_nlt_f32_e64 s[54:55], s81, v4
	v_mov_b32_e32 v4, s91
	s_nop 0
	v_cndmask_b32_e64 v5, v214, v5, s[54:55]
	v_add_f32_e32 v10, v3, v5
	v_cndmask_b32_e64 v10, v3, v10, s[58:59]
	v_sub_f32_e32 v3, v37, v38
	v_cndmask_b32_e64 v4, v4, v5, s[58:59]
	v_mul_f32_e32 v5, 0x3fb8aa3b, v3
	v_fma_f32 v11, v3, s5, -v5
	v_rndne_f32_e32 v12, v5
	v_fmac_f32_e32 v11, 0x32a5705f, v3
	v_sub_f32_e32 v5, v5, v12
	v_add_f32_e32 v5, v5, v11
	v_exp_f32_e32 v5, v5
	v_cvt_i32_f32_e32 v11, v12
	v_cmp_ngt_f32_e64 s[54:55], s34, v3
	v_ldexp_f32 v5, v5, v11
	s_nop 0
	v_cndmask_b32_e64 v5, 0, v5, s[54:55]
	v_cmp_nlt_f32_e64 s[54:55], s81, v3
	v_mov_b32_e32 v3, s91
	s_nop 0
	v_cndmask_b32_e64 v5, v214, v5, s[54:55]
	v_add_f32_e32 v11, v10, v5
	v_cndmask_b32_e64 v5, v3, v5, s[50:51]
	v_cndmask_b32_e64 v3, v10, v11, s[50:51]
	v_mul_f32_e32 v10, 0x3fb8aa3b, v6
	v_fma_f32 v11, v6, s5, -v10
	v_rndne_f32_e32 v12, v10
	v_fmac_f32_e32 v11, 0x32a5705f, v6
	v_sub_f32_e32 v10, v10, v12
	v_add_f32_e32 v10, v10, v11
	v_exp_f32_e32 v10, v10
	v_cvt_i32_f32_e32 v11, v12
	v_cmp_ngt_f32_e64 s[50:51], s34, v6
	v_ldexp_f32 v10, v10, v11
	s_nop 0
	v_cndmask_b32_e64 v10, 0, v10, s[50:51]
	v_cmp_nlt_f32_e64 s[50:51], s81, v6
	v_mov_b32_e32 v6, s91
	s_nop 0
	v_cndmask_b32_e64 v10, v214, v10, s[50:51]
	v_add_f32_e32 v11, v10, v3
	v_cndmask_b32_e64 v6, v6, v10, s[48:49]
	v_cndmask_b32_e64 v10, v3, v11, s[48:49]
	v_sub_f32_e32 v3, v7, v38
	v_mul_f32_e32 v7, 0x3fb8aa3b, v3
	v_fma_f32 v11, v3, s5, -v7
	v_rndne_f32_e32 v12, v7
	v_fmac_f32_e32 v11, 0x32a5705f, v3
	v_sub_f32_e32 v7, v7, v12
	v_add_f32_e32 v7, v7, v11
	v_exp_f32_e32 v7, v7
	v_cvt_i32_f32_e32 v11, v12
	v_cmp_ngt_f32_e64 s[48:49], s34, v3
	v_ldexp_f32 v7, v7, v11
	s_nop 0
	v_cndmask_b32_e64 v7, 0, v7, s[48:49]
	v_cmp_nlt_f32_e64 s[48:49], s81, v3
	v_mov_b32_e32 v3, s91
	s_nop 0
	v_cndmask_b32_e64 v7, v214, v7, s[48:49]
	v_add_f32_e32 v11, v7, v10
	v_cndmask_b32_e64 v3, v3, v7, s[46:47]
	v_cndmask_b32_e64 v7, v10, v11, s[46:47]
	v_mul_f32_e32 v10, 0x3fb8aa3b, v8
	v_fma_f32 v11, v8, s5, -v10
	v_rndne_f32_e32 v12, v10
	v_fmac_f32_e32 v11, 0x32a5705f, v8
	v_sub_f32_e32 v10, v10, v12
	v_add_f32_e32 v10, v10, v11
	v_exp_f32_e32 v10, v10
	v_cvt_i32_f32_e32 v11, v12
	v_cmp_ngt_f32_e64 s[46:47], s34, v8
	v_ldexp_f32 v10, v10, v11
	s_nop 0
	v_cndmask_b32_e64 v10, 0, v10, s[46:47]
	v_cmp_nlt_f32_e64 s[46:47], s81, v8
	v_mov_b32_e32 v8, s91
	s_nop 0
	v_cndmask_b32_e64 v10, v214, v10, s[46:47]
	v_add_f32_e32 v11, v10, v7
	v_cndmask_b32_e64 v8, v8, v10, s[44:45]
	v_cndmask_b32_e64 v10, v7, v11, s[44:45]
	v_sub_f32_e32 v7, v9, v38
	v_mul_f32_e32 v9, 0x3fb8aa3b, v7
	v_fma_f32 v11, v7, s5, -v9
	v_rndne_f32_e32 v12, v9
	v_fmac_f32_e32 v11, 0x32a5705f, v7
	v_sub_f32_e32 v9, v9, v12
	v_add_f32_e32 v9, v9, v11
	v_exp_f32_e32 v9, v9
	v_cvt_i32_f32_e32 v11, v12
	v_cmp_ngt_f32_e64 s[44:45], s34, v7
	v_ldexp_f32 v9, v9, v11
	s_nop 0
	v_cndmask_b32_e64 v9, 0, v9, s[44:45]
	v_cmp_nlt_f32_e64 s[44:45], s81, v7
	v_mov_b32_e32 v7, s91
	s_nop 0
	v_cndmask_b32_e64 v9, v214, v9, s[44:45]
	v_add_f32_e32 v11, v9, v10
	v_cndmask_b32_e32 v7, v7, v9, vcc
	v_sub_f32_e32 v9, v120, v38
	v_cndmask_b32_e32 v41, v10, v11, vcc
	v_mul_f32_e32 v10, 0x3fb8aa3b, v9
	v_fma_f32 v11, v9, s5, -v10
	v_rndne_f32_e32 v12, v10
	v_fmac_f32_e32 v11, 0x32a5705f, v9
	v_sub_f32_e32 v10, v10, v12
	v_add_f32_e32 v10, v10, v11
	v_exp_f32_e32 v10, v10
	v_cvt_i32_f32_e32 v11, v12
	v_cmp_ngt_f32_e32 vcc, s34, v9
	v_ldexp_f32 v10, v10, v11
	s_nop 0
	v_cndmask_b32_e32 v10, 0, v10, vcc
	v_cmp_nlt_f32_e32 vcc, s81, v9
	s_nop 1
	v_cndmask_b32_e32 v10, v214, v10, vcc
	v_cmp_le_f32_e32 vcc, s35, v9
	s_nop 1
	v_cndmask_b32_e32 v9, 0, v10, vcc
	v_fmac_f32_e32 v41, v121, v9
	v_cvt_f16_f32_e32 v9, v9
	v_cmp_ne_u64_e32 vcc, 0, v[142:143]
	v_mul_u32_u24_e32 v10, 0x10001, v9
	v_pk_mul_f16 v35, v57, v10
	v_pk_mul_f16 v34, v56, v10
	;; [unrolled: 1-line block ×32, first 2 shown]
	v_lshl_add_u64 v[10:11], v[144:145], 0, s[6:7]
	v_lshl_add_u64 v[14:15], v[110:111], 2, v[10:11]
	;; [unrolled: 1-line block ×3, first 2 shown]
	v_mov_b32_e32 v50, s93
	v_lshl_add_u64 v[14:15], v[14:15], 0, v[96:97]
	v_lshl_add_u64 v[12:13], v[12:13], 0, v[96:97]
	v_cndmask_b32_e64 v37, v50, v15, s[38:39]
	v_cndmask_b32_e64 v36, v212, v14, s[38:39]
	v_lshl_add_u64 v[14:15], v[112:113], 2, v[10:11]
	v_lshl_add_u64 v[10:11], v[114:115], 2, v[10:11]
	v_cndmask_b32_e64 v13, v50, v13, s[36:37]
	v_cndmask_b32_e64 v12, v212, v12, s[36:37]
	;; [unrolled: 4-line block ×3, first 2 shown]
	v_cndmask_b32_e64 v15, v50, v11, s[42:43]
	v_cndmask_b32_e64 v14, v212, v10, s[42:43]
	flat_load_dwordx4 v[10:13], v[12:13]
	v_cvt_f32_f16_e32 v72, v19
	v_cvt_f32_f16_sdwa v73, v19 dst_sel:DWORD dst_unused:UNUSED_PAD src0_sel:WORD_1
	v_cvt_f32_f16_e32 v74, v18
	v_cvt_f32_f16_sdwa v75, v18 dst_sel:DWORD dst_unused:UNUSED_PAD src0_sel:WORD_1
	;; [unrolled: 2-line block ×9, first 2 shown]
	v_cvt_f32_f16_sdwa v91, v42 dst_sel:DWORD dst_unused:UNUSED_PAD src0_sel:WORD_1
	v_readlane_b32 s42, v255, 35
	v_readlane_b32 s43, v255, 36
	s_and_b64 s[36:37], s[42:43], vcc
	s_waitcnt vmcnt(0) lgkmcnt(0)
	ds_write_b128 v201, v[10:13]
	flat_load_dwordx4 v[10:13], v[36:37]
	v_cvt_pk_f16_f32 v37, v4, v5
	v_cvt_pk_f16_f32 v36, v2, v1
	s_waitcnt vmcnt(0) lgkmcnt(0)
	ds_write_b128 v254, v[10:13]
	flat_load_dwordx4 v[10:13], v[16:17]
	s_waitcnt vmcnt(0) lgkmcnt(0)
	ds_write_b128 v248, v[10:13]
	flat_load_dwordx4 v[10:13], v[14:15]
	s_waitcnt vmcnt(0) lgkmcnt(0)
	ds_write_b128 v246, v[10:13]
	s_waitcnt lgkmcnt(0)
	s_barrier
	ds_read_u16 v14, v204 offset:528
	ds_read_u16 v15, v204 offset:1056
	ds_read_u16 v16, v205
	ds_read_u16 v17, v205 offset:32
	v_cvt_f32_f16_e32 v10, v35
	v_cvt_f32_f16_sdwa v11, v35 dst_sel:DWORD dst_unused:UNUSED_PAD src0_sel:WORD_1
	v_cvt_f32_f16_e32 v12, v34
	s_waitcnt lgkmcnt(1)
	v_perm_b32 v15, v16, v15, s92
	ds_read_u16 v16, v204
	ds_read_u16 v53, v204 offset:32
	v_cvt_f32_f16_sdwa v13, v34 dst_sel:DWORD dst_unused:UNUSED_PAD src0_sel:WORD_1
	v_cvt_pk_f16_f32 v35, v8, v7
	v_cvt_f32_f16_sdwa v7, v44 dst_sel:DWORD dst_unused:UNUSED_PAD src0_sel:WORD_1
	s_waitcnt lgkmcnt(1)
	v_perm_b32 v14, v14, v16, s92
	s_nop 1
	v_mfma_f32_16x16x16_f16 v[10:13], v[14:15], v[36:37], v[10:13]
	ds_read_u16 v14, v204 offset:16896
	ds_read_u16 v15, v204 offset:17424
	;; [unrolled: 1-line block ×4, first 2 shown]
	s_nop 3
	v_cvt_f16_f32_e32 v4, v12
	v_cvt_f16_f32_e32 v5, v13
	;; [unrolled: 1-line block ×4, first 2 shown]
	v_cvt_f32_f16_e32 v12, v4
	v_cvt_f32_f16_e32 v13, v5
	s_waitcnt lgkmcnt(0)
	v_perm_b32 v5, v34, v16, s92
	v_perm_b32 v4, v15, v14, s92
	v_cvt_f32_f16_e32 v10, v1
	v_cvt_f32_f16_e32 v11, v2
	v_cvt_pk_f16_f32 v34, v6, v3
	v_cvt_f32_f16_e32 v6, v44
	s_nop 0
	v_mfma_f32_16x16x16_f16 v[2:5], v[4:5], v[34:35], v[10:13]
	ds_read_u16 v8, v204 offset:560
	s_nop 1
	ds_read_u16 v10, v204 offset:1088
	s_waitcnt lgkmcnt(0)
	v_perm_b32 v11, v17, v10, s92
	s_nop 1
	v_cvt_f16_f32_e32 v1, v4
	v_cvt_f16_f32_e32 v4, v5
	v_perm_b32 v10, v8, v53, s92
	v_cvt_f32_f16_sdwa v5, v52 dst_sel:DWORD dst_unused:UNUSED_PAD src0_sel:WORD_1
	v_cvt_f16_f32_e32 v50, v2
	v_perm_b32 v1, v4, v1, s92
	v_cvt_f32_f16_e32 v4, v52
	v_cvt_f16_f32_e32 v51, v3
	v_perm_b32 v50, v51, v50, s92
	v_mfma_f32_16x16x16_f16 v[4:7], v[10:11], v[36:37], v[4:7]
	ds_read_u16 v8, v204 offset:16928
	ds_read_u16 v10, v204 offset:17456
	;; [unrolled: 1-line block ×4, first 2 shown]
	s_waitcnt lgkmcnt(2)
	v_perm_b32 v10, v10, v8, s92
	s_nop 1
	v_cvt_f16_f32_e32 v4, v4
	v_cvt_f16_f32_e32 v5, v5
	;; [unrolled: 1-line block ×4, first 2 shown]
	s_waitcnt lgkmcnt(0)
	v_perm_b32 v11, v12, v11, s92
	v_cvt_f32_f16_e32 v4, v4
	v_cvt_f32_f16_e32 v5, v5
	;; [unrolled: 1-line block ×5, first 2 shown]
	v_cvt_f32_f16_sdwa v9, v9 dst_sel:DWORD dst_unused:UNUSED_PAD src0_sel:WORD_1
	v_mfma_f32_16x16x16_f16 v[4:7], v[10:11], v[34:35], v[4:7]
	ds_read_u16 v10, v204 offset:64
	ds_read_u16 v12, v204 offset:592
	;; [unrolled: 1-line block ×4, first 2 shown]
	s_nop 3
	v_cvt_f16_f32_e32 v6, v6
	v_cvt_f16_f32_e32 v7, v7
	s_waitcnt lgkmcnt(0)
	v_perm_b32 v11, v13, v11, s92
	v_perm_b32 v10, v12, v10, s92
	v_cvt_f16_f32_e32 v52, v4
	v_perm_b32 v44, v7, v6, s92
	v_cvt_f32_f16_e32 v6, v45
	v_cvt_f32_f16_sdwa v7, v45 dst_sel:DWORD dst_unused:UNUSED_PAD src0_sel:WORD_1
	v_cvt_f16_f32_e32 v53, v5
	v_perm_b32 v52, v53, v52, s92
	v_mfma_f32_16x16x16_f16 v[6:9], v[10:11], v[36:37], v[6:9]
	ds_read_u16 v10, v204 offset:16960
	ds_read_u16 v12, v204 offset:17488
	;; [unrolled: 1-line block ×4, first 2 shown]
	s_waitcnt lgkmcnt(2)
	v_perm_b32 v10, v12, v10, s92
	s_nop 1
	v_cvt_f16_f32_e32 v6, v6
	v_cvt_f16_f32_e32 v7, v7
	;; [unrolled: 1-line block ×4, first 2 shown]
	s_waitcnt lgkmcnt(0)
	v_perm_b32 v11, v13, v11, s92
	v_cvt_f32_f16_e32 v6, v6
	v_cvt_f32_f16_e32 v7, v7
	v_cvt_f32_f16_e32 v8, v8
	v_cvt_f32_f16_e32 v9, v9
	ds_read_u16 v12, v204 offset:96
	ds_read_u16 v14, v204 offset:624
	ds_read_u16 v13, v204 offset:1152
	ds_read_u16 v15, v205 offset:96
	v_mfma_f32_16x16x16_f16 v[6:9], v[10:11], v[34:35], v[6:9]
	s_waitcnt lgkmcnt(2)
	v_perm_b32 v12, v14, v12, s92
	s_waitcnt lgkmcnt(0)
	v_perm_b32 v13, v15, v13, s92
	v_cvt_f32_f16_e32 v10, v47
	s_nop 2
	v_cvt_f16_f32_e32 v8, v8
	v_cvt_f16_f32_e32 v9, v9
	v_cvt_f32_f16_sdwa v11, v47 dst_sel:DWORD dst_unused:UNUSED_PAD src0_sel:WORD_1
	v_cvt_f16_f32_e32 v58, v6
	v_cvt_f16_f32_e32 v59, v7
	v_perm_b32 v45, v9, v8, s92
	v_cvt_f32_f16_e32 v8, v57
	v_cvt_f32_f16_sdwa v9, v57 dst_sel:DWORD dst_unused:UNUSED_PAD src0_sel:WORD_1
	v_perm_b32 v58, v59, v58, s92
	s_nop 0
	v_mfma_f32_16x16x16_f16 v[8:11], v[12:13], v[36:37], v[8:11]
	ds_read_u16 v12, v204 offset:16992
	ds_read_u16 v14, v204 offset:17520
	ds_read_u16 v13, v204 offset:18048
	ds_read_u16 v15, v205 offset:16992
	s_nop 3
	v_cvt_f16_f32_e32 v8, v8
	v_cvt_f16_f32_e32 v9, v9
	v_cvt_f16_f32_e32 v10, v10
	v_cvt_f16_f32_e32 v11, v11
	s_waitcnt lgkmcnt(0)
	v_perm_b32 v13, v15, v13, s92
	v_perm_b32 v12, v14, v12, s92
	v_cvt_f32_f16_e32 v8, v8
	v_cvt_f32_f16_e32 v9, v9
	v_cvt_f32_f16_e32 v10, v10
	v_cvt_f32_f16_e32 v11, v11
	ds_read_u16 v14, v204 offset:128
	ds_read_u16 v16, v204 offset:656
	ds_read_u16 v15, v204 offset:1184
	ds_read_u16 v17, v205 offset:128
	v_mfma_f32_16x16x16_f16 v[8:11], v[12:13], v[34:35], v[8:11]
	s_waitcnt lgkmcnt(2)
	v_perm_b32 v14, v16, v14, s92
	s_waitcnt lgkmcnt(0)
	v_perm_b32 v15, v17, v15, s92
	v_cvt_f32_f16_e32 v12, v49
	s_nop 2
	v_cvt_f16_f32_e32 v10, v10
	v_cvt_f16_f32_e32 v11, v11
	v_cvt_f32_f16_sdwa v13, v49 dst_sel:DWORD dst_unused:UNUSED_PAD src0_sel:WORD_1
	v_cvt_f16_f32_e32 v62, v8
	v_cvt_f16_f32_e32 v63, v9
	v_perm_b32 v47, v11, v10, s92
	v_cvt_f32_f16_e32 v10, v56
	v_cvt_f32_f16_sdwa v11, v56 dst_sel:DWORD dst_unused:UNUSED_PAD src0_sel:WORD_1
	v_perm_b32 v62, v63, v62, s92
	s_nop 0
	v_mfma_f32_16x16x16_f16 v[10:13], v[14:15], v[36:37], v[10:13]
	ds_read_u16 v14, v204 offset:17024
	ds_read_u16 v16, v204 offset:17552
	ds_read_u16 v15, v204 offset:18080
	ds_read_u16 v17, v205 offset:17024
	s_nop 3
	v_cvt_f16_f32_e32 v10, v10
	v_cvt_f16_f32_e32 v11, v11
	v_cvt_f16_f32_e32 v12, v12
	v_cvt_f16_f32_e32 v13, v13
	s_waitcnt lgkmcnt(0)
	v_perm_b32 v15, v17, v15, s92
	;; [unrolled: 38-line block ×4, first 2 shown]
	v_perm_b32 v56, v48, v46, s92
	v_cvt_f32_f16_e32 v14, v14
	v_cvt_f32_f16_e32 v15, v15
	v_cvt_f32_f16_e32 v16, v16
	v_cvt_f32_f16_e32 v17, v17
	s_nop 1
	v_mfma_f32_16x16x16_f16 v[14:17], v[56:57], v[34:35], v[14:17]
	s_nop 7
	v_cvt_f16_f32_e32 v16, v16
	v_cvt_f16_f32_e32 v17, v17
	v_cvt_f16_f32_e32 v69, v14
	v_cvt_f16_f32_e32 v70, v15
	v_perm_b32 v57, v17, v16, s92
	ds_read_u16 v16, v204 offset:224
	ds_read_u16 v46, v204 offset:752
	;; [unrolled: 1-line block ×4, first 2 shown]
	v_perm_b32 v69, v70, v69, s92
	s_waitcnt lgkmcnt(2)
	v_perm_b32 v16, v46, v16, s92
	s_waitcnt lgkmcnt(0)
	v_perm_b32 v17, v48, v17, s92
	ds_read_u16 v46, v204 offset:17120
	ds_read_u16 v48, v204 offset:17648
	;; [unrolled: 1-line block ×4, first 2 shown]
	v_mfma_f32_16x16x16_f16 v[16:19], v[16:17], v[36:37], v[72:75]
	s_waitcnt lgkmcnt(0)
	v_perm_b32 v61, v56, v54, s92
	v_perm_b32 v60, v48, v46, s92
	s_nop 4
	v_cvt_f16_f32_e32 v16, v16
	v_cvt_f16_f32_e32 v17, v17
	;; [unrolled: 1-line block ×4, first 2 shown]
	v_cvt_f32_f16_e32 v16, v16
	v_cvt_f32_f16_e32 v17, v17
	;; [unrolled: 1-line block ×4, first 2 shown]
	s_nop 1
	v_mfma_f32_16x16x16_f16 v[16:19], v[60:61], v[34:35], v[16:19]
	s_nop 7
	v_cvt_f16_f32_e32 v18, v18
	v_cvt_f16_f32_e32 v19, v19
	;; [unrolled: 1-line block ×4, first 2 shown]
	v_perm_b32 v71, v19, v18, s92
	ds_read_u16 v18, v204 offset:256
	ds_read_u16 v46, v204 offset:784
	;; [unrolled: 1-line block ×4, first 2 shown]
	v_perm_b32 v74, v75, v74, s92
	s_waitcnt lgkmcnt(2)
	v_perm_b32 v18, v46, v18, s92
	s_waitcnt lgkmcnt(0)
	v_perm_b32 v19, v48, v19, s92
	ds_read_u16 v46, v204 offset:17152
	ds_read_u16 v48, v204 offset:17680
	;; [unrolled: 1-line block ×4, first 2 shown]
	v_mfma_f32_16x16x16_f16 v[18:21], v[18:19], v[36:37], v[76:79]
	s_waitcnt lgkmcnt(0)
	v_perm_b32 v61, v56, v54, s92
	v_perm_b32 v60, v48, v46, s92
	v_cvt_f32_f16_e32 v78, v23
	s_nop 3
	v_cvt_f16_f32_e32 v18, v18
	v_cvt_f16_f32_e32 v19, v19
	;; [unrolled: 1-line block ×4, first 2 shown]
	v_cvt_f32_f16_e32 v18, v18
	v_cvt_f32_f16_e32 v19, v19
	;; [unrolled: 1-line block ×4, first 2 shown]
	v_cvt_f32_f16_sdwa v79, v23 dst_sel:DWORD dst_unused:UNUSED_PAD src0_sel:WORD_1
	s_nop 0
	v_mfma_f32_16x16x16_f16 v[18:21], v[60:61], v[34:35], v[18:21]
	s_nop 7
	v_cvt_f16_f32_e32 v20, v20
	v_cvt_f16_f32_e32 v21, v21
	;; [unrolled: 1-line block ×4, first 2 shown]
	v_perm_b32 v46, v21, v20, s92
	ds_read_u16 v20, v204 offset:288
	ds_read_u16 v48, v204 offset:816
	;; [unrolled: 1-line block ×4, first 2 shown]
	v_perm_b32 v73, v76, v73, s92
	s_waitcnt lgkmcnt(2)
	v_perm_b32 v20, v48, v20, s92
	s_waitcnt lgkmcnt(0)
	v_perm_b32 v21, v54, v21, s92
	ds_read_u16 v48, v204 offset:17184
	ds_read_u16 v54, v204 offset:17712
	;; [unrolled: 1-line block ×4, first 2 shown]
	v_mfma_f32_16x16x16_f16 v[20:23], v[20:21], v[36:37], v[78:81]
	s_waitcnt lgkmcnt(0)
	v_perm_b32 v61, v60, v56, s92
	v_perm_b32 v60, v54, v48, s92
	v_cvt_f32_f16_e32 v78, v25
	s_nop 3
	v_cvt_f16_f32_e32 v20, v20
	v_cvt_f16_f32_e32 v21, v21
	v_cvt_f16_f32_e32 v22, v22
	v_cvt_f16_f32_e32 v23, v23
	v_cvt_f32_f16_e32 v20, v20
	v_cvt_f32_f16_e32 v21, v21
	;; [unrolled: 1-line block ×4, first 2 shown]
	v_cvt_f32_f16_sdwa v79, v25 dst_sel:DWORD dst_unused:UNUSED_PAD src0_sel:WORD_1
	v_cvt_f32_f16_e32 v80, v24
	v_mfma_f32_16x16x16_f16 v[20:23], v[60:61], v[34:35], v[20:23]
	v_cvt_f32_f16_sdwa v81, v24 dst_sel:DWORD dst_unused:UNUSED_PAD src0_sel:WORD_1
	s_nop 6
	v_cvt_f16_f32_e32 v22, v22
	v_cvt_f16_f32_e32 v23, v23
	;; [unrolled: 1-line block ×4, first 2 shown]
	v_perm_b32 v48, v23, v22, s92
	ds_read_u16 v22, v204 offset:320
	ds_read_u16 v54, v204 offset:848
	;; [unrolled: 1-line block ×4, first 2 shown]
	v_perm_b32 v72, v77, v72, s92
	s_waitcnt lgkmcnt(2)
	v_perm_b32 v22, v54, v22, s92
	s_waitcnt lgkmcnt(0)
	v_perm_b32 v23, v56, v23, s92
	ds_read_u16 v54, v204 offset:17216
	ds_read_u16 v56, v204 offset:17744
	;; [unrolled: 1-line block ×4, first 2 shown]
	v_mfma_f32_16x16x16_f16 v[22:25], v[22:23], v[36:37], v[78:81]
	s_waitcnt lgkmcnt(0)
	v_perm_b32 v61, v61, v60, s92
	v_perm_b32 v60, v56, v54, s92
	v_cvt_f32_f16_e32 v80, v27
	s_nop 3
	v_cvt_f16_f32_e32 v22, v22
	v_cvt_f16_f32_e32 v23, v23
	;; [unrolled: 1-line block ×4, first 2 shown]
	v_cvt_f32_f16_e32 v22, v22
	v_cvt_f32_f16_e32 v23, v23
	;; [unrolled: 1-line block ×4, first 2 shown]
	v_cvt_f32_f16_sdwa v81, v27 dst_sel:DWORD dst_unused:UNUSED_PAD src0_sel:WORD_1
	s_nop 0
	v_mfma_f32_16x16x16_f16 v[22:25], v[60:61], v[34:35], v[22:25]
	s_nop 7
	v_cvt_f16_f32_e32 v24, v24
	v_cvt_f16_f32_e32 v25, v25
	;; [unrolled: 1-line block ×4, first 2 shown]
	v_perm_b32 v54, v25, v24, s92
	ds_read_u16 v24, v204 offset:352
	ds_read_u16 v56, v204 offset:880
	;; [unrolled: 1-line block ×4, first 2 shown]
	s_waitcnt lgkmcnt(2)
	v_perm_b32 v24, v56, v24, s92
	s_waitcnt lgkmcnt(0)
	v_perm_b32 v25, v60, v25, s92
	ds_read_u16 v56, v204 offset:17248
	ds_read_u16 v60, v204 offset:17776
	;; [unrolled: 1-line block ×4, first 2 shown]
	v_mfma_f32_16x16x16_f16 v[24:27], v[24:25], v[36:37], v[80:83]
	s_waitcnt lgkmcnt(0)
	v_perm_b32 v61, v64, v61, s92
	v_perm_b32 v60, v60, v56, s92
	v_cvt_f32_f16_e32 v82, v29
	s_nop 3
	v_cvt_f16_f32_e32 v24, v24
	v_cvt_f16_f32_e32 v25, v25
	;; [unrolled: 1-line block ×4, first 2 shown]
	v_cvt_f32_f16_e32 v24, v24
	v_cvt_f32_f16_e32 v25, v25
	;; [unrolled: 1-line block ×4, first 2 shown]
	v_cvt_f32_f16_sdwa v83, v29 dst_sel:DWORD dst_unused:UNUSED_PAD src0_sel:WORD_1
	s_nop 0
	v_mfma_f32_16x16x16_f16 v[24:27], v[60:61], v[34:35], v[24:27]
	s_nop 7
	v_cvt_f16_f32_e32 v26, v26
	v_cvt_f16_f32_e32 v27, v27
	;; [unrolled: 1-line block ×4, first 2 shown]
	v_perm_b32 v56, v27, v26, s92
	ds_read_u16 v26, v204 offset:384
	ds_read_u16 v60, v204 offset:912
	;; [unrolled: 1-line block ×4, first 2 shown]
	s_waitcnt lgkmcnt(2)
	v_perm_b32 v26, v60, v26, s92
	s_waitcnt lgkmcnt(0)
	v_perm_b32 v27, v61, v27, s92
	s_nop 1
	v_mfma_f32_16x16x16_f16 v[26:29], v[26:27], v[36:37], v[82:85]
	ds_read_u16 v60, v204 offset:17280
	ds_read_u16 v64, v204 offset:17808
	ds_read_u16 v61, v204 offset:18336
	ds_read_u16 v82, v205 offset:17280
	v_cvt_f32_f16_e32 v84, v31
	v_cvt_f32_f16_sdwa v85, v31 dst_sel:DWORD dst_unused:UNUSED_PAD src0_sel:WORD_1
	s_nop 1
	v_cvt_f16_f32_e32 v26, v26
	v_cvt_f16_f32_e32 v27, v27
	;; [unrolled: 1-line block ×4, first 2 shown]
	s_waitcnt lgkmcnt(0)
	v_perm_b32 v61, v82, v61, s92
	v_perm_b32 v60, v64, v60, s92
	v_cvt_f32_f16_e32 v26, v26
	v_cvt_f32_f16_e32 v27, v27
	;; [unrolled: 1-line block ×4, first 2 shown]
	s_nop 1
	v_mfma_f32_16x16x16_f16 v[26:29], v[60:61], v[34:35], v[26:29]
	s_nop 7
	v_cvt_f16_f32_e32 v28, v28
	v_cvt_f16_f32_e32 v29, v29
	;; [unrolled: 1-line block ×4, first 2 shown]
	v_perm_b32 v60, v29, v28, s92
	ds_read_u16 v28, v204 offset:416
	ds_read_u16 v61, v204 offset:944
	;; [unrolled: 1-line block ×4, first 2 shown]
	s_waitcnt lgkmcnt(2)
	v_perm_b32 v28, v61, v28, s92
	s_waitcnt lgkmcnt(0)
	v_perm_b32 v29, v64, v29, s92
	s_nop 1
	v_mfma_f32_16x16x16_f16 v[28:31], v[28:29], v[36:37], v[84:87]
	ds_read_u16 v61, v204 offset:17312
	ds_read_u16 v64, v204 offset:17840
	s_nop 0
	ds_read_u16 v84, v204 offset:18368
	ds_read_u16 v85, v205 offset:17312
	v_cvt_f32_f16_e32 v86, v33
	v_cvt_f32_f16_sdwa v87, v33 dst_sel:DWORD dst_unused:UNUSED_PAD src0_sel:WORD_1
	s_nop 0
	v_cvt_f16_f32_e32 v28, v28
	v_cvt_f16_f32_e32 v29, v29
	;; [unrolled: 1-line block ×4, first 2 shown]
	s_waitcnt lgkmcnt(0)
	v_perm_b32 v85, v85, v84, s92
	v_perm_b32 v84, v64, v61, s92
	v_cvt_f32_f16_e32 v28, v28
	v_cvt_f32_f16_e32 v29, v29
	;; [unrolled: 1-line block ×4, first 2 shown]
	s_nop 1
	v_mfma_f32_16x16x16_f16 v[28:31], v[84:85], v[34:35], v[28:31]
	s_nop 7
	v_cvt_f16_f32_e32 v30, v30
	v_cvt_f16_f32_e32 v31, v31
	;; [unrolled: 1-line block ×4, first 2 shown]
	v_perm_b32 v61, v31, v30, s92
	ds_read_u16 v30, v204 offset:448
	ds_read_u16 v64, v204 offset:976
	;; [unrolled: 1-line block ×4, first 2 shown]
	s_waitcnt lgkmcnt(2)
	v_perm_b32 v30, v64, v30, s92
	s_waitcnt lgkmcnt(0)
	v_perm_b32 v31, v90, v31, s92
	v_cvt_f32_f16_e32 v90, v42
	s_nop 0
	v_mfma_f32_16x16x16_f16 v[30:33], v[30:31], v[36:37], v[86:89]
	ds_read_u16 v64, v204 offset:17344
	s_nop 1
	ds_read_u16 v86, v204 offset:17872
	ds_read_u16 v87, v204 offset:18400
	;; [unrolled: 1-line block ×3, first 2 shown]
	v_cvt_f32_f16_sdwa v89, v43 dst_sel:DWORD dst_unused:UNUSED_PAD src0_sel:WORD_1
	s_nop 0
	v_cvt_f16_f32_e32 v30, v30
	v_cvt_f16_f32_e32 v31, v31
	;; [unrolled: 1-line block ×4, first 2 shown]
	s_waitcnt lgkmcnt(0)
	v_perm_b32 v87, v88, v87, s92
	v_perm_b32 v86, v86, v64, s92
	v_cvt_f32_f16_e32 v30, v30
	v_cvt_f32_f16_e32 v31, v31
	;; [unrolled: 1-line block ×5, first 2 shown]
	s_nop 0
	v_mfma_f32_16x16x16_f16 v[30:33], v[86:87], v[34:35], v[30:33]
	s_nop 7
	v_cvt_f16_f32_e32 v32, v32
	v_cvt_f16_f32_e32 v33, v33
	;; [unrolled: 1-line block ×4, first 2 shown]
	v_perm_b32 v64, v33, v32, s92
	ds_read_u16 v32, v204 offset:480
	ds_read_u16 v92, v204 offset:1008
	;; [unrolled: 1-line block ×4, first 2 shown]
	s_waitcnt lgkmcnt(2)
	v_perm_b32 v32, v92, v32, s92
	s_waitcnt lgkmcnt(0)
	v_perm_b32 v33, v93, v33, s92
	s_nop 1
	v_mfma_f32_16x16x16_f16 v[88:91], v[32:33], v[36:37], v[88:91]
	s_nop 7
	v_cvt_f16_f32_e32 v36, v88
	v_cvt_f16_f32_e32 v37, v89
	ds_read_u16 v32, v204 offset:17376
	ds_read_u16 v33, v204 offset:17904
	;; [unrolled: 1-line block ×4, first 2 shown]
	v_cvt_f16_f32_e32 v42, v90
	v_cvt_f16_f32_e32 v43, v91
	v_cvt_f32_f16_e32 v90, v36
	v_cvt_f32_f16_e32 v91, v37
	s_waitcnt lgkmcnt(0)
	v_perm_b32 v37, v89, v88, s92
	v_perm_b32 v36, v33, v32, s92
	v_cvt_f32_f16_e32 v92, v42
	v_cvt_f32_f16_e32 v93, v43
	v_perm_b32 v42, v81, v80, s92
	v_perm_b32 v43, v79, v78, s92
	v_mfma_f32_16x16x16_f16 v[32:35], v[36:37], v[34:35], v[90:93]
	s_barrier
	s_nop 6
	v_cvt_f16_f32_e32 v34, v34
	v_cvt_f16_f32_e32 v35, v35
	;; [unrolled: 1-line block ×4, first 2 shown]
	v_perm_b32 v34, v35, v34, s92
	ds_bpermute_b32 v35, v39, v41
	s_waitcnt lgkmcnt(0)
	v_add_f32_e32 v35, v41, v35
	ds_bpermute_b32 v39, v40, v35
	v_perm_b32 v41, v83, v82, s92
	s_waitcnt lgkmcnt(0)
	v_add_f32_e32 v39, v35, v39
	v_perm_b32 v35, v37, v36, s92
	v_perm_b32 v36, v87, v86, s92
	;; [unrolled: 1-line block ×3, first 2 shown]
	s_and_saveexec_b64 s[6:7], s[36:37]
	s_cbranch_execz .LBB29_82
; %bb.81:                               ;   in Loop: Header=BB29_14 Depth=1
	v_cvt_pk_f16_f32 v4, v4, v5
	v_cvt_pk_f16_f32 v5, v6, v7
	;; [unrolled: 1-line block ×4, first 2 shown]
	global_load_dword v19, v[142:143], off
	v_cvt_pk_f16_f32 v3, v2, v3
	v_cvt_pk_f16_f32 v6, v8, v9
	;; [unrolled: 1-line block ×4, first 2 shown]
	v_max_f32_e32 v20, v38, v38
	v_cvt_pk_f16_f32 v13, v22, v23
	v_cvt_pk_f16_f32 v9, v14, v15
	v_cvt_pk_f16_f32 v10, v16, v17
	v_cvt_pk_f16_f32 v14, v24, v25
	v_cvt_pk_f16_f32 v15, v26, v27
	v_cvt_pk_f16_f32 v16, v28, v29
	v_cvt_pk_f16_f32 v17, v30, v31
	v_cvt_pk_f16_f32 v18, v32, v33
	s_waitcnt vmcnt(0)
	v_max_f32_e32 v2, v19, v19
	v_max_f32_e32 v2, v20, v2
	v_sub_f32_e32 v20, v38, v2
	v_mul_f32_e32 v21, 0x3fb8aa3b, v20
	v_fma_f32 v22, v20, s5, -v21
	v_rndne_f32_e32 v23, v21
	v_fmac_f32_e32 v22, 0x32a5705f, v20
	v_sub_f32_e32 v21, v21, v23
	v_add_f32_e32 v21, v21, v22
	v_exp_f32_e32 v21, v21
	v_cvt_i32_f32_e32 v22, v23
	v_cmp_ngt_f32_e32 vcc, s34, v20
	v_sub_f32_e32 v19, v19, v2
	v_ldexp_f32 v21, v21, v22
	v_cndmask_b32_e32 v21, 0, v21, vcc
	v_cmp_nlt_f32_e32 vcc, s81, v20
	s_nop 1
	v_cndmask_b32_e32 v21, v214, v21, vcc
	v_cmp_le_f32_e32 vcc, s35, v20
	s_nop 1
	v_cndmask_b32_e32 v20, 0, v21, vcc
	v_cvt_f16_f32_e32 v21, v20
	v_cmp_ngt_f32_e32 vcc, s34, v19
	v_mul_u32_u24_e32 v21, 0x10001, v21
	v_pk_mul_f16 v50, v3, v21
	v_mul_f32_e32 v3, 0x3fb8aa3b, v19
	v_pk_mul_f16 v52, v4, v21
	v_pk_mul_f16 v58, v5, v21
	v_fma_f32 v4, v19, s5, -v3
	v_rndne_f32_e32 v5, v3
	v_fmac_f32_e32 v4, 0x32a5705f, v19
	v_sub_f32_e32 v3, v3, v5
	v_add_f32_e32 v3, v3, v4
	v_exp_f32_e32 v3, v3
	v_cvt_i32_f32_e32 v4, v5
	v_pk_mul_f16 v1, v1, v21
	v_pk_mul_f16 v44, v44, v21
	;; [unrolled: 1-line block ×3, first 2 shown]
	v_ldexp_f32 v3, v3, v4
	v_cndmask_b32_e32 v3, 0, v3, vcc
	v_cmp_nlt_f32_e32 vcc, s81, v19
	v_pk_mul_f16 v62, v6, v21
	v_pk_mul_f16 v47, v47, v21
	v_cndmask_b32_e32 v3, v214, v3, vcc
	v_fmac_f32_e32 v3, v39, v20
	v_pk_mul_f16 v65, v7, v21
	v_pk_mul_f16 v49, v49, v21
	;; [unrolled: 1-line block ×24, first 2 shown]
	v_mov_b64_e32 v[38:39], v[2:3]
.LBB29_82:                              ;   in Loop: Header=BB29_14 Depth=1
	s_or_b64 exec, exec, s[6:7]
	s_mov_b64 s[6:7], exec
	v_readlane_b32 s36, v255, 51
	v_readlane_b32 s37, v255, 52
	s_and_b64 s[36:37], s[6:7], s[36:37]
	s_movk_i32 s44, 0x47
	s_mov_b64 exec, s[36:37]
; %bb.83:                               ;   in Loop: Header=BB29_14 Depth=1
	v_add_u32_e32 v2, 0, v231
	ds_write2_b32 v2, v38, v39 offset0:64 offset1:65
; %bb.84:                               ;   in Loop: Header=BB29_14 Depth=1
	s_or_b64 exec, exec, s[6:7]
	s_waitcnt lgkmcnt(0)
	s_barrier
	s_mov_b64 s[6:7], exec
	v_readlane_b32 s36, v255, 37
	v_readlane_b32 s37, v255, 38
	s_and_b64 s[36:37], s[6:7], s[36:37]
	s_xor_b64 s[6:7], s[36:37], s[6:7]
	s_mov_b64 exec, s[36:37]
	s_cbranch_execz .LBB29_86
; %bb.85:                               ;   in Loop: Header=BB29_14 Depth=1
	s_barrier
                                        ; implicit-def: $vgpr40
.LBB29_86:                              ;   in Loop: Header=BB29_14 Depth=1
	s_andn2_saveexec_b64 s[6:7], s[6:7]
	s_cbranch_execz .LBB29_92
; %bb.87:                               ;   in Loop: Header=BB29_14 Depth=1
	v_add_u32_e32 v3, 0, v232
	ds_read_b64 v[6:7], v3 offset:256
	s_waitcnt lgkmcnt(0)
	s_barrier
	ds_bpermute_b32 v2, v40, v6
	v_max_f32_e32 v4, v6, v6
	s_waitcnt lgkmcnt(0)
	v_max_f32_e32 v2, v2, v2
	v_max_f32_e32 v2, v4, v2
	v_sub_f32_e32 v4, v6, v2
	v_mul_f32_e32 v5, 0x3fb8aa3b, v4
	v_fma_f32 v6, v4, s5, -v5
	v_rndne_f32_e32 v8, v5
	v_fmac_f32_e32 v6, 0x32a5705f, v4
	v_sub_f32_e32 v5, v5, v8
	v_add_f32_e32 v5, v5, v6
	v_cvt_i32_f32_e32 v8, v8
	v_exp_f32_e32 v5, v5
	v_cmp_ngt_f32_e32 vcc, s34, v4
	v_ldexp_f32 v5, v5, v8
	s_nop 0
	v_cndmask_b32_e32 v5, 0, v5, vcc
	v_cmp_nlt_f32_e32 vcc, s81, v4
	s_nop 1
	v_cndmask_b32_e32 v4, v214, v5, vcc
	v_mul_f32_e32 v5, v7, v4
	ds_bpermute_b32 v5, v40, v5
	s_waitcnt lgkmcnt(0)
	v_fmac_f32_e32 v5, v7, v4
	s_mov_b64 s[36:37], exec
	v_readlane_b32 s38, v255, 53
	v_readlane_b32 s39, v255, 54
	s_and_b64 s[38:39], s[36:37], s[38:39]
	s_mov_b64 exec, s[38:39]
; %bb.88:                               ;   in Loop: Header=BB29_14 Depth=1
	ds_write_b64 v3, v[4:5] offset:256
; %bb.89:                               ;   in Loop: Header=BB29_14 Depth=1
	s_or_b64 exec, exec, s[36:37]
	s_mov_b64 s[36:37], exec
	v_readlane_b32 s38, v255, 51
	v_readlane_b32 s39, v255, 52
	s_and_b64 s[38:39], s[36:37], s[38:39]
	s_mov_b64 exec, s[38:39]
	s_cbranch_execz .LBB29_91
; %bb.90:                               ;   in Loop: Header=BB29_14 Depth=1
	v_mov_b32_e32 v3, v5
	scratch_load_dwordx2 v[4:5], off, off offset:72 ; 8-byte Folded Reload
	s_waitcnt vmcnt(0)
	global_store_dwordx2 v[4:5], v[2:3], off
.LBB29_91:                              ;   in Loop: Header=BB29_14 Depth=1
	s_or_b64 exec, exec, s[36:37]
.LBB29_92:                              ;   in Loop: Header=BB29_14 Depth=1
	s_or_b64 exec, exec, s[6:7]
	ds_write2_b32 v206, v50, v1 offset1:1
	ds_write2_b32 v206, v52, v44 offset0:8 offset1:9
	ds_write2_b32 v206, v58, v45 offset0:16 offset1:17
	;; [unrolled: 1-line block ×7, first 2 shown]
	v_add_u32_e32 v1, v207, v211
	s_waitcnt lgkmcnt(0)
	s_barrier
	s_and_saveexec_b64 s[6:7], s[42:43]
	s_cbranch_execz .LBB29_170
; %bb.93:                               ;   in Loop: Header=BB29_14 Depth=1
	v_cmp_gt_i32_e32 vcc, s80, v1
	v_mov_b32_e32 v2, 0x47
	s_and_saveexec_b64 s[36:37], vcc
	s_cbranch_execz .LBB29_95
; %bb.94:                               ;   in Loop: Header=BB29_14 Depth=1
	v_add_u32_e32 v4, v198, v233
	ds_read2st64_b32 v[4:5], v4 offset1:17
	v_add_u32_e32 v2, 0, v233
	ds_read2st64_b32 v[2:3], v2 offset0:1 offset1:18
	v_readlane_b32 s38, v255, 45
	s_waitcnt lgkmcnt(1)
	v_cvt_f32_f16_e32 v8, v4
	v_cvt_f32_f16_sdwa v9, v4 dst_sel:DWORD dst_unused:UNUSED_PAD src0_sel:WORD_1
	v_cvt_f32_f16_e32 v4, v5
	v_cvt_f32_f16_sdwa v5, v5 dst_sel:DWORD dst_unused:UNUSED_PAD src0_sel:WORD_1
	v_mad_u64_u32 v[6:7], s[38:39], v1, s38, v[94:95]
	v_ashrrev_i32_e32 v7, 31, v6
	s_waitcnt lgkmcnt(0)
	v_pk_fma_f32 v[8:9], v[2:3], v[8:9], 0 op_sel_hi:[0,1,0]
	v_mov_b32_e32 v2, v3
	v_lshl_add_u64 v[6:7], v[6:7], 3, v[140:141]
	v_pk_fma_f32 v[2:3], v[2:3], v[4:5], v[8:9] op_sel_hi:[0,1,1]
	global_store_dwordx2 v[6:7], v[2:3], off
	v_mov_b32_e32 v2, 0
.LBB29_95:                              ;   in Loop: Header=BB29_14 Depth=1
	s_or_b64 exec, exec, s[36:37]
	v_cmp_gt_i32_e32 vcc, s44, v2
	s_mov_b64 s[36:37], -1
	s_and_saveexec_b64 s[38:39], vcc
; %bb.96:                               ;   in Loop: Header=BB29_14 Depth=1
	v_cmp_eq_u32_e32 vcc, 0, v2
	s_orn2_b64 s[36:37], vcc, exec
; %bb.97:                               ;   in Loop: Header=BB29_14 Depth=1
	s_or_b64 exec, exec, s[38:39]
	s_and_b64 exec, exec, s[36:37]
	s_cbranch_execz .LBB29_170
; %bb.98:                               ;   in Loop: Header=BB29_14 Depth=1
	v_add_u32_e32 v2, v208, v211
	v_cmp_gt_i32_e32 vcc, s80, v2
	v_mov_b32_e32 v3, 0x47
	s_and_saveexec_b64 s[36:37], vcc
	s_cbranch_execz .LBB29_100
; %bb.99:                               ;   in Loop: Header=BB29_14 Depth=1
	v_add_u32_e32 v3, 0, v234
	ds_read2st64_b32 v[4:5], v3 offset0:1 offset1:18
	v_add_u32_e32 v3, v198, v234
	ds_read2st64_b32 v[6:7], v3 offset1:17
	v_readlane_b32 s38, v255, 45
	s_waitcnt lgkmcnt(0)
	v_cvt_f32_f16_e32 v8, v6
	v_cvt_f32_f16_sdwa v9, v6 dst_sel:DWORD dst_unused:UNUSED_PAD src0_sel:WORD_1
	v_cvt_f32_f16_e32 v6, v7
	v_cvt_f32_f16_sdwa v7, v7 dst_sel:DWORD dst_unused:UNUSED_PAD src0_sel:WORD_1
	v_mad_u64_u32 v[2:3], s[38:39], v2, s38, v[94:95]
	v_ashrrev_i32_e32 v3, 31, v2
	v_pk_fma_f32 v[8:9], v[4:5], v[8:9], 0 op_sel_hi:[0,1,0]
	v_mov_b32_e32 v4, v5
	v_lshl_add_u64 v[2:3], v[2:3], 3, v[140:141]
	v_pk_fma_f32 v[4:5], v[4:5], v[6:7], v[8:9] op_sel_hi:[0,1,1]
	global_store_dwordx2 v[2:3], v[4:5], off
	v_mov_b32_e32 v3, 0
.LBB29_100:                             ;   in Loop: Header=BB29_14 Depth=1
	s_or_b64 exec, exec, s[36:37]
	v_cmp_gt_i32_e32 vcc, s44, v3
	s_mov_b64 s[36:37], -1
	s_and_saveexec_b64 s[38:39], vcc
; %bb.101:                              ;   in Loop: Header=BB29_14 Depth=1
	v_cmp_eq_u32_e32 vcc, 0, v3
	s_orn2_b64 s[36:37], vcc, exec
; %bb.102:                              ;   in Loop: Header=BB29_14 Depth=1
	s_or_b64 exec, exec, s[38:39]
	s_and_b64 exec, exec, s[36:37]
	s_cbranch_execz .LBB29_170
; %bb.103:                              ;   in Loop: Header=BB29_14 Depth=1
	v_add_u32_e32 v2, v137, v211
	v_cmp_gt_i32_e32 vcc, s80, v2
	v_mov_b32_e32 v3, 0x47
	s_and_saveexec_b64 s[36:37], vcc
	s_cbranch_execz .LBB29_105
; %bb.104:                              ;   in Loop: Header=BB29_14 Depth=1
	v_add_u32_e32 v3, 0, v235
	ds_read2st64_b32 v[4:5], v3 offset0:1 offset1:18
	v_add_u32_e32 v3, v198, v235
	ds_read2st64_b32 v[6:7], v3 offset1:17
	v_readlane_b32 s38, v255, 45
	s_waitcnt lgkmcnt(0)
	v_cvt_f32_f16_e32 v8, v6
	v_cvt_f32_f16_sdwa v9, v6 dst_sel:DWORD dst_unused:UNUSED_PAD src0_sel:WORD_1
	v_cvt_f32_f16_e32 v6, v7
	v_cvt_f32_f16_sdwa v7, v7 dst_sel:DWORD dst_unused:UNUSED_PAD src0_sel:WORD_1
	v_mad_u64_u32 v[2:3], s[38:39], v2, s38, v[94:95]
	v_ashrrev_i32_e32 v3, 31, v2
	v_pk_fma_f32 v[8:9], v[4:5], v[8:9], 0 op_sel_hi:[0,1,0]
	v_mov_b32_e32 v4, v5
	v_lshl_add_u64 v[2:3], v[2:3], 3, v[140:141]
	v_pk_fma_f32 v[4:5], v[4:5], v[6:7], v[8:9] op_sel_hi:[0,1,1]
	global_store_dwordx2 v[2:3], v[4:5], off
	v_mov_b32_e32 v3, 0
.LBB29_105:                             ;   in Loop: Header=BB29_14 Depth=1
	s_or_b64 exec, exec, s[36:37]
	v_cmp_gt_i32_e32 vcc, s44, v3
	s_mov_b64 s[36:37], -1
	s_and_saveexec_b64 s[38:39], vcc
; %bb.106:                              ;   in Loop: Header=BB29_14 Depth=1
	v_cmp_eq_u32_e32 vcc, 0, v3
	s_orn2_b64 s[36:37], vcc, exec
; %bb.107:                              ;   in Loop: Header=BB29_14 Depth=1
	s_or_b64 exec, exec, s[38:39]
	s_and_b64 exec, exec, s[36:37]
	s_cbranch_execz .LBB29_170
; %bb.108:                              ;   in Loop: Header=BB29_14 Depth=1
	v_add_u32_e32 v2, 12, v207
	v_add_u32_e32 v2, v2, v211
	v_cmp_gt_i32_e32 vcc, s80, v2
	v_mov_b32_e32 v3, 0x47
	s_and_saveexec_b64 s[36:37], vcc
	s_cbranch_execz .LBB29_110
; %bb.109:                              ;   in Loop: Header=BB29_14 Depth=1
	scratch_load_dword v6, off, off offset:80 ; 4-byte Folded Reload
	v_readlane_b32 s38, v255, 45
	s_waitcnt vmcnt(0)
	v_add_u32_e32 v3, 0, v6
	ds_read2st64_b32 v[4:5], v3 offset0:1 offset1:18
	v_add_u32_e32 v3, v198, v6
	ds_read2st64_b32 v[6:7], v3 offset1:17
	v_mad_u64_u32 v[2:3], s[38:39], v2, s38, v[94:95]
	v_ashrrev_i32_e32 v3, 31, v2
	v_lshl_add_u64 v[2:3], v[2:3], 3, v[140:141]
	s_waitcnt lgkmcnt(0)
	v_cvt_f32_f16_e32 v8, v6
	v_cvt_f32_f16_sdwa v9, v6 dst_sel:DWORD dst_unused:UNUSED_PAD src0_sel:WORD_1
	v_cvt_f32_f16_e32 v6, v7
	v_cvt_f32_f16_sdwa v7, v7 dst_sel:DWORD dst_unused:UNUSED_PAD src0_sel:WORD_1
	v_pk_fma_f32 v[8:9], v[4:5], v[8:9], 0 op_sel_hi:[0,1,0]
	v_mov_b32_e32 v4, v5
	v_pk_fma_f32 v[4:5], v[4:5], v[6:7], v[8:9] op_sel_hi:[0,1,1]
	global_store_dwordx2 v[2:3], v[4:5], off
	v_mov_b32_e32 v3, 0
.LBB29_110:                             ;   in Loop: Header=BB29_14 Depth=1
	s_or_b64 exec, exec, s[36:37]
	v_cmp_gt_i32_e32 vcc, s44, v3
	s_mov_b64 s[36:37], -1
	s_and_saveexec_b64 s[38:39], vcc
; %bb.111:                              ;   in Loop: Header=BB29_14 Depth=1
	v_cmp_eq_u32_e32 vcc, 0, v3
	s_orn2_b64 s[36:37], vcc, exec
; %bb.112:                              ;   in Loop: Header=BB29_14 Depth=1
	s_or_b64 exec, exec, s[38:39]
	s_and_b64 exec, exec, s[36:37]
	s_cbranch_execz .LBB29_170
; %bb.113:                              ;   in Loop: Header=BB29_14 Depth=1
	v_add_u32_e32 v2, 16, v207
	v_add_u32_e32 v2, v2, v211
	v_cmp_gt_i32_e32 vcc, s80, v2
	v_mov_b32_e32 v3, 0x47
	s_and_saveexec_b64 s[36:37], vcc
	s_cbranch_execz .LBB29_115
; %bb.114:                              ;   in Loop: Header=BB29_14 Depth=1
	scratch_load_dword v6, off, off offset:84 ; 4-byte Folded Reload
	v_readlane_b32 s38, v255, 45
	s_waitcnt vmcnt(0)
	v_add_u32_e32 v3, 0, v6
	ds_read2st64_b32 v[4:5], v3 offset0:1 offset1:18
	v_add_u32_e32 v3, v198, v6
	ds_read2st64_b32 v[6:7], v3 offset1:17
	v_mad_u64_u32 v[2:3], s[38:39], v2, s38, v[94:95]
	v_ashrrev_i32_e32 v3, 31, v2
	v_lshl_add_u64 v[2:3], v[2:3], 3, v[140:141]
	s_waitcnt lgkmcnt(0)
	v_cvt_f32_f16_e32 v8, v6
	v_cvt_f32_f16_sdwa v9, v6 dst_sel:DWORD dst_unused:UNUSED_PAD src0_sel:WORD_1
	v_cvt_f32_f16_e32 v6, v7
	v_cvt_f32_f16_sdwa v7, v7 dst_sel:DWORD dst_unused:UNUSED_PAD src0_sel:WORD_1
	v_pk_fma_f32 v[8:9], v[4:5], v[8:9], 0 op_sel_hi:[0,1,0]
	v_mov_b32_e32 v4, v5
	v_pk_fma_f32 v[4:5], v[4:5], v[6:7], v[8:9] op_sel_hi:[0,1,1]
	global_store_dwordx2 v[2:3], v[4:5], off
	v_mov_b32_e32 v3, 0
.LBB29_115:                             ;   in Loop: Header=BB29_14 Depth=1
	;; [unrolled: 40-line block ×12, first 2 shown]
	s_or_b64 exec, exec, s[36:37]
	v_cmp_gt_i32_e32 vcc, s44, v3
	s_mov_b64 s[36:37], -1
	s_and_saveexec_b64 s[38:39], vcc
; %bb.166:                              ;   in Loop: Header=BB29_14 Depth=1
	v_cmp_eq_u32_e32 vcc, 0, v3
	s_orn2_b64 s[36:37], vcc, exec
; %bb.167:                              ;   in Loop: Header=BB29_14 Depth=1
	s_or_b64 exec, exec, s[38:39]
	s_and_b64 exec, exec, s[36:37]
	s_cbranch_execz .LBB29_170
; %bb.168:                              ;   in Loop: Header=BB29_14 Depth=1
	v_add_u32_e32 v2, 60, v207
	v_add_u32_e32 v2, v2, v211
	v_cmp_gt_i32_e32 vcc, s80, v2
	s_and_b64 exec, exec, vcc
	s_cbranch_execz .LBB29_170
; %bb.169:                              ;   in Loop: Header=BB29_14 Depth=1
	scratch_load_dword v6, off, off offset:132 ; 4-byte Folded Reload
	v_readlane_b32 s36, v255, 45
	s_waitcnt vmcnt(0)
	v_add_u32_e32 v3, 0, v6
	ds_read2st64_b32 v[4:5], v3 offset0:1 offset1:18
	v_add_u32_e32 v3, v198, v6
	ds_read2st64_b32 v[6:7], v3 offset1:17
	v_mad_u64_u32 v[2:3], s[36:37], v2, s36, v[94:95]
	v_ashrrev_i32_e32 v3, 31, v2
	v_lshl_add_u64 v[2:3], v[2:3], 3, v[140:141]
	s_waitcnt lgkmcnt(0)
	v_cvt_f32_f16_e32 v8, v6
	v_cvt_f32_f16_sdwa v9, v6 dst_sel:DWORD dst_unused:UNUSED_PAD src0_sel:WORD_1
	v_cvt_f32_f16_e32 v6, v7
	v_cvt_f32_f16_sdwa v7, v7 dst_sel:DWORD dst_unused:UNUSED_PAD src0_sel:WORD_1
	v_pk_fma_f32 v[8:9], v[4:5], v[8:9], 0 op_sel_hi:[0,1,0]
	v_mov_b32_e32 v4, v5
	v_pk_fma_f32 v[4:5], v[4:5], v[6:7], v[8:9] op_sel_hi:[0,1,1]
	global_store_dwordx2 v[2:3], v[4:5], off
.LBB29_170:                             ;   in Loop: Header=BB29_14 Depth=1
	s_or_b64 exec, exec, s[6:7]
	s_barrier
	ds_write2_b32 v206, v73, v46 offset1:1
	ds_write2_b32 v206, v72, v48 offset0:8 offset1:9
	ds_write2_b32 v206, v43, v54 offset0:16 offset1:17
	;; [unrolled: 1-line block ×7, first 2 shown]
	s_waitcnt lgkmcnt(0)
	s_barrier
	s_and_saveexec_b64 s[6:7], s[42:43]
	s_cbranch_execz .LBB29_248
; %bb.171:                              ;   in Loop: Header=BB29_14 Depth=1
	v_cmp_gt_i32_e32 vcc, s80, v1
	v_mov_b32_e32 v2, 0x47
	s_and_saveexec_b64 s[36:37], vcc
	s_cbranch_execz .LBB29_173
; %bb.172:                              ;   in Loop: Header=BB29_14 Depth=1
	v_add_u32_e32 v4, v198, v233
	ds_read2st64_b32 v[4:5], v4 offset1:17
	v_add_u32_e32 v2, 0, v233
	ds_read2st64_b32 v[2:3], v2 offset0:1 offset1:18
	v_readlane_b32 s38, v255, 45
	s_waitcnt lgkmcnt(1)
	v_cvt_f32_f16_e32 v8, v4
	v_cvt_f32_f16_sdwa v9, v4 dst_sel:DWORD dst_unused:UNUSED_PAD src0_sel:WORD_1
	v_cvt_f32_f16_e32 v4, v5
	v_cvt_f32_f16_sdwa v5, v5 dst_sel:DWORD dst_unused:UNUSED_PAD src0_sel:WORD_1
	v_mad_u64_u32 v[6:7], s[38:39], v1, s38, v[122:123]
	v_ashrrev_i32_e32 v7, 31, v6
	s_waitcnt lgkmcnt(0)
	v_pk_fma_f32 v[8:9], v[2:3], v[8:9], 0 op_sel_hi:[0,1,0]
	v_mov_b32_e32 v2, v3
	v_lshl_add_u64 v[6:7], v[6:7], 3, v[140:141]
	v_pk_fma_f32 v[2:3], v[2:3], v[4:5], v[8:9] op_sel_hi:[0,1,1]
	global_store_dwordx2 v[6:7], v[2:3], off
	v_mov_b32_e32 v2, 0
.LBB29_173:                             ;   in Loop: Header=BB29_14 Depth=1
	s_or_b64 exec, exec, s[36:37]
	v_cmp_gt_i32_e32 vcc, s44, v2
	s_mov_b64 s[36:37], -1
	s_and_saveexec_b64 s[38:39], vcc
; %bb.174:                              ;   in Loop: Header=BB29_14 Depth=1
	v_cmp_eq_u32_e32 vcc, 0, v2
	s_orn2_b64 s[36:37], vcc, exec
; %bb.175:                              ;   in Loop: Header=BB29_14 Depth=1
	s_or_b64 exec, exec, s[38:39]
	s_and_b64 exec, exec, s[36:37]
	s_cbranch_execz .LBB29_248
; %bb.176:                              ;   in Loop: Header=BB29_14 Depth=1
	v_add_u32_e32 v1, v208, v211
	v_cmp_gt_i32_e32 vcc, s80, v1
	v_mov_b32_e32 v2, 0x47
	s_and_saveexec_b64 s[36:37], vcc
	s_cbranch_execz .LBB29_178
; %bb.177:                              ;   in Loop: Header=BB29_14 Depth=1
	v_add_u32_e32 v4, v198, v234
	ds_read2st64_b32 v[4:5], v4 offset1:17
	v_add_u32_e32 v2, 0, v234
	ds_read2st64_b32 v[2:3], v2 offset0:1 offset1:18
	v_readlane_b32 s38, v255, 45
	s_waitcnt lgkmcnt(1)
	v_cvt_f32_f16_e32 v8, v4
	v_cvt_f32_f16_sdwa v9, v4 dst_sel:DWORD dst_unused:UNUSED_PAD src0_sel:WORD_1
	v_cvt_f32_f16_e32 v4, v5
	v_cvt_f32_f16_sdwa v5, v5 dst_sel:DWORD dst_unused:UNUSED_PAD src0_sel:WORD_1
	v_mad_u64_u32 v[6:7], s[38:39], v1, s38, v[122:123]
	v_ashrrev_i32_e32 v7, 31, v6
	s_waitcnt lgkmcnt(0)
	v_pk_fma_f32 v[8:9], v[2:3], v[8:9], 0 op_sel_hi:[0,1,0]
	v_mov_b32_e32 v2, v3
	v_lshl_add_u64 v[6:7], v[6:7], 3, v[140:141]
	v_pk_fma_f32 v[2:3], v[2:3], v[4:5], v[8:9] op_sel_hi:[0,1,1]
	global_store_dwordx2 v[6:7], v[2:3], off
	v_mov_b32_e32 v2, 0
.LBB29_178:                             ;   in Loop: Header=BB29_14 Depth=1
	s_or_b64 exec, exec, s[36:37]
	v_cmp_gt_i32_e32 vcc, s44, v2
	s_mov_b64 s[36:37], -1
	s_and_saveexec_b64 s[38:39], vcc
; %bb.179:                              ;   in Loop: Header=BB29_14 Depth=1
	v_cmp_eq_u32_e32 vcc, 0, v2
	s_orn2_b64 s[36:37], vcc, exec
; %bb.180:                              ;   in Loop: Header=BB29_14 Depth=1
	s_or_b64 exec, exec, s[38:39]
	s_and_b64 exec, exec, s[36:37]
	s_cbranch_execz .LBB29_248
; %bb.181:                              ;   in Loop: Header=BB29_14 Depth=1
	v_add_u32_e32 v1, v137, v211
	;; [unrolled: 38-line block ×3, first 2 shown]
	v_add_u32_e32 v1, v1, v211
	v_cmp_gt_i32_e32 vcc, s80, v1
	v_mov_b32_e32 v2, 0x47
	s_and_saveexec_b64 s[36:37], vcc
	s_cbranch_execz .LBB29_188
; %bb.187:                              ;   in Loop: Header=BB29_14 Depth=1
	scratch_load_dword v4, off, off offset:80 ; 4-byte Folded Reload
	v_readlane_b32 s38, v255, 45
	s_waitcnt vmcnt(0)
	v_add_u32_e32 v2, 0, v4
	v_add_u32_e32 v4, v198, v4
	ds_read2st64_b32 v[4:5], v4 offset1:17
	ds_read2st64_b32 v[2:3], v2 offset0:1 offset1:18
	v_mad_u64_u32 v[6:7], s[38:39], v1, s38, v[122:123]
	v_ashrrev_i32_e32 v7, 31, v6
	s_waitcnt lgkmcnt(1)
	v_cvt_f32_f16_e32 v8, v4
	v_cvt_f32_f16_sdwa v9, v4 dst_sel:DWORD dst_unused:UNUSED_PAD src0_sel:WORD_1
	v_cvt_f32_f16_e32 v4, v5
	v_cvt_f32_f16_sdwa v5, v5 dst_sel:DWORD dst_unused:UNUSED_PAD src0_sel:WORD_1
	v_lshl_add_u64 v[6:7], v[6:7], 3, v[140:141]
	s_waitcnt lgkmcnt(0)
	v_pk_fma_f32 v[8:9], v[2:3], v[8:9], 0 op_sel_hi:[0,1,0]
	v_mov_b32_e32 v2, v3
	v_pk_fma_f32 v[2:3], v[2:3], v[4:5], v[8:9] op_sel_hi:[0,1,1]
	global_store_dwordx2 v[6:7], v[2:3], off
	v_mov_b32_e32 v2, 0
.LBB29_188:                             ;   in Loop: Header=BB29_14 Depth=1
	s_or_b64 exec, exec, s[36:37]
	v_cmp_gt_i32_e32 vcc, s44, v2
	s_mov_b64 s[36:37], -1
	s_and_saveexec_b64 s[38:39], vcc
; %bb.189:                              ;   in Loop: Header=BB29_14 Depth=1
	v_cmp_eq_u32_e32 vcc, 0, v2
	s_orn2_b64 s[36:37], vcc, exec
; %bb.190:                              ;   in Loop: Header=BB29_14 Depth=1
	s_or_b64 exec, exec, s[38:39]
	s_and_b64 exec, exec, s[36:37]
	s_cbranch_execz .LBB29_248
; %bb.191:                              ;   in Loop: Header=BB29_14 Depth=1
	v_add_u32_e32 v1, 16, v207
	v_add_u32_e32 v1, v1, v211
	v_cmp_gt_i32_e32 vcc, s80, v1
	v_mov_b32_e32 v2, 0x47
	s_and_saveexec_b64 s[36:37], vcc
	s_cbranch_execz .LBB29_193
; %bb.192:                              ;   in Loop: Header=BB29_14 Depth=1
	scratch_load_dword v4, off, off offset:84 ; 4-byte Folded Reload
	v_readlane_b32 s38, v255, 45
	s_waitcnt vmcnt(0)
	v_add_u32_e32 v2, 0, v4
	v_add_u32_e32 v4, v198, v4
	ds_read2st64_b32 v[4:5], v4 offset1:17
	ds_read2st64_b32 v[2:3], v2 offset0:1 offset1:18
	v_mad_u64_u32 v[6:7], s[38:39], v1, s38, v[122:123]
	v_ashrrev_i32_e32 v7, 31, v6
	s_waitcnt lgkmcnt(1)
	v_cvt_f32_f16_e32 v8, v4
	v_cvt_f32_f16_sdwa v9, v4 dst_sel:DWORD dst_unused:UNUSED_PAD src0_sel:WORD_1
	v_cvt_f32_f16_e32 v4, v5
	v_cvt_f32_f16_sdwa v5, v5 dst_sel:DWORD dst_unused:UNUSED_PAD src0_sel:WORD_1
	v_lshl_add_u64 v[6:7], v[6:7], 3, v[140:141]
	s_waitcnt lgkmcnt(0)
	v_pk_fma_f32 v[8:9], v[2:3], v[8:9], 0 op_sel_hi:[0,1,0]
	v_mov_b32_e32 v2, v3
	v_pk_fma_f32 v[2:3], v[2:3], v[4:5], v[8:9] op_sel_hi:[0,1,1]
	global_store_dwordx2 v[6:7], v[2:3], off
	v_mov_b32_e32 v2, 0
.LBB29_193:                             ;   in Loop: Header=BB29_14 Depth=1
	s_or_b64 exec, exec, s[36:37]
	v_cmp_gt_i32_e32 vcc, s44, v2
	s_mov_b64 s[36:37], -1
	s_and_saveexec_b64 s[38:39], vcc
; %bb.194:                              ;   in Loop: Header=BB29_14 Depth=1
	v_cmp_eq_u32_e32 vcc, 0, v2
	s_orn2_b64 s[36:37], vcc, exec
; %bb.195:                              ;   in Loop: Header=BB29_14 Depth=1
	s_or_b64 exec, exec, s[38:39]
	s_and_b64 exec, exec, s[36:37]
	s_cbranch_execz .LBB29_248
; %bb.196:                              ;   in Loop: Header=BB29_14 Depth=1
	v_add_u32_e32 v1, 20, v207
	;; [unrolled: 41-line block ×12, first 2 shown]
	v_add_u32_e32 v1, v1, v211
	v_cmp_gt_i32_e32 vcc, s80, v1
	s_and_b64 exec, exec, vcc
	s_cbranch_execz .LBB29_248
; %bb.247:                              ;   in Loop: Header=BB29_14 Depth=1
	scratch_load_dword v4, off, off offset:132 ; 4-byte Folded Reload
	v_readlane_b32 s36, v255, 45
	s_waitcnt vmcnt(0)
	v_add_u32_e32 v2, 0, v4
	v_add_u32_e32 v4, v198, v4
	ds_read2st64_b32 v[4:5], v4 offset1:17
	ds_read2st64_b32 v[2:3], v2 offset0:1 offset1:18
	v_mad_u64_u32 v[6:7], s[36:37], v1, s36, v[122:123]
	v_ashrrev_i32_e32 v7, 31, v6
	s_waitcnt lgkmcnt(1)
	v_cvt_f32_f16_e32 v8, v4
	v_cvt_f32_f16_sdwa v9, v4 dst_sel:DWORD dst_unused:UNUSED_PAD src0_sel:WORD_1
	v_cvt_f32_f16_e32 v4, v5
	v_cvt_f32_f16_sdwa v5, v5 dst_sel:DWORD dst_unused:UNUSED_PAD src0_sel:WORD_1
	v_lshl_add_u64 v[6:7], v[6:7], 3, v[140:141]
	s_waitcnt lgkmcnt(0)
	v_pk_fma_f32 v[8:9], v[2:3], v[8:9], 0 op_sel_hi:[0,1,0]
	v_mov_b32_e32 v2, v3
	v_pk_fma_f32 v[2:3], v[2:3], v[4:5], v[8:9] op_sel_hi:[0,1,1]
	global_store_dwordx2 v[6:7], v[2:3], off
.LBB29_248:                             ;   in Loop: Header=BB29_14 Depth=1
	s_or_b64 exec, exec, s[6:7]
	s_barrier
	s_branch .LBB29_13
.LBB29_249:                             ;   in Loop: Header=BB29_14 Depth=1
	v_cmp_le_i32_e32 vcc, s80, v238
	s_and_saveexec_b64 s[6:7], vcc
	s_xor_b64 s[6:7], exec, s[6:7]
; %bb.250:                              ;   in Loop: Header=BB29_14 Depth=1
	v_add_u32_e32 v1, v198, v241
	ds_write2st64_b32 v1, v97, v97 offset1:1
; %bb.251:                              ;   in Loop: Header=BB29_14 Depth=1
	s_andn2_saveexec_b64 s[6:7], s[6:7]
	s_cbranch_execz .LBB29_253
; %bb.252:                              ;   in Loop: Header=BB29_14 Depth=1
	v_mad_u64_u32 v[2:3], s[36:37], v238, s63, v[94:95]
	v_ashrrev_i32_e32 v3, 31, v2
	v_lshl_add_u64 v[2:3], v[2:3], 3, v[160:161]
	global_load_dwordx2 v[4:5], v[2:3], off
	s_nop 0
	global_load_dwordx2 v[2:3], v[2:3], off offset:512
	s_waitcnt vmcnt(1)
	v_cvt_pk_f16_f32 v1, v4, v5
	s_waitcnt vmcnt(0)
	v_cvt_pk_f16_f32 v2, v2, v3
	v_pk_mul_f16 v1, v1, v250
	v_pk_mul_f16 v2, v2, v250
	ds_write2st64_b32 v240, v1, v2 offset1:1
.LBB29_253:                             ;   in Loop: Header=BB29_14 Depth=1
	s_or_b64 exec, exec, s[6:7]
	v_add_u32_e32 v210, v196, v211
	v_cmp_le_i32_e32 vcc, s80, v210
	s_and_saveexec_b64 s[6:7], vcc
	s_xor_b64 s[6:7], exec, s[6:7]
; %bb.254:                              ;   in Loop: Header=BB29_14 Depth=1
	v_add_u32_e32 v1, v198, v241
	v_add_u32_e32 v1, 0x80, v1
	ds_write2st64_b32 v1, v97, v97 offset0:16 offset1:17
; %bb.255:                              ;   in Loop: Header=BB29_14 Depth=1
	s_andn2_saveexec_b64 s[6:7], s[6:7]
	s_cbranch_execz .LBB29_257
; %bb.256:                              ;   in Loop: Header=BB29_14 Depth=1
	v_mad_u64_u32 v[2:3], s[36:37], v210, s63, v[94:95]
	v_ashrrev_i32_e32 v3, 31, v2
	v_lshl_add_u64 v[2:3], v[2:3], 3, v[160:161]
	global_load_dwordx2 v[4:5], v[2:3], off
	s_nop 0
	global_load_dwordx2 v[2:3], v[2:3], off offset:512
	s_waitcnt vmcnt(1)
	v_cvt_pk_f16_f32 v1, v4, v5
	s_waitcnt vmcnt(0)
	v_cvt_pk_f16_f32 v2, v2, v3
	v_pk_mul_f16 v1, v1, v250
	v_pk_mul_f16 v2, v2, v250
	ds_write2st64_b32 v221, v1, v2 offset1:1
.LBB29_257:                             ;   in Loop: Header=BB29_14 Depth=1
	s_or_b64 exec, exec, s[6:7]
	v_add_u32_e32 v237, v195, v211
	v_cmp_le_i32_e32 vcc, s80, v237
	s_and_saveexec_b64 s[6:7], vcc
	s_xor_b64 s[6:7], exec, s[6:7]
; %bb.258:                              ;   in Loop: Header=BB29_14 Depth=1
	v_add_u32_e32 v1, v198, v241
	ds_write2st64_b32 v1, v97, v97 offset0:33 offset1:34
; %bb.259:                              ;   in Loop: Header=BB29_14 Depth=1
	s_andn2_saveexec_b64 s[6:7], s[6:7]
	s_cbranch_execz .LBB29_261
; %bb.260:                              ;   in Loop: Header=BB29_14 Depth=1
	v_mad_u64_u32 v[2:3], s[36:37], v237, s63, v[94:95]
	v_ashrrev_i32_e32 v3, 31, v2
	v_lshl_add_u64 v[2:3], v[2:3], 3, v[160:161]
	global_load_dwordx2 v[4:5], v[2:3], off
	s_nop 0
	global_load_dwordx2 v[2:3], v[2:3], off offset:512
	s_waitcnt vmcnt(1)
	v_cvt_pk_f16_f32 v1, v4, v5
	s_waitcnt vmcnt(0)
	v_cvt_pk_f16_f32 v2, v2, v3
	v_pk_mul_f16 v1, v1, v250
	v_pk_mul_f16 v2, v2, v250
	ds_write2st64_b32 v222, v1, v2 offset1:1
.LBB29_261:                             ;   in Loop: Header=BB29_14 Depth=1
	s_or_b64 exec, exec, s[6:7]
	v_add_u32_e32 v190, v194, v211
	v_cmp_le_i32_e32 vcc, s80, v190
	s_and_saveexec_b64 s[6:7], vcc
	s_xor_b64 s[6:7], exec, s[6:7]
; %bb.262:                              ;   in Loop: Header=BB29_14 Depth=1
	v_add_u32_e32 v1, v198, v241
	v_add_u32_e32 v1, 0x80, v1
	ds_write2st64_b32 v1, v97, v97 offset0:49 offset1:50
; %bb.263:                              ;   in Loop: Header=BB29_14 Depth=1
	s_andn2_saveexec_b64 s[6:7], s[6:7]
	s_cbranch_execz .LBB29_265
; %bb.264:                              ;   in Loop: Header=BB29_14 Depth=1
	v_mad_u64_u32 v[2:3], s[36:37], v190, s63, v[94:95]
	v_ashrrev_i32_e32 v3, 31, v2
	v_lshl_add_u64 v[2:3], v[2:3], 3, v[160:161]
	global_load_dwordx2 v[4:5], v[2:3], off
	s_nop 0
	global_load_dwordx2 v[2:3], v[2:3], off offset:512
	s_waitcnt vmcnt(1)
	v_cvt_pk_f16_f32 v1, v4, v5
	s_waitcnt vmcnt(0)
	v_cvt_pk_f16_f32 v2, v2, v3
	v_pk_mul_f16 v1, v1, v250
	v_pk_mul_f16 v2, v2, v250
	ds_write2st64_b32 v220, v1, v2 offset1:1
.LBB29_265:                             ;   in Loop: Header=BB29_14 Depth=1
	s_or_b64 exec, exec, s[6:7]
	v_add_u32_e32 v197, v193, v211
	v_cmp_le_i32_e32 vcc, s80, v197
	s_and_saveexec_b64 s[6:7], vcc
	s_xor_b64 s[6:7], exec, s[6:7]
; %bb.266:                              ;   in Loop: Header=BB29_14 Depth=1
	v_add_u32_e32 v1, v198, v241
	ds_write2st64_b32 v1, v97, v97 offset0:66 offset1:67
; %bb.267:                              ;   in Loop: Header=BB29_14 Depth=1
	s_andn2_saveexec_b64 s[6:7], s[6:7]
	s_cbranch_execz .LBB29_269
; %bb.268:                              ;   in Loop: Header=BB29_14 Depth=1
	v_mad_u64_u32 v[2:3], s[36:37], v197, s63, v[94:95]
	v_ashrrev_i32_e32 v3, 31, v2
	v_lshl_add_u64 v[2:3], v[2:3], 3, v[160:161]
	global_load_dwordx2 v[4:5], v[2:3], off
	s_waitcnt vmcnt(0)
	v_cvt_pk_f16_f32 v1, v4, v5
	global_load_dwordx2 v[2:3], v[2:3], off offset:512
	v_pk_mul_f16 v1, v1, v250
	s_waitcnt vmcnt(0)
	v_cvt_pk_f16_f32 v2, v2, v3
	v_pk_mul_f16 v2, v2, v250
	ds_write2st64_b32 v218, v1, v2 offset1:1
.LBB29_269:                             ;   in Loop: Header=BB29_14 Depth=1
	s_or_b64 exec, exec, s[6:7]
	v_add_u32_e32 v236, v192, v211
	v_cmp_le_i32_e32 vcc, s80, v236
	s_and_saveexec_b64 s[6:7], vcc
	s_xor_b64 s[6:7], exec, s[6:7]
; %bb.270:                              ;   in Loop: Header=BB29_14 Depth=1
	v_add_u32_e32 v1, v198, v241
	v_add_u32_e32 v1, 0x80, v1
	ds_write2st64_b32 v1, v97, v97 offset0:82 offset1:83
; %bb.271:                              ;   in Loop: Header=BB29_14 Depth=1
	s_andn2_saveexec_b64 s[6:7], s[6:7]
	s_cbranch_execz .LBB29_273
; %bb.272:                              ;   in Loop: Header=BB29_14 Depth=1
	v_mad_u64_u32 v[2:3], s[36:37], v236, s63, v[94:95]
	v_ashrrev_i32_e32 v3, 31, v2
	v_lshl_add_u64 v[2:3], v[2:3], 3, v[160:161]
	global_load_dwordx2 v[4:5], v[2:3], off
	s_waitcnt vmcnt(0)
	v_cvt_pk_f16_f32 v1, v4, v5
	global_load_dwordx2 v[2:3], v[2:3], off offset:512
	v_pk_mul_f16 v1, v1, v250
	s_waitcnt vmcnt(0)
	v_cvt_pk_f16_f32 v2, v2, v3
	v_pk_mul_f16 v2, v2, v250
	ds_write2st64_b32 v217, v1, v2 offset1:1
.LBB29_273:                             ;   in Loop: Header=BB29_14 Depth=1
	s_or_b64 exec, exec, s[6:7]
	v_add_u32_e32 v209, v99, v211
	v_cmp_le_i32_e32 vcc, s80, v209
	s_and_saveexec_b64 s[6:7], vcc
	s_xor_b64 s[6:7], exec, s[6:7]
; %bb.274:                              ;   in Loop: Header=BB29_14 Depth=1
	v_add_u32_e32 v1, v198, v241
	ds_write2st64_b32 v1, v97, v97 offset0:99 offset1:100
; %bb.275:                              ;   in Loop: Header=BB29_14 Depth=1
	s_andn2_saveexec_b64 s[6:7], s[6:7]
	s_cbranch_execz .LBB29_277
; %bb.276:                              ;   in Loop: Header=BB29_14 Depth=1
	v_mad_u64_u32 v[2:3], s[36:37], v209, s63, v[94:95]
	v_ashrrev_i32_e32 v3, 31, v2
	v_lshl_add_u64 v[2:3], v[2:3], 3, v[160:161]
	global_load_dwordx2 v[4:5], v[2:3], off
	s_waitcnt vmcnt(0)
	v_cvt_pk_f16_f32 v1, v4, v5
	global_load_dwordx2 v[2:3], v[2:3], off offset:512
	v_pk_mul_f16 v1, v1, v250
	s_waitcnt vmcnt(0)
	v_cvt_pk_f16_f32 v2, v2, v3
	v_pk_mul_f16 v2, v2, v250
	ds_write2st64_b32 v216, v1, v2 offset1:1
.LBB29_277:                             ;   in Loop: Header=BB29_14 Depth=1
	s_or_b64 exec, exec, s[6:7]
	v_add_u32_e32 v120, v95, v211
	v_cmp_le_i32_e32 vcc, s80, v120
	s_and_saveexec_b64 s[6:7], vcc
	s_xor_b64 s[6:7], exec, s[6:7]
; %bb.278:                              ;   in Loop: Header=BB29_14 Depth=1
	v_add_u32_e32 v1, v198, v241
	v_add_u32_e32 v1, 0x80, v1
	ds_write2st64_b32 v1, v97, v97 offset0:115 offset1:116
                                        ; implicit-def: $vgpr160_vgpr161
; %bb.279:                              ;   in Loop: Header=BB29_14 Depth=1
	s_andn2_saveexec_b64 s[6:7], s[6:7]
	s_cbranch_execz .LBB29_281
; %bb.280:                              ;   in Loop: Header=BB29_14 Depth=1
	v_mad_u64_u32 v[2:3], s[36:37], v120, s63, v[94:95]
	v_ashrrev_i32_e32 v3, 31, v2
	v_lshl_add_u64 v[2:3], v[2:3], 3, v[160:161]
	global_load_dwordx2 v[4:5], v[2:3], off
	s_nop 0
	global_load_dwordx2 v[2:3], v[2:3], off offset:512
	s_waitcnt vmcnt(1)
	v_cvt_pk_f16_f32 v1, v4, v5
	s_waitcnt vmcnt(0)
	v_cvt_pk_f16_f32 v2, v2, v3
	v_pk_mul_f16 v1, v1, v250
	v_pk_mul_f16 v2, v2, v250
	ds_write2st64_b32 v239, v1, v2 offset1:1
.LBB29_281:                             ;   in Loop: Header=BB29_14 Depth=1
	s_or_b64 exec, exec, s[6:7]
	s_waitcnt lgkmcnt(0)
	s_barrier
	ds_read2_b64 v[30:33], v199 offset1:4
	ds_read2_b64 v[26:29], v199 offset0:8 offset1:12
	ds_read2_b64 v[22:25], v199 offset0:16 offset1:20
	;; [unrolled: 1-line block ×7, first 2 shown]
	s_cmp_lt_i32 s86, 2
	v_cmp_ne_u64_e64 s[36:37], 0, v[148:149]
	s_waitcnt lgkmcnt(0)
	s_barrier
	s_cbranch_scc1 .LBB29_292
; %bb.282:                              ;   in Loop: Header=BB29_14 Depth=1
	v_mul_hi_u32 v36, s96, v190
	v_mul_hi_u32 v37, s96, v197
	v_add_u32_e32 v36, v190, v36
	v_add_u32_e32 v37, v197, v37
	v_lshrrev_b32_e32 v36, s97, v36
	v_lshrrev_b32_e32 v37, s97, v37
	v_mul_lo_u32 v36, v36, s80
	v_mul_lo_u32 v37, v37, s80
	v_readlane_b32 s6, v255, 55
	v_sub_u32_e32 v36, v190, v36
	v_sub_u32_e32 v37, v197, v37
	v_readlane_b32 s7, v255, 56
	s_mov_b32 s38, s6
	v_mad_i64_i32 v[168:169], s[6:7], s38, v36, v[148:149]
	v_mad_i64_i32 v[170:171], s[6:7], s38, v37, v[148:149]
	scratch_load_dwordx2 v[36:37], off, off offset:16 ; 8-byte Folded Reload
	v_mul_hi_u32 v34, s96, v210
	v_mul_hi_u32 v35, s96, v237
	v_add_u32_e32 v34, v210, v34
	v_add_u32_e32 v35, v237, v35
	v_lshrrev_b32_e32 v34, s97, v34
	v_lshrrev_b32_e32 v35, s97, v35
	v_mul_lo_u32 v34, v34, s80
	v_mul_lo_u32 v35, v35, s80
	v_sub_u32_e32 v34, v210, v34
	v_sub_u32_e32 v35, v237, v35
	v_mad_i64_i32 v[164:165], s[6:7], s38, v34, v[148:149]
	v_mad_i64_i32 v[166:167], s[6:7], s38, v35, v[148:149]
	v_lshl_add_u64 v[34:35], v[152:153], 0, v[154:155]
	v_and_b32_e32 v41, 64, v249
	v_add_u32_e32 v41, 64, v41
	v_xor_b32_e32 v42, 32, v249
	v_mul_hi_u32 v1, s96, v238
	v_mul_hi_u32 v38, s96, v236
	;; [unrolled: 1-line block ×4, first 2 shown]
	v_cmp_lt_i32_e32 vcc, v42, v41
	v_add_u32_e32 v1, v238, v1
	v_add_u32_e32 v38, v236, v38
	v_add_u32_e32 v39, v209, v39
	v_add_u32_e32 v40, v120, v40
	v_cndmask_b32_e32 v42, v249, v42, vcc
	v_lshrrev_b32_e32 v1, s97, v1
	v_lshrrev_b32_e32 v38, s97, v38
	;; [unrolled: 1-line block ×4, first 2 shown]
	v_lshlrev_b32_e32 v96, 2, v42
	v_xor_b32_e32 v42, 16, v249
	v_mul_lo_u32 v1, v1, s80
	v_mul_lo_u32 v38, v38, s80
	v_mul_lo_u32 v39, v39, s80
	v_mul_lo_u32 v40, v40, s80
	v_cmp_lt_i32_e32 vcc, v42, v41
	s_add_i32 s40, s86, -1
	v_sub_u32_e32 v1, v238, v1
	v_sub_u32_e32 v38, v236, v38
	;; [unrolled: 1-line block ×4, first 2 shown]
	v_cndmask_b32_e32 v41, v249, v42, vcc
	v_lshlrev_b32_e32 v191, 2, v41
	v_mov_b32_e32 v160, v146
	v_mov_b32_e32 v161, v146
	v_mad_i64_i32 v[162:163], s[6:7], s38, v1, v[148:149]
	v_mad_i64_i32 v[172:173], s[6:7], s38, v38, v[148:149]
	v_mad_i64_i32 v[174:175], s[6:7], s38, v39, v[148:149]
	v_mad_i64_i32 v[176:177], s[6:7], s38, v40, v[148:149]
	v_mov_b32_e32 v124, 0
	v_mov_b32_e32 v60, 0xfeffffff
	;; [unrolled: 1-line block ×3, first 2 shown]
	s_mov_b32 s41, s40
	v_mov_b32_e32 v186, 0
	v_mov_b32_e32 v91, 0
	v_mov_b32_e32 v90, 0
	v_mov_b32_e32 v87, 0
	v_mov_b32_e32 v86, 0
	v_mov_b32_e32 v83, 0
	v_mov_b32_e32 v82, 0
	v_mov_b32_e32 v79, 0
	v_mov_b32_e32 v78, 0
	v_mov_b32_e32 v75, 0
	v_mov_b32_e32 v74, 0
	v_mov_b32_e32 v71, 0
	v_mov_b32_e32 v70, 0
	v_mov_b32_e32 v67, 0
	v_mov_b32_e32 v66, 0
	v_mov_b32_e32 v63, 0
	v_mov_b32_e32 v62, 0
	v_mov_b32_e32 v59, 0
	v_mov_b32_e32 v58, 0
	s_waitcnt vmcnt(0)
	v_lshl_add_u64 v[152:153], v[36:37], 0, v[34:35]
	scratch_load_dwordx2 v[36:37], off, off offset:24 ; 8-byte Folded Reload
	v_mov_b32_e32 v61, 0
	v_mov_b32_e32 v54, 0
	;; [unrolled: 1-line block ×12, first 2 shown]
	s_waitcnt vmcnt(0)
	v_lshl_add_u64 v[154:155], v[36:37], 0, v[34:35]
	scratch_load_dwordx2 v[36:37], off, off offset:32 ; 8-byte Folded Reload
	s_waitcnt vmcnt(0)
	v_lshl_add_u64 v[178:179], v[36:37], 0, v[34:35]
	scratch_load_dwordx2 v[36:37], off, off offset:40 ; 8-byte Folded Reload
	;; [unrolled: 3-line block ×3, first 2 shown]
	v_lshl_add_u64 v[34:35], v[156:157], 0, v[158:159]
	v_lshl_add_u64 v[184:185], v[138:139], 0, v[34:35]
	s_waitcnt vmcnt(0)
	v_lshl_add_u64 v[156:157], v[36:37], 0, v[34:35]
	scratch_load_dwordx2 v[36:37], off, off offset:56 ; 8-byte Folded Reload
	s_waitcnt vmcnt(0)
	v_lshl_add_u64 v[158:159], v[36:37], 0, v[34:35]
	scratch_load_dwordx2 v[36:37], off, off offset:64 ; 8-byte Folded Reload
	s_waitcnt vmcnt(0)
	v_lshl_add_u64 v[182:183], v[36:37], 0, v[34:35]
	v_cndmask_b32_e64 v1, 0, 1, s[36:37]
	v_cmp_ne_u32_e64 s[38:39], 1, v1
	s_andn2_b64 vcc, exec, s[36:37]
	s_cbranch_vccnz .LBB29_288
.LBB29_283:                             ;   in Loop: Header=BB29_14 Depth=1
	s_and_saveexec_b64 s[6:7], s[0:1]
	s_xor_b64 s[6:7], exec, s[6:7]
	s_cbranch_execz .LBB29_285
; %bb.284:                              ;   in Loop: Header=BB29_14 Depth=1
	v_add_u32_e32 v1, v251, v252
	ds_write_b16 v1, v97 offset:33792
	ds_write_b16 v1, v97 offset:34944
	;; [unrolled: 1-line block ×4, first 2 shown]
.LBB29_285:                             ;   in Loop: Header=BB29_14 Depth=1
	s_or_saveexec_b64 s[6:7], s[6:7]
	v_mov_b32_e32 v1, 0
	v_mov_b32_e32 v34, 0
	;; [unrolled: 1-line block ×4, first 2 shown]
	s_xor_b64 exec, exec, s[6:7]
	s_cbranch_execz .LBB29_287
; %bb.286:                              ;   in Loop: Header=BB29_14 Depth=1
	v_lshl_add_u64 v[34:35], v[162:163], 0, v[116:117]
	global_load_ushort v1, v[34:35], off
	v_lshl_add_u64 v[34:35], v[164:165], 0, v[116:117]
	global_load_ushort v36, v[34:35], off
	;; [unrolled: 2-line block ×4, first 2 shown]
	v_add_u32_e32 v35, v251, v252
	s_waitcnt vmcnt(3)
	ds_write_b16 v35, v1 offset:33792
	s_waitcnt vmcnt(2)
	ds_write_b16 v35, v36 offset:34944
	s_waitcnt vmcnt(1)
	ds_write_b16 v35, v37 offset:36096
	s_waitcnt vmcnt(0)
	ds_write_b16 v35, v34 offset:37248
	v_lshl_add_u64 v[34:35], v[170:171], 0, v[116:117]
	global_load_ushort v1, v[34:35], off
	v_lshl_add_u64 v[34:35], v[172:173], 0, v[116:117]
	v_lshl_add_u64 v[36:37], v[174:175], 0, v[116:117]
	global_load_ushort v34, v[34:35], off
	s_nop 0
	global_load_ushort v35, v[36:37], off
	v_lshl_add_u64 v[36:37], v[176:177], 0, v[116:117]
	global_load_ushort v36, v[36:37], off
.LBB29_287:                             ;   in Loop: Header=BB29_14 Depth=1
	s_or_b64 exec, exec, s[6:7]
	v_add_u32_e32 v37, v251, v252
	s_waitcnt vmcnt(3)
	ds_write_b16 v37, v1 offset:38400
	s_waitcnt vmcnt(2)
	ds_write_b16 v37, v34 offset:39552
	;; [unrolled: 2-line block ×4, first 2 shown]
.LBB29_288:                             ;   Parent Loop BB29_14 Depth=1
                                        ; =>  This Inner Loop Header: Depth=2
	v_mov_b32_e32 v1, s93
	v_lshl_add_u64 v[36:37], v[158:159], 0, v[118:119]
	v_lshl_add_u64 v[34:35], v[156:157], 0, v[118:119]
	v_cndmask_b32_e64 v39, v1, v37, s[8:9]
	v_cndmask_b32_e64 v38, v212, v36, s[8:9]
	v_lshl_add_u64 v[36:37], v[182:183], 0, v[118:119]
	v_cndmask_b32_e64 v35, v1, v35, s[52:53]
	v_cndmask_b32_e64 v34, v212, v34, s[52:53]
	;; [unrolled: 1-line block ×4, first 2 shown]
	v_lshl_add_u64 v[36:37], v[184:185], 0, v[118:119]
	scratch_store_dwordx4 off, v[128:131], off
	v_cndmask_b32_e64 v45, v1, v37, s[12:13]
	v_cndmask_b32_e64 v44, v212, v36, s[12:13]
	flat_load_dwordx4 v[34:37], v[34:35]
	v_add_u32_e32 v1, 0x4000, v202
	s_and_b64 vcc, exec, s[38:39]
	s_waitcnt vmcnt(0) lgkmcnt(0)
	ds_write_b128 v201, v[34:37]
	flat_load_dwordx4 v[34:37], v[38:39]
	s_waitcnt vmcnt(0) lgkmcnt(0)
	ds_write_b128 v254, v[34:37]
	flat_load_dwordx4 v[34:37], v[42:43]
	;; [unrolled: 3-line block ×3, first 2 shown]
	s_waitcnt vmcnt(0) lgkmcnt(0)
	ds_write_b128 v246, v[34:37]
	s_waitcnt lgkmcnt(0)
	s_barrier
	ds_read2_b64 v[34:37], v202 offset1:4
	s_waitcnt lgkmcnt(0)
	v_mfma_f32_16x16x16_f16 v[42:45], v[34:35], v[30:31], 0
	v_mfma_f32_16x16x16_f16 v[34:37], v[36:37], v[32:33], v[42:45]
	s_nop 6
	ds_read2_b64 v[42:45], v202 offset0:8 offset1:12
	s_waitcnt lgkmcnt(0)
	v_mfma_f32_16x16x16_f16 v[34:37], v[42:43], v[26:27], v[34:37]
	v_mfma_f32_16x16x16_f16 v[34:37], v[44:45], v[28:29], v[34:37]
	ds_read2_b64 v[42:45], v202 offset0:16 offset1:20
	s_waitcnt lgkmcnt(0)
	v_mfma_f32_16x16x16_f16 v[34:37], v[42:43], v[22:23], v[34:37]
	v_mfma_f32_16x16x16_f16 v[34:37], v[44:45], v[24:25], v[34:37]
	;; [unrolled: 4-line block ×8, first 2 shown]
	s_nop 6
	ds_read2_b64 v[132:135], v1 offset0:72 offset1:76
	s_waitcnt lgkmcnt(0)
	v_mfma_f32_16x16x16_f16 v[42:45], v[132:133], v[26:27], v[42:45]
	v_mfma_f32_16x16x16_f16 v[42:45], v[134:135], v[28:29], v[42:45]
	ds_read2_b64 v[132:135], v1 offset0:80 offset1:84
	s_waitcnt lgkmcnt(0)
	v_mfma_f32_16x16x16_f16 v[42:45], v[132:133], v[22:23], v[42:45]
	v_mfma_f32_16x16x16_f16 v[42:45], v[134:135], v[24:25], v[42:45]
	;; [unrolled: 4-line block ×6, first 2 shown]
	ds_read2_b64 v[132:135], v1 offset0:120 offset1:124
	s_waitcnt lgkmcnt(0)
	s_barrier
	v_mfma_f32_16x16x16_f16 v[42:45], v[132:133], v[2:3], v[42:45]
	v_mfma_f32_16x16x16_f16 v[42:45], v[134:135], v[4:5], v[42:45]
	s_cbranch_vccnz .LBB29_290
; %bb.289:                              ;   in Loop: Header=BB29_288 Depth=2
	v_add_u32_e32 v1, 0x8400, v226
	ds_read2_b32 v[34:35], v1 offset1:1
	ds_read_b32 v1, v228 offset:33792
	v_mov_b32_e32 v147, v146
	s_waitcnt lgkmcnt(1)
	v_cvt_f32_f16_e32 v64, v34
	v_cvt_f32_f16_sdwa v65, v34 dst_sel:DWORD dst_unused:UNUSED_PAD src0_sel:WORD_1
	v_cvt_f32_f16_e32 v34, v35
	v_cvt_f32_f16_sdwa v35, v35 dst_sel:DWORD dst_unused:UNUSED_PAD src0_sel:WORD_1
	v_pk_fma_f32 v[36:37], v[160:161], v[64:65], v[36:37]
	v_pk_fma_f32 v[38:39], v[146:147], v[34:35], v[38:39]
	s_waitcnt lgkmcnt(0)
	v_cvt_f32_f16_sdwa v35, v1 dst_sel:DWORD dst_unused:UNUSED_PAD src0_sel:WORD_1
	v_cvt_f32_f16_e32 v34, v1
	ds_read_b32 v1, v230 offset:33792
	v_pk_fma_f32 v[42:43], v[160:161], v[34:35], v[42:43]
	s_waitcnt lgkmcnt(0)
	v_cvt_f32_f16_sdwa v65, v1 dst_sel:DWORD dst_unused:UNUSED_PAD src0_sel:WORD_1
	v_cvt_f32_f16_e32 v64, v1
	v_pk_fma_f32 v[44:45], v[146:147], v[64:65], v[44:45]
.LBB29_290:                             ;   in Loop: Header=BB29_288 Depth=2
	v_add_f32_e32 v1, 0x40051340, v36
	v_max_f32_e32 v34, v60, v60
	v_max_f32_e32 v1, v34, v1
	v_cndmask_b32_e64 v1, v60, v1, s[14:15]
	v_add_f32_e32 v34, 0x40051340, v37
	v_max_f32_e32 v35, v1, v1
	v_max_f32_e32 v34, v35, v34
	v_cndmask_b32_e64 v1, v1, v34, s[16:17]
	;; [unrolled: 4-line block ×8, first 2 shown]
	ds_bpermute_b32 v34, v96, v1
	v_max_f32_e32 v1, v1, v1
	scratch_store_dwordx4 off, v[128:131], off
	s_add_i32 s41, s41, -1
	v_lshl_add_u64 v[162:163], v[162:163], 0, s[88:89]
	s_waitcnt lgkmcnt(0)
	v_max_f32_e32 v34, v34, v34
	v_max_f32_e32 v1, v1, v34
	ds_bpermute_b32 v34, v191, v1
	v_lshl_add_u64 v[164:165], v[164:165], 0, s[88:89]
	v_lshl_add_u64 v[166:167], v[166:167], 0, s[88:89]
	v_lshl_add_u64 v[168:169], v[168:169], 0, s[88:89]
	v_lshl_add_u64 v[170:171], v[170:171], 0, s[88:89]
	s_waitcnt lgkmcnt(0)
	v_max_f32_e32 v34, v34, v34
	v_max_f32_e32 v121, v1, v34
	v_sub_f32_e32 v1, v36, v121
	v_mul_f32_e32 v34, 0x3fb8aa3b, v1
	v_fma_f32 v35, v1, s5, -v34
	v_rndne_f32_e32 v36, v34
	v_fmac_f32_e32 v35, 0x32a5705f, v1
	v_sub_f32_e32 v34, v34, v36
	v_add_f32_e32 v34, v34, v35
	v_exp_f32_e32 v34, v34
	v_cvt_i32_f32_e32 v35, v36
	v_cmp_ngt_f32_e32 vcc, s34, v1
	v_lshl_add_u64 v[172:173], v[172:173], 0, s[88:89]
	v_lshl_add_u64 v[174:175], v[174:175], 0, s[88:89]
	v_ldexp_f32 v34, v34, v35
	v_cndmask_b32_e32 v34, 0, v34, vcc
	v_cmp_nlt_f32_e32 vcc, s81, v1
	v_lshl_add_u64 v[176:177], v[176:177], 0, s[88:89]
	v_lshl_add_u64 v[156:157], v[156:157], 0, s[2:3]
	v_cndmask_b32_e32 v1, v214, v34, vcc
	v_cndmask_b32_e64 v36, 0, v1, s[14:15]
	v_sub_f32_e32 v1, v37, v121
	v_mul_f32_e32 v34, 0x3fb8aa3b, v1
	v_fma_f32 v35, v1, s5, -v34
	v_rndne_f32_e32 v37, v34
	v_fmac_f32_e32 v35, 0x32a5705f, v1
	v_sub_f32_e32 v34, v34, v37
	v_add_f32_e32 v34, v34, v35
	v_exp_f32_e32 v34, v34
	v_cvt_i32_f32_e32 v35, v37
	v_cmp_ngt_f32_e32 vcc, s34, v1
	v_lshl_add_u64 v[158:159], v[158:159], 0, s[2:3]
	v_lshl_add_u64 v[182:183], v[182:183], 0, s[2:3]
	v_ldexp_f32 v34, v34, v35
	v_cndmask_b32_e32 v34, 0, v34, vcc
	v_cmp_nlt_f32_e32 vcc, s81, v1
	v_mov_b32_e32 v1, s91
	v_lshl_add_u64 v[184:185], v[184:185], 0, s[2:3]
	v_cndmask_b32_e32 v34, v214, v34, vcc
	v_add_f32_e32 v37, v34, v36
	v_cndmask_b32_e64 v35, v1, v34, s[16:17]
	v_sub_f32_e32 v34, v38, v121
	v_cndmask_b32_e64 v1, v36, v37, s[16:17]
	v_mul_f32_e32 v37, 0x3fb8aa3b, v34
	v_fma_f32 v38, v34, s5, -v37
	v_rndne_f32_e32 v40, v37
	v_fmac_f32_e32 v38, 0x32a5705f, v34
	v_sub_f32_e32 v37, v37, v40
	v_add_f32_e32 v37, v37, v38
	v_exp_f32_e32 v37, v37
	v_cvt_i32_f32_e32 v38, v40
	v_cmp_ngt_f32_e32 vcc, s34, v34
	v_cvt_pk_f16_f32 v188, v36, v35
	s_cmp_lg_u32 s41, 0
	v_ldexp_f32 v37, v37, v38
	v_cndmask_b32_e32 v37, 0, v37, vcc
	v_cmp_nlt_f32_e32 vcc, s81, v34
	v_mov_b32_e32 v34, s91
	s_nop 0
	v_cndmask_b32_e32 v37, v214, v37, vcc
	v_cndmask_b32_e64 v40, v34, v37, s[18:19]
	v_sub_f32_e32 v34, v39, v121
	v_add_f32_e32 v38, v1, v37
	v_mul_f32_e32 v37, 0x3fb8aa3b, v34
	v_cndmask_b32_e64 v1, v1, v38, s[18:19]
	v_fma_f32 v38, v34, s5, -v37
	v_rndne_f32_e32 v39, v37
	v_fmac_f32_e32 v38, 0x32a5705f, v34
	v_sub_f32_e32 v37, v37, v39
	v_add_f32_e32 v37, v37, v38
	v_exp_f32_e32 v37, v37
	v_cvt_i32_f32_e32 v38, v39
	v_cmp_ngt_f32_e32 vcc, s34, v34
	v_ldexp_f32 v37, v37, v38
	s_nop 0
	v_cndmask_b32_e32 v37, 0, v37, vcc
	v_cmp_nlt_f32_e32 vcc, s81, v34
	s_nop 1
	v_cndmask_b32_e32 v34, v214, v37, vcc
	v_mov_b32_e32 v37, s91
	v_add_f32_e32 v38, v1, v34
	v_cndmask_b32_e64 v57, v37, v34, s[20:21]
	v_sub_f32_e32 v34, v42, v121
	v_mul_f32_e32 v37, 0x3fb8aa3b, v34
	v_cndmask_b32_e64 v1, v1, v38, s[20:21]
	v_fma_f32 v38, v34, s5, -v37
	v_rndne_f32_e32 v39, v37
	v_fmac_f32_e32 v38, 0x32a5705f, v34
	v_sub_f32_e32 v37, v37, v39
	v_add_f32_e32 v37, v37, v38
	v_exp_f32_e32 v37, v37
	v_cvt_i32_f32_e32 v38, v39
	v_cmp_ngt_f32_e32 vcc, s34, v34
	v_cvt_pk_f16_f32 v189, v40, v57
	v_ldexp_f32 v37, v37, v38
	v_cndmask_b32_e32 v37, 0, v37, vcc
	v_cmp_nlt_f32_e32 vcc, s81, v34
	v_mov_b32_e32 v34, s91
	s_nop 0
	v_cndmask_b32_e32 v37, v214, v37, vcc
	v_add_f32_e32 v38, v37, v1
	v_cndmask_b32_e64 v34, v34, v37, s[22:23]
	v_cndmask_b32_e64 v37, v1, v38, s[22:23]
	v_sub_f32_e32 v1, v43, v121
	v_mul_f32_e32 v38, 0x3fb8aa3b, v1
	v_fma_f32 v39, v1, s5, -v38
	v_rndne_f32_e32 v42, v38
	v_fmac_f32_e32 v39, 0x32a5705f, v1
	v_sub_f32_e32 v38, v38, v42
	v_add_f32_e32 v38, v38, v39
	v_exp_f32_e32 v38, v38
	v_cvt_i32_f32_e32 v39, v42
	v_cmp_ngt_f32_e32 vcc, s34, v1
	v_ldexp_f32 v38, v38, v39
	s_nop 0
	v_cndmask_b32_e32 v38, 0, v38, vcc
	v_cmp_nlt_f32_e32 vcc, s81, v1
	v_mov_b32_e32 v1, s91
	s_nop 0
	v_cndmask_b32_e32 v38, v214, v38, vcc
	v_add_f32_e32 v39, v38, v37
	v_cndmask_b32_e64 v1, v1, v38, s[24:25]
	v_sub_f32_e32 v38, v44, v121
	v_cndmask_b32_e64 v37, v37, v39, s[24:25]
	v_mul_f32_e32 v39, 0x3fb8aa3b, v38
	v_fma_f32 v42, v38, s5, -v39
	v_rndne_f32_e32 v43, v39
	v_fmac_f32_e32 v42, 0x32a5705f, v38
	v_sub_f32_e32 v39, v39, v43
	v_add_f32_e32 v39, v39, v42
	v_exp_f32_e32 v39, v39
	v_cvt_i32_f32_e32 v42, v43
	v_cmp_ngt_f32_e32 vcc, s34, v38
	v_ldexp_f32 v39, v39, v42
	s_nop 0
	v_cndmask_b32_e32 v39, 0, v39, vcc
	v_cmp_nlt_f32_e32 vcc, s81, v38
	v_mov_b32_e32 v38, s91
	s_nop 0
	v_cndmask_b32_e32 v39, v214, v39, vcc
	v_add_f32_e32 v42, v39, v37
	v_cndmask_b32_e64 v38, v38, v39, s[26:27]
	v_cndmask_b32_e64 v39, v37, v42, s[26:27]
	v_sub_f32_e32 v37, v45, v121
	v_mul_f32_e32 v42, 0x3fb8aa3b, v37
	v_fma_f32 v43, v37, s5, -v42
	v_rndne_f32_e32 v44, v42
	v_fmac_f32_e32 v43, 0x32a5705f, v37
	v_sub_f32_e32 v42, v42, v44
	v_add_f32_e32 v42, v42, v43
	v_exp_f32_e32 v42, v42
	v_cvt_i32_f32_e32 v43, v44
	v_cmp_ngt_f32_e32 vcc, s34, v37
	v_ldexp_f32 v42, v42, v43
	s_nop 0
	v_cndmask_b32_e32 v42, 0, v42, vcc
	v_cmp_nlt_f32_e32 vcc, s81, v37
	v_mov_b32_e32 v37, s91
	s_nop 0
	v_cndmask_b32_e32 v42, v214, v42, vcc
	v_add_f32_e32 v43, v42, v39
	v_cndmask_b32_e64 v147, v39, v43, s[28:29]
	v_sub_f32_e32 v39, v60, v121
	v_cndmask_b32_e64 v37, v37, v42, s[28:29]
	v_mul_f32_e32 v42, 0x3fb8aa3b, v39
	v_fma_f32 v43, v39, s5, -v42
	v_rndne_f32_e32 v44, v42
	v_fmac_f32_e32 v43, 0x32a5705f, v39
	v_sub_f32_e32 v42, v42, v44
	v_add_f32_e32 v42, v42, v43
	v_exp_f32_e32 v42, v42
	v_cvt_i32_f32_e32 v43, v44
	v_cmp_ngt_f32_e32 vcc, s34, v39
	v_cvt_pk_f16_f32 v187, v38, v37
	v_ldexp_f32 v42, v42, v43
	v_cndmask_b32_e32 v42, 0, v42, vcc
	v_cmp_nlt_f32_e32 vcc, s81, v39
	s_nop 1
	v_cndmask_b32_e32 v42, v214, v42, vcc
	v_cmp_le_f32_e32 vcc, s35, v39
	s_nop 1
	v_cndmask_b32_e32 v39, 0, v42, vcc
	v_fmac_f32_e32 v147, v41, v39
	v_cvt_f16_f32_e32 v39, v39
	v_mul_u32_u24_e32 v42, 0x10001, v39
	v_pk_mul_f16 v64, v55, v42
	v_pk_mul_f16 v60, v53, v42
	;; [unrolled: 1-line block ×32, first 2 shown]
	v_lshl_add_u64 v[42:43], v[152:153], 0, v[118:119]
	v_mov_b32_e32 v56, s93
	v_cndmask_b32_e64 v45, v56, v43, s[52:53]
	v_cndmask_b32_e64 v44, v212, v42, s[52:53]
	flat_load_dwordx4 v[132:135], v[44:45]
	v_lshl_add_u64 v[42:43], v[154:155], 0, v[118:119]
	v_cndmask_b32_e64 v69, v56, v43, s[8:9]
	v_cndmask_b32_e64 v68, v212, v42, s[8:9]
	v_lshl_add_u64 v[42:43], v[178:179], 0, v[118:119]
	v_cndmask_b32_e64 v43, v56, v43, s[10:11]
	v_cndmask_b32_e64 v42, v212, v42, s[10:11]
	;; [unrolled: 3-line block ×3, first 2 shown]
	v_cvt_pk_f16_f32 v186, v34, v1
	v_lshl_add_u64 v[152:153], v[152:153], 0, s[30:31]
	v_lshl_add_u64 v[154:155], v[154:155], 0, s[30:31]
	;; [unrolled: 1-line block ×4, first 2 shown]
	s_waitcnt vmcnt(0) lgkmcnt(0)
	ds_write_b128 v201, v[132:135]
	flat_load_dwordx4 v[132:135], v[68:69]
	s_waitcnt vmcnt(0) lgkmcnt(0)
	ds_write_b128 v254, v[132:135]
	flat_load_dwordx4 v[42:45], v[42:43]
	v_cvt_f32_f16_e32 v132, v49
	v_cvt_f32_f16_sdwa v133, v49 dst_sel:DWORD dst_unused:UNUSED_PAD src0_sel:WORD_1
	v_cvt_f32_f16_e32 v134, v48
	v_cvt_f32_f16_sdwa v135, v48 dst_sel:DWORD dst_unused:UNUSED_PAD src0_sel:WORD_1
	s_waitcnt vmcnt(0) lgkmcnt(0)
	ds_write_b128 v248, v[42:45]
	flat_load_dwordx4 v[42:45], v[46:47]
	s_waitcnt vmcnt(0) lgkmcnt(0)
	ds_write_b128 v246, v[42:45]
	s_waitcnt lgkmcnt(0)
	s_barrier
	ds_read_u16 v46, v204 offset:528
	ds_read_u16 v47, v204 offset:1056
	v_cvt_f32_f16_e32 v44, v60
	v_cvt_f32_f16_sdwa v45, v60 dst_sel:DWORD dst_unused:UNUSED_PAD src0_sel:WORD_1
	ds_read_u16 v56, v205
	ds_read_u16 v60, v205 offset:32
	v_cvt_f32_f16_e32 v42, v64
	v_cvt_f32_f16_sdwa v43, v64 dst_sel:DWORD dst_unused:UNUSED_PAD src0_sel:WORD_1
	s_waitcnt lgkmcnt(1)
	v_perm_b32 v47, v56, v47, s92
	ds_read_u16 v56, v204
	ds_read_u16 v61, v204 offset:32
	s_waitcnt lgkmcnt(1)
	v_perm_b32 v46, v46, v56, s92
	s_nop 1
	v_mfma_f32_16x16x16_f16 v[42:45], v[46:47], v[188:189], v[42:45]
	ds_read_u16 v46, v204 offset:16896
	ds_read_u16 v56, v204 offset:17424
	;; [unrolled: 1-line block ×6, first 2 shown]
	s_nop 1
	v_cvt_f16_f32_e32 v35, v42
	v_cvt_f16_f32_e32 v36, v43
	;; [unrolled: 1-line block ×4, first 2 shown]
	s_waitcnt lgkmcnt(2)
	v_perm_b32 v47, v57, v47, s92
	v_perm_b32 v46, v56, v46, s92
	v_cvt_f32_f16_e32 v42, v35
	v_cvt_f32_f16_e32 v43, v36
	;; [unrolled: 1-line block ×5, first 2 shown]
	v_cvt_f32_f16_sdwa v41, v41 dst_sel:DWORD dst_unused:UNUSED_PAD src0_sel:WORD_1
	v_mfma_f32_16x16x16_f16 v[34:37], v[46:47], v[186:187], v[42:45]
	s_nop 2
	v_cvt_f32_f16_e32 v42, v39
	v_cvt_f32_f16_sdwa v43, v39 dst_sel:DWORD dst_unused:UNUSED_PAD src0_sel:WORD_1
	s_waitcnt lgkmcnt(0)
	v_perm_b32 v39, v60, v38, s92
	v_perm_b32 v38, v1, v61, s92
	s_nop 1
	v_mfma_f32_16x16x16_f16 v[38:41], v[38:39], v[188:189], v[40:43]
	s_nop 2
	ds_read_u16 v42, v204 offset:16928
	ds_read_u16 v44, v204 offset:17456
	;; [unrolled: 1-line block ×4, first 2 shown]
	s_nop 0
	v_cvt_f16_f32_e32 v1, v38
	v_cvt_f16_f32_e32 v39, v39
	;; [unrolled: 1-line block ×4, first 2 shown]
	v_cvt_f32_f16_e32 v38, v1
	ds_read_u16 v1, v204 offset:64
	ds_read_u16 v46, v204 offset:592
	;; [unrolled: 1-line block ×4, first 2 shown]
	s_waitcnt lgkmcnt(4)
	v_perm_b32 v43, v45, v43, s92
	v_perm_b32 v42, v44, v42, s92
	v_cvt_f32_f16_e32 v39, v39
	v_cvt_f32_f16_e32 v40, v40
	;; [unrolled: 1-line block ×3, first 2 shown]
	s_waitcnt lgkmcnt(0)
	v_perm_b32 v47, v56, v47, s92
	v_perm_b32 v46, v46, v1, s92
	v_mfma_f32_16x16x16_f16 v[38:41], v[42:43], v[186:187], v[38:41]
	v_cvt_f32_f16_e32 v42, v53
	v_cvt_f32_f16_sdwa v43, v53 dst_sel:DWORD dst_unused:UNUSED_PAD src0_sel:WORD_1
	v_cvt_f32_f16_e32 v44, v52
	v_cvt_f32_f16_sdwa v45, v52 dst_sel:DWORD dst_unused:UNUSED_PAD src0_sel:WORD_1
	s_nop 1
	v_mfma_f32_16x16x16_f16 v[42:45], v[46:47], v[188:189], v[42:45]
	ds_read_u16 v46, v204 offset:16960
	ds_read_u16 v52, v204 offset:17488
	;; [unrolled: 1-line block ×4, first 2 shown]
	s_nop 3
	v_cvt_f16_f32_e32 v1, v42
	v_cvt_f16_f32_e32 v43, v43
	;; [unrolled: 1-line block ×4, first 2 shown]
	s_waitcnt lgkmcnt(0)
	v_perm_b32 v47, v53, v47, s92
	v_perm_b32 v46, v52, v46, s92
	v_cvt_f32_f16_e32 v42, v1
	v_cvt_f32_f16_e32 v43, v43
	v_cvt_f32_f16_e32 v44, v44
	v_cvt_f32_f16_e32 v45, v45
	s_nop 1
	v_mfma_f32_16x16x16_f16 v[42:45], v[46:47], v[186:187], v[42:45]
	ds_read_u16 v1, v204 offset:96
	ds_read_u16 v46, v204 offset:624
	;; [unrolled: 1-line block ×4, first 2 shown]
	s_waitcnt lgkmcnt(2)
	v_perm_b32 v46, v46, v1, s92
	s_waitcnt lgkmcnt(0)
	v_perm_b32 v47, v52, v47, s92
	ds_read_u16 v52, v204 offset:16992
	ds_read_u16 v56, v204 offset:17520
	;; [unrolled: 1-line block ×4, first 2 shown]
	v_mfma_f32_16x16x16_f16 v[46:49], v[46:47], v[188:189], v[132:135]
	s_waitcnt lgkmcnt(0)
	v_perm_b32 v53, v57, v53, s92
	v_perm_b32 v52, v56, v52, s92
	v_cvt_f32_f16_e32 v132, v51
	s_nop 3
	v_cvt_f16_f32_e32 v1, v46
	v_cvt_f16_f32_e32 v47, v47
	;; [unrolled: 1-line block ×4, first 2 shown]
	v_cvt_f32_f16_e32 v46, v1
	v_cvt_f32_f16_e32 v47, v47
	;; [unrolled: 1-line block ×4, first 2 shown]
	v_cvt_f32_f16_sdwa v133, v51 dst_sel:DWORD dst_unused:UNUSED_PAD src0_sel:WORD_1
	v_cvt_f32_f16_e32 v134, v50
	v_mfma_f32_16x16x16_f16 v[46:49], v[52:53], v[186:187], v[46:49]
	ds_read_u16 v1, v204 offset:128
	ds_read_u16 v52, v204 offset:656
	;; [unrolled: 1-line block ×4, first 2 shown]
	v_cvt_f32_f16_sdwa v135, v50 dst_sel:DWORD dst_unused:UNUSED_PAD src0_sel:WORD_1
	s_waitcnt lgkmcnt(2)
	v_perm_b32 v50, v52, v1, s92
	s_nop 0
	v_cvt_pk_f16_f32 v47, v46, v47
	s_waitcnt lgkmcnt(0)
	v_perm_b32 v51, v56, v53, s92
	ds_read_u16 v56, v204 offset:17024
	ds_read_u16 v60, v204 offset:17552
	;; [unrolled: 1-line block ×4, first 2 shown]
	v_mfma_f32_16x16x16_f16 v[50:53], v[50:51], v[188:189], v[132:135]
	s_waitcnt lgkmcnt(0)
	v_perm_b32 v57, v61, v57, s92
	v_perm_b32 v56, v60, v56, s92
	v_cvt_f32_f16_e32 v132, v55
	s_nop 3
	v_cvt_f16_f32_e32 v1, v50
	v_cvt_f16_f32_e32 v51, v51
	;; [unrolled: 1-line block ×4, first 2 shown]
	v_cvt_f32_f16_e32 v50, v1
	v_cvt_f32_f16_e32 v51, v51
	;; [unrolled: 1-line block ×4, first 2 shown]
	v_cvt_f32_f16_sdwa v133, v55 dst_sel:DWORD dst_unused:UNUSED_PAD src0_sel:WORD_1
	v_cvt_f32_f16_e32 v134, v54
	v_mfma_f32_16x16x16_f16 v[50:53], v[56:57], v[186:187], v[50:53]
	ds_read_u16 v1, v204 offset:160
	ds_read_u16 v56, v204 offset:688
	;; [unrolled: 1-line block ×4, first 2 shown]
	v_cvt_f32_f16_sdwa v135, v54 dst_sel:DWORD dst_unused:UNUSED_PAD src0_sel:WORD_1
	v_cvt_pk_f16_f32 v46, v48, v49
	s_waitcnt lgkmcnt(2)
	v_perm_b32 v54, v56, v1, s92
	v_cvt_pk_f16_f32 v49, v44, v45
	s_waitcnt lgkmcnt(0)
	v_perm_b32 v55, v60, v57, s92
	ds_read_u16 v60, v204 offset:17056
	ds_read_u16 v64, v204 offset:17584
	ds_read_u16 v61, v204 offset:18112
	ds_read_u16 v65, v205 offset:17056
	v_mfma_f32_16x16x16_f16 v[54:57], v[54:55], v[188:189], v[132:135]
	s_waitcnt lgkmcnt(0)
	v_perm_b32 v61, v65, v61, s92
	v_perm_b32 v60, v64, v60, s92
	v_cvt_f32_f16_e32 v132, v59
	s_nop 3
	v_cvt_f16_f32_e32 v1, v54
	v_cvt_f16_f32_e32 v55, v55
	;; [unrolled: 1-line block ×4, first 2 shown]
	v_cvt_f32_f16_e32 v54, v1
	v_cvt_f32_f16_e32 v55, v55
	;; [unrolled: 1-line block ×4, first 2 shown]
	v_cvt_f32_f16_sdwa v133, v59 dst_sel:DWORD dst_unused:UNUSED_PAD src0_sel:WORD_1
	v_cvt_f32_f16_e32 v134, v58
	v_mfma_f32_16x16x16_f16 v[54:57], v[60:61], v[186:187], v[54:57]
	ds_read_u16 v1, v204 offset:192
	ds_read_u16 v60, v204 offset:720
	;; [unrolled: 1-line block ×4, first 2 shown]
	v_cvt_f32_f16_sdwa v135, v58 dst_sel:DWORD dst_unused:UNUSED_PAD src0_sel:WORD_1
	v_cvt_pk_f16_f32 v48, v40, v41
	s_waitcnt lgkmcnt(2)
	v_perm_b32 v58, v60, v1, s92
	s_waitcnt lgkmcnt(0)
	v_perm_b32 v59, v64, v61, s92
	ds_read_u16 v64, v204 offset:17088
	ds_read_u16 v68, v204 offset:17616
	ds_read_u16 v65, v204 offset:18144
	ds_read_u16 v69, v205 offset:17088
	v_mfma_f32_16x16x16_f16 v[58:61], v[58:59], v[188:189], v[132:135]
	s_waitcnt lgkmcnt(0)
	v_perm_b32 v65, v69, v65, s92
	v_perm_b32 v64, v68, v64, s92
	v_cvt_f32_f16_e32 v132, v63
	s_nop 3
	v_cvt_f16_f32_e32 v1, v58
	v_cvt_f16_f32_e32 v59, v59
	;; [unrolled: 1-line block ×4, first 2 shown]
	v_cvt_f32_f16_e32 v58, v1
	v_cvt_f32_f16_e32 v59, v59
	;; [unrolled: 1-line block ×4, first 2 shown]
	v_cvt_f32_f16_sdwa v133, v63 dst_sel:DWORD dst_unused:UNUSED_PAD src0_sel:WORD_1
	v_cvt_f32_f16_e32 v134, v62
	v_mfma_f32_16x16x16_f16 v[58:61], v[64:65], v[186:187], v[58:61]
	ds_read_u16 v1, v204 offset:224
	ds_read_u16 v64, v204 offset:752
	;; [unrolled: 1-line block ×4, first 2 shown]
	v_cvt_f32_f16_sdwa v135, v62 dst_sel:DWORD dst_unused:UNUSED_PAD src0_sel:WORD_1
	s_waitcnt lgkmcnt(2)
	v_perm_b32 v62, v64, v1, s92
	s_nop 0
	v_cvt_pk_f16_f32 v59, v58, v59
	s_waitcnt lgkmcnt(0)
	v_perm_b32 v63, v68, v65, s92
	v_cvt_pk_f16_f32 v58, v60, v61
	v_cvt_pk_f16_f32 v61, v54, v55
	v_mfma_f32_16x16x16_f16 v[62:65], v[62:63], v[188:189], v[132:135]
	v_cvt_pk_f16_f32 v54, v56, v57
	v_cvt_pk_f16_f32 v56, v50, v51
	v_cvt_pk_f16_f32 v50, v52, v53
	s_nop 4
	v_cvt_f16_f32_e32 v1, v62
	v_cvt_f16_f32_e32 v62, v63
	;; [unrolled: 1-line block ×4, first 2 shown]
	ds_read_u16 v65, v204 offset:17120
	ds_read_u16 v68, v204 offset:17648
	;; [unrolled: 1-line block ×4, first 2 shown]
	v_cvt_f32_f16_e32 v132, v1
	v_cvt_f32_f16_e32 v133, v62
	;; [unrolled: 1-line block ×3, first 2 shown]
	s_waitcnt lgkmcnt(2)
	v_perm_b32 v62, v68, v65, s92
	s_waitcnt lgkmcnt(0)
	v_perm_b32 v63, v72, v69, s92
	ds_read_u16 v1, v204 offset:256
	ds_read_u16 v68, v204 offset:784
	;; [unrolled: 1-line block ×4, first 2 shown]
	v_cvt_f32_f16_e32 v135, v64
	v_cvt_pk_f16_f32 v51, v42, v43
	v_cvt_pk_f16_f32 v52, v38, v39
	v_mfma_f32_16x16x16_f16 v[62:65], v[62:63], v[186:187], v[132:135]
	v_cvt_pk_f16_f32 v55, v34, v35
	v_cvt_pk_f16_f32 v53, v36, v37
	s_nop 0
	v_cvt_f32_f16_e32 v132, v67
	v_cvt_f32_f16_sdwa v133, v67 dst_sel:DWORD dst_unused:UNUSED_PAD src0_sel:WORD_1
	v_cvt_f32_f16_e32 v134, v66
	v_cvt_f32_f16_sdwa v135, v66 dst_sel:DWORD dst_unused:UNUSED_PAD src0_sel:WORD_1
	s_waitcnt lgkmcnt(0)
	v_perm_b32 v67, v72, v69, s92
	v_perm_b32 v66, v68, v1, s92
	ds_read_u16 v72, v204 offset:17152
	ds_read_u16 v76, v204 offset:17680
	ds_read_u16 v73, v204 offset:18208
	ds_read_u16 v77, v205 offset:17152
	v_mfma_f32_16x16x16_f16 v[66:69], v[66:67], v[188:189], v[132:135]
	s_waitcnt lgkmcnt(0)
	v_perm_b32 v73, v77, v73, s92
	v_perm_b32 v72, v76, v72, s92
	v_cvt_f32_f16_e32 v132, v71
	s_nop 3
	v_cvt_f16_f32_e32 v1, v66
	v_cvt_f16_f32_e32 v67, v67
	v_cvt_f16_f32_e32 v68, v68
	v_cvt_f16_f32_e32 v69, v69
	v_cvt_f32_f16_e32 v66, v1
	v_cvt_f32_f16_e32 v67, v67
	v_cvt_f32_f16_e32 v68, v68
	v_cvt_f32_f16_e32 v69, v69
	v_cvt_f32_f16_sdwa v133, v71 dst_sel:DWORD dst_unused:UNUSED_PAD src0_sel:WORD_1
	v_cvt_f32_f16_e32 v134, v70
	v_mfma_f32_16x16x16_f16 v[66:69], v[72:73], v[186:187], v[66:69]
	ds_read_u16 v1, v204 offset:288
	ds_read_u16 v72, v204 offset:816
	ds_read_u16 v73, v204 offset:1344
	ds_read_u16 v76, v205 offset:288
	v_cvt_f32_f16_sdwa v135, v70 dst_sel:DWORD dst_unused:UNUSED_PAD src0_sel:WORD_1
	v_cvt_pk_f16_f32 v63, v62, v63
	s_waitcnt lgkmcnt(2)
	v_perm_b32 v70, v72, v1, s92
	v_cvt_pk_f16_f32 v67, v66, v67
	s_waitcnt lgkmcnt(0)
	v_perm_b32 v71, v76, v73, s92
	ds_read_u16 v76, v204 offset:17184
	ds_read_u16 v80, v204 offset:17712
	ds_read_u16 v77, v204 offset:18240
	ds_read_u16 v81, v205 offset:17184
	v_mfma_f32_16x16x16_f16 v[70:73], v[70:71], v[188:189], v[132:135]
	s_waitcnt lgkmcnt(0)
	v_perm_b32 v77, v81, v77, s92
	v_perm_b32 v76, v80, v76, s92
	v_cvt_f32_f16_e32 v132, v75
	s_nop 3
	v_cvt_f16_f32_e32 v1, v70
	v_cvt_f16_f32_e32 v71, v71
	v_cvt_f16_f32_e32 v72, v72
	v_cvt_f16_f32_e32 v73, v73
	v_cvt_f32_f16_e32 v70, v1
	v_cvt_f32_f16_e32 v71, v71
	v_cvt_f32_f16_e32 v72, v72
	v_cvt_f32_f16_e32 v73, v73
	v_cvt_f32_f16_sdwa v133, v75 dst_sel:DWORD dst_unused:UNUSED_PAD src0_sel:WORD_1
	v_cvt_f32_f16_e32 v134, v74
	v_mfma_f32_16x16x16_f16 v[70:73], v[76:77], v[186:187], v[70:73]
	ds_read_u16 v1, v204 offset:320
	ds_read_u16 v76, v204 offset:848
	ds_read_u16 v77, v204 offset:1376
	ds_read_u16 v80, v205 offset:320
	v_cvt_f32_f16_sdwa v135, v74 dst_sel:DWORD dst_unused:UNUSED_PAD src0_sel:WORD_1
	v_cvt_pk_f16_f32 v66, v68, v69
	s_waitcnt lgkmcnt(2)
	v_perm_b32 v74, v76, v1, s92
	v_cvt_pk_f16_f32 v71, v70, v71
	s_waitcnt lgkmcnt(0)
	;; [unrolled: 32-line block ×6, first 2 shown]
	v_perm_b32 v91, v126, v93, s92
	v_cvt_pk_f16_f32 v86, v88, v89
	v_cvt_pk_f16_f32 v62, v64, v65
	v_mfma_f32_16x16x16_f16 v[90:93], v[90:91], v[188:189], v[132:135]
	ds_read_u16 v126, v204 offset:17344
	s_nop 1
	ds_read_u16 v132, v204 offset:17872
	ds_read_u16 v127, v204 offset:18400
	;; [unrolled: 1-line block ×3, first 2 shown]
	v_cvt_f32_f16_e32 v134, v124
	v_cvt_f32_f16_sdwa v135, v124 dst_sel:DWORD dst_unused:UNUSED_PAD src0_sel:WORD_1
	v_cvt_f16_f32_e32 v1, v90
	v_cvt_f16_f32_e32 v91, v91
	;; [unrolled: 1-line block ×4, first 2 shown]
	s_waitcnt lgkmcnt(0)
	v_perm_b32 v127, v133, v127, s92
	v_perm_b32 v126, v132, v126, s92
	v_cvt_f32_f16_e32 v90, v1
	v_cvt_f32_f16_e32 v91, v91
	;; [unrolled: 1-line block ×5, first 2 shown]
	v_cvt_f32_f16_sdwa v133, v125 dst_sel:DWORD dst_unused:UNUSED_PAD src0_sel:WORD_1
	v_mfma_f32_16x16x16_f16 v[90:93], v[126:127], v[186:187], v[90:93]
	ds_read_u16 v1, v204 offset:480
	ds_read_u16 v126, v204 offset:1008
	;; [unrolled: 1-line block ×4, first 2 shown]
	s_waitcnt lgkmcnt(2)
	v_perm_b32 v124, v126, v1, s92
	s_nop 1
	v_cvt_pk_f16_f32 v91, v90, v91
	s_waitcnt lgkmcnt(0)
	v_perm_b32 v125, v136, v127, s92
	v_cvt_pk_f16_f32 v90, v92, v93
	s_nop 0
	v_mfma_f32_16x16x16_f16 v[132:135], v[124:125], v[188:189], v[132:135]
	ds_read_u16 v1, v204 offset:17376
	ds_read_u16 v124, v204 offset:17904
	ds_read_u16 v127, v204 offset:18432
	ds_read_u16 v136, v205 offset:17376
	s_waitcnt lgkmcnt(0)
	s_barrier
	s_nop 1
	v_cvt_f16_f32_e32 v125, v132
	v_cvt_f16_f32_e32 v188, v133
	v_cvt_f16_f32_e32 v189, v134
	v_cvt_f16_f32_e32 v126, v135
	v_cvt_f32_f16_e32 v132, v125
	v_perm_b32 v125, v136, v127, s92
	v_perm_b32 v124, v124, v1, s92
	v_cvt_f32_f16_e32 v133, v188
	v_cvt_f32_f16_e32 v134, v189
	v_cvt_f32_f16_e32 v135, v126
	s_nop 1
	v_mfma_f32_16x16x16_f16 v[124:127], v[124:125], v[186:187], v[132:135]
	s_nop 7
	v_cvt_pk_f16_f32 v124, v124, v125
	v_cvt_pk_f16_f32 v186, v126, v127
	s_cbranch_scc0 .LBB29_293
; %bb.291:                              ;   in Loop: Header=BB29_288 Depth=2
	v_mov_b32_e32 v41, v147
	v_mov_b32_e32 v60, v121
	v_cndmask_b32_e64 v1, 0, 1, s[36:37]
	v_cmp_ne_u32_e64 s[38:39], 1, v1
	s_andn2_b64 vcc, exec, s[36:37]
	s_cbranch_vccz .LBB29_283
	s_branch .LBB29_288
.LBB29_292:                             ;   in Loop: Header=BB29_14 Depth=1
	v_mov_b32_e32 v121, 0xfeffffff
	s_mov_b32 s90, 0
	v_mov_b32_e32 v147, 0
	v_mov_b32_e32 v53, 0
	;; [unrolled: 1-line block ×33, first 2 shown]
	s_branch .LBB29_294
.LBB29_293:                             ;   in Loop: Header=BB29_14 Depth=1
	s_lshl_b32 s90, s40, 6
.LBB29_294:                             ;   in Loop: Header=BB29_14 Depth=1
	v_readlane_b32 s6, v255, 3
	v_cmp_eq_u64_e32 vcc, 0, v[148:149]
	s_sub_i32 s60, s6, s90
	v_cmp_ne_u64_e64 s[44:45], 0, v[148:149]
	v_readlane_b32 s7, v255, 4
	s_cbranch_vccnz .LBB29_304
; %bb.295:                              ;   in Loop: Header=BB29_14 Depth=1
	v_cmp_le_i32_e32 vcc, s60, v94
	v_add_u32_e32 v1, v251, v252
	s_and_saveexec_b64 s[6:7], vcc
	s_xor_b64 s[6:7], exec, s[6:7]
	s_cbranch_execz .LBB29_297
; %bb.296:                              ;   in Loop: Header=BB29_14 Depth=1
	ds_write_b16 v1, v97 offset:33792
	ds_write_b16 v1, v97 offset:34944
                                        ; implicit-def: $vgpr238
                                        ; implicit-def: $vgpr210
                                        ; implicit-def: $vgpr237
                                        ; implicit-def: $vgpr190
.LBB29_297:                             ;   in Loop: Header=BB29_14 Depth=1
	s_or_saveexec_b64 s[6:7], s[6:7]
	s_lshl_b64 s[36:37], s[90:91], 1
	v_lshl_add_u64 v[34:35], v[148:149], 0, s[36:37]
	v_lshlrev_b32_e32 v96, 1, v94
	v_lshl_add_u64 v[34:35], v[34:35], 0, v[96:97]
	v_mov_b32_e32 v36, 0
	v_mov_b32_e32 v37, 0
	s_xor_b64 exec, exec, s[6:7]
	s_cbranch_execz .LBB29_299
; %bb.298:                              ;   in Loop: Header=BB29_14 Depth=1
	v_mul_hi_u32 v36, s96, v238
	v_add_u32_e32 v36, v238, v36
	v_lshrrev_b32_e32 v36, s97, v36
	v_mul_lo_u32 v36, v36, s80
	v_sub_u32_e32 v36, v238, v36
	v_mad_i64_i32 v[36:37], s[36:37], v36, s98, 0
	v_lshl_add_u64 v[36:37], v[36:37], 1, v[34:35]
	global_load_ushort v38, v[36:37], off
	v_mul_hi_u32 v36, s96, v210
	v_add_u32_e32 v36, v210, v36
	v_lshrrev_b32_e32 v36, s97, v36
	v_mul_lo_u32 v36, v36, s80
	v_sub_u32_e32 v36, v210, v36
	v_mad_i64_i32 v[36:37], s[36:37], v36, s98, 0
	v_lshl_add_u64 v[36:37], v[36:37], 1, v[34:35]
	global_load_ushort v36, v[36:37], off
	s_waitcnt vmcnt(1)
	ds_write_b16 v1, v38 offset:33792
	s_waitcnt vmcnt(0)
	ds_write_b16 v1, v36 offset:34944
	v_mul_hi_u32 v36, s96, v237
	v_add_u32_e32 v36, v237, v36
	v_lshrrev_b32_e32 v36, s97, v36
	v_mul_lo_u32 v36, v36, s80
	v_sub_u32_e32 v36, v237, v36
	v_mad_i64_i32 v[36:37], s[36:37], v36, s98, 0
	v_lshl_add_u64 v[36:37], v[36:37], 1, v[34:35]
	global_load_ushort v36, v[36:37], off
	v_mul_hi_u32 v37, s96, v190
	v_add_u32_e32 v37, v190, v37
	v_lshrrev_b32_e32 v37, s97, v37
	v_mul_lo_u32 v37, v37, s80
	v_sub_u32_e32 v37, v190, v37
	v_mad_i64_i32 v[38:39], s[36:37], v37, s98, 0
	v_lshl_add_u64 v[38:39], v[38:39], 1, v[34:35]
	global_load_ushort v37, v[38:39], off
.LBB29_299:                             ;   in Loop: Header=BB29_14 Depth=1
	s_or_b64 exec, exec, s[6:7]
	s_waitcnt vmcnt(1)
	ds_write_b16 v1, v36 offset:36096
	s_waitcnt vmcnt(0)
	ds_write_b16 v1, v37 offset:37248
	s_and_saveexec_b64 s[6:7], vcc
	s_xor_b64 s[6:7], exec, s[6:7]
	s_cbranch_execz .LBB29_301
; %bb.300:                              ;   in Loop: Header=BB29_14 Depth=1
	ds_write_b16 v1, v97 offset:38400
	ds_write_b16 v1, v97 offset:39552
                                        ; implicit-def: $vgpr197
                                        ; implicit-def: $vgpr34_vgpr35
                                        ; implicit-def: $vgpr236
                                        ; implicit-def: $vgpr209
                                        ; implicit-def: $vgpr120
.LBB29_301:                             ;   in Loop: Header=BB29_14 Depth=1
	s_or_saveexec_b64 s[6:7], s[6:7]
	v_mov_b32_e32 v36, 0
	v_mov_b32_e32 v37, 0
	s_xor_b64 exec, exec, s[6:7]
	s_cbranch_execz .LBB29_303
; %bb.302:                              ;   in Loop: Header=BB29_14 Depth=1
	v_mul_hi_u32 v36, s96, v197
	v_add_u32_e32 v36, v197, v36
	v_lshrrev_b32_e32 v36, s97, v36
	v_mul_lo_u32 v36, v36, s80
	v_sub_u32_e32 v36, v197, v36
	v_mad_i64_i32 v[36:37], s[36:37], v36, s98, 0
	v_lshl_add_u64 v[36:37], v[36:37], 1, v[34:35]
	global_load_ushort v38, v[36:37], off
	v_mul_hi_u32 v36, s96, v236
	v_add_u32_e32 v36, v236, v36
	v_lshrrev_b32_e32 v36, s97, v36
	v_mul_lo_u32 v36, v36, s80
	v_sub_u32_e32 v36, v236, v36
	v_mad_i64_i32 v[36:37], s[36:37], v36, s98, 0
	v_lshl_add_u64 v[36:37], v[36:37], 1, v[34:35]
	global_load_ushort v36, v[36:37], off
	s_waitcnt vmcnt(1)
	ds_write_b16 v1, v38 offset:38400
	s_waitcnt vmcnt(0)
	ds_write_b16 v1, v36 offset:39552
	v_mul_hi_u32 v36, s96, v209
	v_add_u32_e32 v36, v209, v36
	v_lshrrev_b32_e32 v36, s97, v36
	v_mul_lo_u32 v36, v36, s80
	v_sub_u32_e32 v36, v209, v36
	v_mad_i64_i32 v[36:37], s[36:37], v36, s98, 0
	v_lshl_add_u64 v[36:37], v[36:37], 1, v[34:35]
	global_load_ushort v36, v[36:37], off
	v_mul_hi_u32 v37, s96, v120
	v_add_u32_e32 v37, v120, v37
	v_lshrrev_b32_e32 v37, s97, v37
	v_mul_lo_u32 v37, v37, s80
	v_sub_u32_e32 v37, v120, v37
	v_mad_i64_i32 v[38:39], s[36:37], v37, s98, 0
	v_lshl_add_u64 v[34:35], v[38:39], 1, v[34:35]
	global_load_ushort v37, v[34:35], off
.LBB29_303:                             ;   in Loop: Header=BB29_14 Depth=1
	s_or_b64 exec, exec, s[6:7]
	s_waitcnt vmcnt(1)
	ds_write_b16 v1, v36 offset:40704
	s_waitcnt vmcnt(0)
	ds_write_b16 v1, v37 offset:41856
.LBB29_304:                             ;   in Loop: Header=BB29_14 Depth=1
	s_mul_i32 s6, s90, s95
	s_mul_hi_u32 s7, s90, s94
	s_add_i32 s7, s7, s6
	s_mul_i32 s6, s90, s94
	s_lshl_b64 s[6:7], s[6:7], 2
	v_lshl_add_u64 v[34:35], v[150:151], 0, s[6:7]
	v_lshl_add_u64 v[36:37], v[100:101], 2, v[34:35]
	v_lshlrev_b32_e32 v96, 2, v98
	v_cmp_gt_i32_e64 s[36:37], s60, v200
	v_lshl_add_u64 v[36:37], v[36:37], 0, v[96:97]
	v_mov_b32_e32 v1, s93
	v_lshl_add_u64 v[38:39], v[102:103], 2, v[34:35]
	v_lshl_add_u64 v[40:41], v[104:105], 2, v[34:35]
	;; [unrolled: 1-line block ×3, first 2 shown]
	v_cndmask_b32_e64 v37, v1, v37, s[36:37]
	v_cndmask_b32_e64 v36, v212, v36, s[36:37]
	v_cmp_gt_i32_e64 s[42:43], s60, v247
	v_lshl_add_u64 v[34:35], v[34:35], 0, v[96:97]
	scratch_store_dwordx4 off, v[128:131], off
	v_cndmask_b32_e64 v43, v1, v35, s[42:43]
	v_cndmask_b32_e64 v42, v212, v34, s[42:43]
	flat_load_dwordx4 v[34:37], v[36:37]
	v_cmp_gt_i32_e64 s[38:39], s60, v253
	v_lshl_add_u64 v[38:39], v[38:39], 0, v[96:97]
	v_cmp_gt_i32_e64 s[40:41], s60, v219
	v_cndmask_b32_e64 v39, v1, v39, s[38:39]
	v_cndmask_b32_e64 v38, v212, v38, s[38:39]
	v_lshl_add_u64 v[40:41], v[40:41], 0, v[96:97]
	v_cndmask_b32_e64 v41, v1, v41, s[40:41]
	v_cndmask_b32_e64 v40, v212, v40, s[40:41]
	v_add_u32_e32 v1, 0x4000, v202
	s_andn2_b64 vcc, exec, s[44:45]
	s_waitcnt vmcnt(0) lgkmcnt(0)
	ds_write_b128 v201, v[34:37]
	flat_load_dwordx4 v[34:37], v[38:39]
	s_waitcnt vmcnt(0) lgkmcnt(0)
	ds_write_b128 v254, v[34:37]
	flat_load_dwordx4 v[34:37], v[40:41]
	;; [unrolled: 3-line block ×3, first 2 shown]
	s_waitcnt vmcnt(0) lgkmcnt(0)
	ds_write_b128 v246, v[34:37]
	s_waitcnt lgkmcnt(0)
	s_barrier
	ds_read2_b64 v[34:37], v202 offset1:4
	s_waitcnt lgkmcnt(0)
	v_mfma_f32_16x16x16_f16 v[38:41], v[34:35], v[30:31], 0
	v_mfma_f32_16x16x16_f16 v[34:37], v[36:37], v[32:33], v[38:41]
	s_nop 6
	ds_read2_b64 v[38:41], v202 offset0:8 offset1:12
	s_waitcnt lgkmcnt(0)
	v_mfma_f32_16x16x16_f16 v[34:37], v[38:39], v[26:27], v[34:37]
	v_mfma_f32_16x16x16_f16 v[34:37], v[40:41], v[28:29], v[34:37]
	ds_read2_b64 v[38:41], v202 offset0:16 offset1:20
	s_waitcnt lgkmcnt(0)
	v_mfma_f32_16x16x16_f16 v[34:37], v[38:39], v[22:23], v[34:37]
	v_mfma_f32_16x16x16_f16 v[34:37], v[40:41], v[24:25], v[34:37]
	;; [unrolled: 4-line block ×9, first 2 shown]
	s_nop 6
	ds_read2_b64 v[30:33], v1 offset0:80 offset1:84
	s_waitcnt lgkmcnt(0)
	v_mfma_f32_16x16x16_f16 v[26:29], v[30:31], v[22:23], v[26:29]
	v_mfma_f32_16x16x16_f16 v[22:25], v[32:33], v[24:25], v[26:29]
	s_nop 6
	ds_read2_b64 v[26:29], v1 offset0:88 offset1:92
	s_waitcnt lgkmcnt(0)
	v_mfma_f32_16x16x16_f16 v[22:25], v[26:27], v[18:19], v[22:25]
	v_mfma_f32_16x16x16_f16 v[18:21], v[28:29], v[20:21], v[22:25]
	;; [unrolled: 5-line block ×5, first 2 shown]
	s_nop 6
	ds_read2_b64 v[10:13], v1 offset0:120 offset1:124
	s_waitcnt lgkmcnt(0)
	v_mfma_f32_16x16x16_f16 v[6:9], v[10:11], v[2:3], v[6:9]
	s_barrier
	v_mfma_f32_16x16x16_f16 v[6:9], v[12:13], v[4:5], v[6:9]
	s_cbranch_vccnz .LBB29_306
; %bb.305:                              ;   in Loop: Header=BB29_14 Depth=1
	v_add_u32_e32 v1, 0x8400, v226
	ds_read2_b32 v[2:3], v1 offset1:1
	ds_read_b32 v1, v228 offset:33792
	s_waitcnt lgkmcnt(1)
	v_cvt_f32_f16_e32 v4, v2
	v_cvt_f32_f16_sdwa v5, v2 dst_sel:DWORD dst_unused:UNUSED_PAD src0_sel:WORD_1
	v_cvt_f32_f16_e32 v2, v3
	v_cvt_f32_f16_sdwa v3, v3 dst_sel:DWORD dst_unused:UNUSED_PAD src0_sel:WORD_1
	v_pk_fma_f32 v[34:35], v[146:147], v[4:5], v[34:35] op_sel_hi:[0,1,1]
	v_pk_fma_f32 v[36:37], v[146:147], v[2:3], v[36:37] op_sel_hi:[0,1,1]
	s_waitcnt lgkmcnt(0)
	v_cvt_f32_f16_sdwa v3, v1 dst_sel:DWORD dst_unused:UNUSED_PAD src0_sel:WORD_1
	v_cvt_f32_f16_e32 v2, v1
	ds_read_b32 v1, v230 offset:33792
	v_pk_fma_f32 v[6:7], v[146:147], v[2:3], v[6:7] op_sel_hi:[0,1,1]
	s_waitcnt lgkmcnt(0)
	v_cvt_f32_f16_sdwa v5, v1 dst_sel:DWORD dst_unused:UNUSED_PAD src0_sel:WORD_1
	v_cvt_f32_f16_e32 v4, v1
	v_pk_fma_f32 v[8:9], v[146:147], v[4:5], v[8:9] op_sel_hi:[0,1,1]
.LBB29_306:                             ;   in Loop: Header=BB29_14 Depth=1
	v_add_f32_e32 v1, 0x40051340, v34
	v_max_f32_e32 v2, v121, v121
	v_cmp_gt_u32_e64 s[54:55], s60, v203
	v_max_f32_e32 v1, v2, v1
	v_add_f32_e32 v2, 0x40051340, v35
	v_cndmask_b32_e64 v1, v121, v1, s[54:55]
	v_max_f32_e32 v3, v1, v1
	v_cmp_gt_u32_e64 s[56:57], s60, v245
	v_max_f32_e32 v2, v3, v2
	v_cmp_gt_u32_e64 s[58:59], s60, v244
	v_cndmask_b32_e64 v1, v1, v2, s[56:57]
	v_add_f32_e32 v2, 0x40051340, v36
	v_max_f32_e32 v3, v1, v1
	v_max_f32_e32 v2, v3, v2
	v_cndmask_b32_e64 v1, v1, v2, s[58:59]
	v_add_f32_e32 v2, 0x40051340, v37
	v_max_f32_e32 v3, v1, v1
	v_cmp_gt_u32_e64 s[50:51], s60, v243
	v_max_f32_e32 v2, v3, v2
	v_cmp_gt_u32_e64 s[48:49], s60, v227
	v_cndmask_b32_e64 v1, v1, v2, s[50:51]
	v_add_f32_e32 v2, 0x40051340, v6
	v_max_f32_e32 v3, v1, v1
	v_max_f32_e32 v2, v3, v2
	v_cndmask_b32_e64 v1, v1, v2, s[48:49]
	v_add_f32_e32 v2, 0x40051340, v7
	;; [unrolled: 10-line block ×3, first 2 shown]
	v_max_f32_e32 v3, v1, v1
	v_cmp_gt_u32_e32 vcc, s60, v242
	v_max_f32_e32 v2, v3, v2
	v_xor_b32_e32 v3, 32, v249
	v_cndmask_b32_e32 v1, v1, v2, vcc
	v_and_b32_e32 v2, 64, v249
	v_add_u32_e32 v2, 64, v2
	v_cmp_lt_i32_e64 s[60:61], v3, v2
	s_mul_i32 s6, s90, s83
	s_mul_hi_u32 s7, s90, s82
	v_cndmask_b32_e64 v3, v249, v3, s[60:61]
	v_lshlrev_b32_e32 v39, 2, v3
	ds_bpermute_b32 v3, v39, v1
	v_max_f32_e32 v1, v1, v1
	s_add_i32 s7, s7, s6
	s_mul_i32 s6, s90, s82
	s_lshl_b64 s[6:7], s[6:7], 2
	s_waitcnt lgkmcnt(0)
	v_max_f32_e32 v3, v3, v3
	v_max_f32_e32 v1, v1, v3
	v_xor_b32_e32 v3, 16, v249
	v_cmp_lt_i32_e64 s[60:61], v3, v2
	scratch_store_dwordx4 off, v[128:131], off
	s_nop 0
	v_cndmask_b32_e64 v2, v249, v3, s[60:61]
	v_lshlrev_b32_e32 v40, 2, v2
	ds_bpermute_b32 v2, v40, v1
	s_waitcnt lgkmcnt(0)
	v_max_f32_e32 v2, v2, v2
	v_max_f32_e32 v38, v1, v2
	v_sub_f32_e32 v1, v34, v38
	v_mul_f32_e32 v2, 0x3fb8aa3b, v1
	v_fma_f32 v3, v1, s5, -v2
	v_rndne_f32_e32 v4, v2
	v_fmac_f32_e32 v3, 0x32a5705f, v1
	v_sub_f32_e32 v2, v2, v4
	v_add_f32_e32 v2, v2, v3
	v_exp_f32_e32 v2, v2
	v_cvt_i32_f32_e32 v3, v4
	v_cmp_ngt_f32_e64 s[60:61], s34, v1
	v_sub_f32_e32 v6, v6, v38
	v_sub_f32_e32 v8, v8, v38
	v_ldexp_f32 v2, v2, v3
	v_cndmask_b32_e64 v2, 0, v2, s[60:61]
	v_cmp_nlt_f32_e64 s[60:61], s81, v1
	s_nop 1
	v_cndmask_b32_e64 v1, v214, v2, s[60:61]
	v_cndmask_b32_e64 v2, 0, v1, s[54:55]
	v_sub_f32_e32 v1, v35, v38
	v_mul_f32_e32 v3, 0x3fb8aa3b, v1
	v_fma_f32 v4, v1, s5, -v3
	v_rndne_f32_e32 v5, v3
	v_fmac_f32_e32 v4, 0x32a5705f, v1
	v_sub_f32_e32 v3, v3, v5
	v_add_f32_e32 v3, v3, v4
	v_exp_f32_e32 v3, v3
	v_cvt_i32_f32_e32 v4, v5
	v_cmp_ngt_f32_e64 s[54:55], s34, v1
	v_ldexp_f32 v3, v3, v4
	s_nop 0
	v_cndmask_b32_e64 v3, 0, v3, s[54:55]
	v_cmp_nlt_f32_e64 s[54:55], s81, v1
	v_mov_b32_e32 v1, s91
	s_nop 0
	v_cndmask_b32_e64 v3, v214, v3, s[54:55]
	v_add_f32_e32 v4, v3, v2
	v_cndmask_b32_e64 v1, v1, v3, s[56:57]
	v_cndmask_b32_e64 v3, v2, v4, s[56:57]
	v_sub_f32_e32 v4, v36, v38
	v_mul_f32_e32 v5, 0x3fb8aa3b, v4
	v_fma_f32 v10, v4, s5, -v5
	v_rndne_f32_e32 v11, v5
	v_fmac_f32_e32 v10, 0x32a5705f, v4
	v_sub_f32_e32 v5, v5, v11
	v_add_f32_e32 v5, v5, v10
	v_exp_f32_e32 v5, v5
	v_cvt_i32_f32_e32 v10, v11
	v_cmp_ngt_f32_e64 s[54:55], s34, v4
	v_ldexp_f32 v5, v5, v10
	s_nop 0
	v_cndmask_b32_e64 v5, 0, v5, s[54:55]
	v_cmp_nlt_f32_e64 s[54:55], s81, v4
	v_mov_b32_e32 v4, s91
	s_nop 0
	v_cndmask_b32_e64 v5, v214, v5, s[54:55]
	v_add_f32_e32 v10, v3, v5
	v_cndmask_b32_e64 v10, v3, v10, s[58:59]
	v_sub_f32_e32 v3, v37, v38
	v_cndmask_b32_e64 v4, v4, v5, s[58:59]
	v_mul_f32_e32 v5, 0x3fb8aa3b, v3
	v_fma_f32 v11, v3, s5, -v5
	v_rndne_f32_e32 v12, v5
	v_fmac_f32_e32 v11, 0x32a5705f, v3
	v_sub_f32_e32 v5, v5, v12
	v_add_f32_e32 v5, v5, v11
	v_exp_f32_e32 v5, v5
	v_cvt_i32_f32_e32 v11, v12
	v_cmp_ngt_f32_e64 s[54:55], s34, v3
	v_ldexp_f32 v5, v5, v11
	s_nop 0
	v_cndmask_b32_e64 v5, 0, v5, s[54:55]
	v_cmp_nlt_f32_e64 s[54:55], s81, v3
	v_mov_b32_e32 v3, s91
	s_nop 0
	v_cndmask_b32_e64 v5, v214, v5, s[54:55]
	v_add_f32_e32 v11, v10, v5
	v_cndmask_b32_e64 v5, v3, v5, s[50:51]
	v_cndmask_b32_e64 v3, v10, v11, s[50:51]
	v_mul_f32_e32 v10, 0x3fb8aa3b, v6
	v_fma_f32 v11, v6, s5, -v10
	v_rndne_f32_e32 v12, v10
	v_fmac_f32_e32 v11, 0x32a5705f, v6
	v_sub_f32_e32 v10, v10, v12
	v_add_f32_e32 v10, v10, v11
	v_exp_f32_e32 v10, v10
	v_cvt_i32_f32_e32 v11, v12
	v_cmp_ngt_f32_e64 s[50:51], s34, v6
	v_ldexp_f32 v10, v10, v11
	s_nop 0
	v_cndmask_b32_e64 v10, 0, v10, s[50:51]
	v_cmp_nlt_f32_e64 s[50:51], s81, v6
	v_mov_b32_e32 v6, s91
	s_nop 0
	v_cndmask_b32_e64 v10, v214, v10, s[50:51]
	v_add_f32_e32 v11, v10, v3
	v_cndmask_b32_e64 v6, v6, v10, s[48:49]
	v_cndmask_b32_e64 v10, v3, v11, s[48:49]
	v_sub_f32_e32 v3, v7, v38
	v_mul_f32_e32 v7, 0x3fb8aa3b, v3
	v_fma_f32 v11, v3, s5, -v7
	v_rndne_f32_e32 v12, v7
	v_fmac_f32_e32 v11, 0x32a5705f, v3
	v_sub_f32_e32 v7, v7, v12
	v_add_f32_e32 v7, v7, v11
	v_exp_f32_e32 v7, v7
	v_cvt_i32_f32_e32 v11, v12
	v_cmp_ngt_f32_e64 s[48:49], s34, v3
	v_ldexp_f32 v7, v7, v11
	s_nop 0
	v_cndmask_b32_e64 v7, 0, v7, s[48:49]
	v_cmp_nlt_f32_e64 s[48:49], s81, v3
	v_mov_b32_e32 v3, s91
	s_nop 0
	v_cndmask_b32_e64 v7, v214, v7, s[48:49]
	v_add_f32_e32 v11, v7, v10
	v_cndmask_b32_e64 v3, v3, v7, s[46:47]
	v_cndmask_b32_e64 v7, v10, v11, s[46:47]
	v_mul_f32_e32 v10, 0x3fb8aa3b, v8
	v_fma_f32 v11, v8, s5, -v10
	v_rndne_f32_e32 v12, v10
	v_fmac_f32_e32 v11, 0x32a5705f, v8
	v_sub_f32_e32 v10, v10, v12
	v_add_f32_e32 v10, v10, v11
	v_exp_f32_e32 v10, v10
	v_cvt_i32_f32_e32 v11, v12
	v_cmp_ngt_f32_e64 s[46:47], s34, v8
	v_ldexp_f32 v10, v10, v11
	s_nop 0
	v_cndmask_b32_e64 v10, 0, v10, s[46:47]
	v_cmp_nlt_f32_e64 s[46:47], s81, v8
	v_mov_b32_e32 v8, s91
	s_nop 0
	v_cndmask_b32_e64 v10, v214, v10, s[46:47]
	v_add_f32_e32 v11, v10, v7
	v_cndmask_b32_e64 v8, v8, v10, s[44:45]
	v_cndmask_b32_e64 v10, v7, v11, s[44:45]
	v_sub_f32_e32 v7, v9, v38
	v_mul_f32_e32 v9, 0x3fb8aa3b, v7
	v_fma_f32 v11, v7, s5, -v9
	v_rndne_f32_e32 v12, v9
	v_fmac_f32_e32 v11, 0x32a5705f, v7
	v_sub_f32_e32 v9, v9, v12
	v_add_f32_e32 v9, v9, v11
	v_exp_f32_e32 v9, v9
	v_cvt_i32_f32_e32 v11, v12
	v_cmp_ngt_f32_e64 s[44:45], s34, v7
	v_ldexp_f32 v9, v9, v11
	s_nop 0
	v_cndmask_b32_e64 v9, 0, v9, s[44:45]
	v_cmp_nlt_f32_e64 s[44:45], s81, v7
	v_mov_b32_e32 v7, s91
	s_nop 0
	v_cndmask_b32_e64 v9, v214, v9, s[44:45]
	v_add_f32_e32 v11, v9, v10
	v_cndmask_b32_e32 v7, v7, v9, vcc
	v_sub_f32_e32 v9, v121, v38
	v_cndmask_b32_e32 v41, v10, v11, vcc
	v_mul_f32_e32 v10, 0x3fb8aa3b, v9
	v_fma_f32 v11, v9, s5, -v10
	v_rndne_f32_e32 v12, v10
	v_fmac_f32_e32 v11, 0x32a5705f, v9
	v_sub_f32_e32 v10, v10, v12
	v_add_f32_e32 v10, v10, v11
	v_exp_f32_e32 v10, v10
	v_cvt_i32_f32_e32 v11, v12
	v_cmp_ngt_f32_e32 vcc, s34, v9
	v_ldexp_f32 v10, v10, v11
	s_nop 0
	v_cndmask_b32_e32 v10, 0, v10, vcc
	v_cmp_nlt_f32_e32 vcc, s81, v9
	s_nop 1
	v_cndmask_b32_e32 v10, v214, v10, vcc
	v_cmp_le_f32_e32 vcc, s35, v9
	s_nop 1
	v_cndmask_b32_e32 v9, 0, v10, vcc
	v_fmac_f32_e32 v41, v147, v9
	v_cvt_f16_f32_e32 v9, v9
	v_cmp_ne_u64_e32 vcc, 0, v[142:143]
	v_mul_u32_u24_e32 v10, 0x10001, v9
	v_pk_mul_f16 v35, v55, v10
	v_pk_mul_f16 v34, v53, v10
	;; [unrolled: 1-line block ×32, first 2 shown]
	v_lshl_add_u64 v[10:11], v[144:145], 0, s[6:7]
	v_lshl_add_u64 v[14:15], v[110:111], 2, v[10:11]
	;; [unrolled: 1-line block ×3, first 2 shown]
	v_mov_b32_e32 v47, s93
	v_lshl_add_u64 v[14:15], v[14:15], 0, v[96:97]
	v_lshl_add_u64 v[12:13], v[12:13], 0, v[96:97]
	v_cndmask_b32_e64 v37, v47, v15, s[38:39]
	v_cndmask_b32_e64 v36, v212, v14, s[38:39]
	v_lshl_add_u64 v[14:15], v[112:113], 2, v[10:11]
	v_lshl_add_u64 v[10:11], v[114:115], 2, v[10:11]
	v_cndmask_b32_e64 v13, v47, v13, s[36:37]
	v_cndmask_b32_e64 v12, v212, v12, s[36:37]
	;; [unrolled: 4-line block ×3, first 2 shown]
	v_cndmask_b32_e64 v15, v47, v11, s[42:43]
	v_cndmask_b32_e64 v14, v212, v10, s[42:43]
	flat_load_dwordx4 v[10:13], v[12:13]
	v_cvt_f32_f16_e32 v72, v19
	v_cvt_f32_f16_sdwa v73, v19 dst_sel:DWORD dst_unused:UNUSED_PAD src0_sel:WORD_1
	v_cvt_f32_f16_e32 v74, v18
	v_cvt_f32_f16_sdwa v75, v18 dst_sel:DWORD dst_unused:UNUSED_PAD src0_sel:WORD_1
	;; [unrolled: 2-line block ×9, first 2 shown]
	v_cvt_f32_f16_sdwa v91, v42 dst_sel:DWORD dst_unused:UNUSED_PAD src0_sel:WORD_1
	v_readlane_b32 s42, v255, 35
	v_readlane_b32 s43, v255, 36
	s_and_b64 s[36:37], s[42:43], vcc
	s_waitcnt vmcnt(0) lgkmcnt(0)
	ds_write_b128 v201, v[10:13]
	flat_load_dwordx4 v[10:13], v[36:37]
	v_cvt_pk_f16_f32 v37, v4, v5
	v_cvt_pk_f16_f32 v36, v2, v1
	s_waitcnt vmcnt(0) lgkmcnt(0)
	ds_write_b128 v254, v[10:13]
	flat_load_dwordx4 v[10:13], v[16:17]
	s_waitcnt vmcnt(0) lgkmcnt(0)
	ds_write_b128 v248, v[10:13]
	flat_load_dwordx4 v[10:13], v[14:15]
	s_waitcnt vmcnt(0) lgkmcnt(0)
	ds_write_b128 v246, v[10:13]
	s_waitcnt lgkmcnt(0)
	s_barrier
	ds_read_u16 v14, v204 offset:528
	ds_read_u16 v15, v204 offset:1056
	ds_read_u16 v16, v205
	ds_read_u16 v17, v205 offset:32
	v_cvt_f32_f16_e32 v10, v35
	v_cvt_f32_f16_sdwa v11, v35 dst_sel:DWORD dst_unused:UNUSED_PAD src0_sel:WORD_1
	v_cvt_f32_f16_e32 v12, v34
	s_waitcnt lgkmcnt(1)
	v_perm_b32 v15, v16, v15, s92
	ds_read_u16 v16, v204
	ds_read_u16 v56, v204 offset:32
	v_cvt_f32_f16_sdwa v13, v34 dst_sel:DWORD dst_unused:UNUSED_PAD src0_sel:WORD_1
	v_cvt_pk_f16_f32 v35, v8, v7
	v_cvt_f32_f16_sdwa v7, v48 dst_sel:DWORD dst_unused:UNUSED_PAD src0_sel:WORD_1
	s_waitcnt lgkmcnt(1)
	v_perm_b32 v14, v14, v16, s92
	s_nop 1
	v_mfma_f32_16x16x16_f16 v[10:13], v[14:15], v[36:37], v[10:13]
	ds_read_u16 v14, v204 offset:16896
	ds_read_u16 v15, v204 offset:17424
	;; [unrolled: 1-line block ×4, first 2 shown]
	s_nop 3
	v_cvt_f16_f32_e32 v4, v12
	v_cvt_f16_f32_e32 v5, v13
	;; [unrolled: 1-line block ×4, first 2 shown]
	v_cvt_f32_f16_e32 v12, v4
	v_cvt_f32_f16_e32 v13, v5
	s_waitcnt lgkmcnt(0)
	v_perm_b32 v5, v34, v16, s92
	v_perm_b32 v4, v15, v14, s92
	v_cvt_f32_f16_e32 v10, v1
	v_cvt_f32_f16_e32 v11, v2
	v_cvt_pk_f16_f32 v34, v6, v3
	v_cvt_f32_f16_e32 v6, v48
	s_nop 0
	v_mfma_f32_16x16x16_f16 v[2:5], v[4:5], v[34:35], v[10:13]
	s_nop 7
	v_cvt_f16_f32_e32 v1, v4
	v_cvt_f16_f32_e32 v4, v5
	v_cvt_f32_f16_sdwa v5, v55 dst_sel:DWORD dst_unused:UNUSED_PAD src0_sel:WORD_1
	v_cvt_f16_f32_e32 v53, v2
	v_cvt_f16_f32_e32 v54, v3
	v_perm_b32 v47, v4, v1, s92
	ds_read_u16 v1, v204 offset:560
	ds_read_u16 v8, v204 offset:1088
	v_cvt_f32_f16_e32 v4, v55
	v_perm_b32 v53, v54, v53, s92
	s_waitcnt lgkmcnt(1)
	v_perm_b32 v10, v1, v56, s92
	s_waitcnt lgkmcnt(0)
	v_perm_b32 v11, v17, v8, s92
	s_nop 1
	v_mfma_f32_16x16x16_f16 v[4:7], v[10:11], v[36:37], v[4:7]
	ds_read_u16 v8, v204 offset:16928
	ds_read_u16 v10, v204 offset:17456
	ds_read_u16 v11, v204 offset:17984
	ds_read_u16 v12, v205 offset:16928
	s_nop 3
	v_cvt_f16_f32_e32 v1, v4
	v_cvt_f16_f32_e32 v5, v5
	;; [unrolled: 1-line block ×4, first 2 shown]
	s_waitcnt lgkmcnt(0)
	v_perm_b32 v11, v12, v11, s92
	v_perm_b32 v10, v10, v8, s92
	v_cvt_f32_f16_e32 v4, v1
	v_cvt_f32_f16_e32 v5, v5
	;; [unrolled: 1-line block ×5, first 2 shown]
	v_cvt_f32_f16_sdwa v9, v9 dst_sel:DWORD dst_unused:UNUSED_PAD src0_sel:WORD_1
	v_mfma_f32_16x16x16_f16 v[4:7], v[10:11], v[34:35], v[4:7]
	s_nop 7
	v_cvt_f16_f32_e32 v1, v6
	v_cvt_f16_f32_e32 v6, v7
	v_cvt_f32_f16_sdwa v7, v51 dst_sel:DWORD dst_unused:UNUSED_PAD src0_sel:WORD_1
	v_cvt_f16_f32_e32 v55, v4
	v_cvt_f16_f32_e32 v56, v5
	v_perm_b32 v48, v6, v1, s92
	ds_read_u16 v1, v204 offset:64
	ds_read_u16 v10, v204 offset:592
	ds_read_u16 v11, v204 offset:1120
	ds_read_u16 v12, v205 offset:64
	v_cvt_f32_f16_e32 v6, v51
	v_perm_b32 v55, v56, v55, s92
	s_waitcnt lgkmcnt(2)
	v_perm_b32 v10, v10, v1, s92
	s_waitcnt lgkmcnt(0)
	v_perm_b32 v11, v12, v11, s92
	s_nop 1
	v_mfma_f32_16x16x16_f16 v[6:9], v[10:11], v[36:37], v[6:9]
	ds_read_u16 v10, v204 offset:16960
	ds_read_u16 v12, v204 offset:17488
	ds_read_u16 v11, v204 offset:18016
	ds_read_u16 v13, v205 offset:16960
	s_nop 3
	v_cvt_f16_f32_e32 v1, v6
	v_cvt_f16_f32_e32 v7, v7
	v_cvt_f16_f32_e32 v8, v8
	v_cvt_f16_f32_e32 v9, v9
	s_waitcnt lgkmcnt(0)
	v_perm_b32 v11, v13, v11, s92
	v_perm_b32 v10, v12, v10, s92
	v_cvt_f32_f16_e32 v6, v1
	v_cvt_f32_f16_e32 v7, v7
	v_cvt_f32_f16_e32 v8, v8
	v_cvt_f32_f16_e32 v9, v9
	s_nop 1
	v_mfma_f32_16x16x16_f16 v[6:9], v[10:11], v[34:35], v[6:9]
	v_cvt_f32_f16_e32 v10, v57
	v_cvt_f32_f16_sdwa v11, v57 dst_sel:DWORD dst_unused:UNUSED_PAD src0_sel:WORD_1
	s_nop 5
	v_cvt_f16_f32_e32 v1, v8
	v_cvt_f16_f32_e32 v8, v9
	v_cvt_f32_f16_sdwa v9, v60 dst_sel:DWORD dst_unused:UNUSED_PAD src0_sel:WORD_1
	v_cvt_f16_f32_e32 v58, v6
	v_cvt_f16_f32_e32 v59, v7
	v_perm_b32 v51, v8, v1, s92
	ds_read_u16 v1, v204 offset:96
	ds_read_u16 v12, v204 offset:624
	ds_read_u16 v13, v204 offset:1152
	ds_read_u16 v14, v205 offset:96
	v_cvt_f32_f16_e32 v8, v60
	v_perm_b32 v58, v59, v58, s92
	s_waitcnt lgkmcnt(2)
	v_perm_b32 v12, v12, v1, s92
	s_waitcnt lgkmcnt(0)
	v_perm_b32 v13, v14, v13, s92
	s_nop 1
	v_mfma_f32_16x16x16_f16 v[8:11], v[12:13], v[36:37], v[8:11]
	ds_read_u16 v12, v204 offset:16992
	ds_read_u16 v14, v204 offset:17520
	ds_read_u16 v13, v204 offset:18048
	ds_read_u16 v15, v205 offset:16992
	s_nop 3
	v_cvt_f16_f32_e32 v1, v8
	v_cvt_f16_f32_e32 v9, v9
	v_cvt_f16_f32_e32 v10, v10
	v_cvt_f16_f32_e32 v11, v11
	s_waitcnt lgkmcnt(0)
	v_perm_b32 v13, v15, v13, s92
	v_perm_b32 v12, v14, v12, s92
	v_cvt_f32_f16_e32 v8, v1
	v_cvt_f32_f16_e32 v9, v9
	v_cvt_f32_f16_e32 v10, v10
	v_cvt_f32_f16_e32 v11, v11
	s_nop 1
	v_mfma_f32_16x16x16_f16 v[8:11], v[12:13], v[34:35], v[8:11]
	v_cvt_f32_f16_e32 v12, v50
	v_cvt_f32_f16_sdwa v13, v50 dst_sel:DWORD dst_unused:UNUSED_PAD src0_sel:WORD_1
	;; [unrolled: 39-line block ×4, first 2 shown]
	s_nop 5
	v_cvt_f16_f32_e32 v1, v14
	v_cvt_f16_f32_e32 v14, v15
	v_cvt_f32_f16_sdwa v15, v45 dst_sel:DWORD dst_unused:UNUSED_PAD src0_sel:WORD_1
	v_cvt_f16_f32_e32 v67, v12
	v_cvt_f16_f32_e32 v68, v13
	v_perm_b32 v61, v14, v1, s92
	ds_read_u16 v1, v204 offset:192
	ds_read_u16 v46, v204 offset:720
	;; [unrolled: 1-line block ×4, first 2 shown]
	v_cvt_f32_f16_e32 v14, v45
	v_perm_b32 v67, v68, v67, s92
	s_waitcnt lgkmcnt(2)
	v_perm_b32 v44, v46, v1, s92
	s_waitcnt lgkmcnt(0)
	v_perm_b32 v45, v50, v49, s92
	s_nop 1
	v_mfma_f32_16x16x16_f16 v[14:17], v[44:45], v[36:37], v[14:17]
	ds_read_u16 v44, v204 offset:17088
	ds_read_u16 v46, v204 offset:17616
	;; [unrolled: 1-line block ×4, first 2 shown]
	s_nop 3
	v_cvt_f16_f32_e32 v1, v14
	v_cvt_f16_f32_e32 v15, v15
	;; [unrolled: 1-line block ×4, first 2 shown]
	s_waitcnt lgkmcnt(0)
	v_perm_b32 v45, v49, v45, s92
	v_perm_b32 v44, v46, v44, s92
	v_cvt_f32_f16_e32 v14, v1
	v_cvt_f32_f16_e32 v15, v15
	;; [unrolled: 1-line block ×4, first 2 shown]
	s_nop 1
	v_mfma_f32_16x16x16_f16 v[14:17], v[44:45], v[34:35], v[14:17]
	s_nop 7
	v_cvt_f16_f32_e32 v1, v16
	v_cvt_f16_f32_e32 v16, v17
	;; [unrolled: 1-line block ×4, first 2 shown]
	v_perm_b32 v64, v16, v1, s92
	ds_read_u16 v1, v204 offset:224
	ds_read_u16 v16, v204 offset:752
	;; [unrolled: 1-line block ×4, first 2 shown]
	v_perm_b32 v69, v70, v69, s92
	s_waitcnt lgkmcnt(2)
	v_perm_b32 v16, v16, v1, s92
	s_waitcnt lgkmcnt(0)
	v_perm_b32 v17, v44, v17, s92
	s_nop 1
	v_mfma_f32_16x16x16_f16 v[16:19], v[16:17], v[36:37], v[72:75]
	s_nop 7
	v_cvt_f16_f32_e32 v1, v16
	v_cvt_f16_f32_e32 v16, v17
	;; [unrolled: 1-line block ×4, first 2 shown]
	ds_read_u16 v19, v204 offset:17120
	ds_read_u16 v44, v204 offset:17648
	;; [unrolled: 1-line block ×4, first 2 shown]
	v_cvt_f32_f16_e32 v73, v16
	v_cvt_f32_f16_e32 v74, v17
	s_waitcnt lgkmcnt(2)
	v_perm_b32 v16, v44, v19, s92
	v_cvt_f32_f16_e32 v72, v1
	s_waitcnt lgkmcnt(0)
	v_perm_b32 v17, v46, v45, s92
	v_cvt_f32_f16_e32 v75, v18
	s_nop 1
	v_mfma_f32_16x16x16_f16 v[16:19], v[16:17], v[34:35], v[72:75]
	s_nop 7
	v_cvt_f16_f32_e32 v1, v18
	v_cvt_f16_f32_e32 v18, v19
	;; [unrolled: 1-line block ×4, first 2 shown]
	v_perm_b32 v73, v18, v1, s92
	ds_read_u16 v1, v204 offset:256
	ds_read_u16 v18, v204 offset:784
	;; [unrolled: 1-line block ×4, first 2 shown]
	v_perm_b32 v74, v75, v74, s92
	s_waitcnt lgkmcnt(2)
	v_perm_b32 v18, v18, v1, s92
	s_waitcnt lgkmcnt(0)
	v_perm_b32 v19, v44, v19, s92
	ds_read_u16 v44, v204 offset:17152
	ds_read_u16 v46, v204 offset:17680
	;; [unrolled: 1-line block ×4, first 2 shown]
	v_mfma_f32_16x16x16_f16 v[18:21], v[18:19], v[36:37], v[76:79]
	s_waitcnt lgkmcnt(0)
	v_perm_b32 v45, v49, v45, s92
	v_perm_b32 v44, v46, v44, s92
	v_cvt_f32_f16_e32 v78, v23
	s_nop 3
	v_cvt_f16_f32_e32 v1, v18
	v_cvt_f16_f32_e32 v19, v19
	;; [unrolled: 1-line block ×4, first 2 shown]
	v_cvt_f32_f16_e32 v18, v1
	v_cvt_f32_f16_e32 v19, v19
	;; [unrolled: 1-line block ×4, first 2 shown]
	v_cvt_f32_f16_sdwa v79, v23 dst_sel:DWORD dst_unused:UNUSED_PAD src0_sel:WORD_1
	s_nop 0
	v_mfma_f32_16x16x16_f16 v[18:21], v[44:45], v[34:35], v[18:21]
	s_nop 7
	v_cvt_f16_f32_e32 v1, v20
	v_cvt_f16_f32_e32 v20, v21
	;; [unrolled: 1-line block ×4, first 2 shown]
	v_perm_b32 v1, v20, v1, s92
	ds_read_u16 v20, v204 offset:288
	ds_read_u16 v44, v204 offset:816
	;; [unrolled: 1-line block ×4, first 2 shown]
	v_perm_b32 v72, v76, v72, s92
	s_waitcnt lgkmcnt(2)
	v_perm_b32 v20, v44, v20, s92
	s_waitcnt lgkmcnt(0)
	v_perm_b32 v21, v45, v21, s92
	ds_read_u16 v44, v204 offset:17184
	ds_read_u16 v46, v204 offset:17712
	;; [unrolled: 1-line block ×4, first 2 shown]
	v_mfma_f32_16x16x16_f16 v[20:23], v[20:21], v[36:37], v[78:81]
	s_waitcnt lgkmcnt(0)
	v_perm_b32 v45, v49, v45, s92
	v_perm_b32 v44, v46, v44, s92
	v_cvt_f32_f16_e32 v78, v25
	s_nop 3
	v_cvt_f16_f32_e32 v20, v20
	v_cvt_f16_f32_e32 v21, v21
	;; [unrolled: 1-line block ×4, first 2 shown]
	v_cvt_f32_f16_e32 v20, v20
	v_cvt_f32_f16_e32 v21, v21
	;; [unrolled: 1-line block ×4, first 2 shown]
	v_cvt_f32_f16_sdwa v79, v25 dst_sel:DWORD dst_unused:UNUSED_PAD src0_sel:WORD_1
	v_cvt_f32_f16_e32 v80, v24
	v_mfma_f32_16x16x16_f16 v[20:23], v[44:45], v[34:35], v[20:23]
	v_cvt_f32_f16_sdwa v81, v24 dst_sel:DWORD dst_unused:UNUSED_PAD src0_sel:WORD_1
	s_nop 6
	v_cvt_f16_f32_e32 v22, v22
	v_cvt_f16_f32_e32 v23, v23
	;; [unrolled: 1-line block ×4, first 2 shown]
	v_perm_b32 v44, v23, v22, s92
	ds_read_u16 v22, v204 offset:320
	ds_read_u16 v45, v204 offset:848
	;; [unrolled: 1-line block ×4, first 2 shown]
	v_perm_b32 v71, v77, v71, s92
	s_waitcnt lgkmcnt(2)
	v_perm_b32 v22, v45, v22, s92
	s_waitcnt lgkmcnt(0)
	v_perm_b32 v23, v46, v23, s92
	ds_read_u16 v45, v204 offset:17216
	ds_read_u16 v46, v204 offset:17744
	;; [unrolled: 1-line block ×4, first 2 shown]
	v_mfma_f32_16x16x16_f16 v[22:25], v[22:23], v[36:37], v[78:81]
	s_waitcnt lgkmcnt(0)
	s_nop 1
	v_perm_b32 v79, v50, v49, s92
	v_perm_b32 v78, v46, v45, s92
	v_cvt_f32_f16_e32 v80, v27
	s_nop 1
	v_cvt_f16_f32_e32 v22, v22
	v_cvt_f16_f32_e32 v23, v23
	;; [unrolled: 1-line block ×4, first 2 shown]
	v_cvt_f32_f16_e32 v22, v22
	v_cvt_f32_f16_e32 v23, v23
	;; [unrolled: 1-line block ×4, first 2 shown]
	v_cvt_f32_f16_sdwa v81, v27 dst_sel:DWORD dst_unused:UNUSED_PAD src0_sel:WORD_1
	s_nop 0
	v_mfma_f32_16x16x16_f16 v[22:25], v[78:79], v[34:35], v[22:25]
	s_nop 7
	v_cvt_f16_f32_e32 v24, v24
	v_cvt_f16_f32_e32 v25, v25
	;; [unrolled: 1-line block ×4, first 2 shown]
	v_perm_b32 v45, v25, v24, s92
	ds_read_u16 v24, v204 offset:352
	ds_read_u16 v46, v204 offset:880
	;; [unrolled: 1-line block ×4, first 2 shown]
	s_waitcnt lgkmcnt(2)
	v_perm_b32 v24, v46, v24, s92
	s_waitcnt lgkmcnt(0)
	v_perm_b32 v25, v49, v25, s92
	ds_read_u16 v46, v204 offset:17248
	ds_read_u16 v49, v204 offset:17776
	ds_read_u16 v50, v204 offset:18304
	ds_read_u16 v52, v205 offset:17248
	v_mfma_f32_16x16x16_f16 v[24:27], v[24:25], v[36:37], v[80:83]
	s_waitcnt lgkmcnt(0)
	s_nop 1
	v_perm_b32 v81, v52, v50, s92
	v_perm_b32 v80, v49, v46, s92
	v_cvt_f32_f16_e32 v82, v29
	s_nop 1
	v_cvt_f16_f32_e32 v24, v24
	v_cvt_f16_f32_e32 v25, v25
	;; [unrolled: 1-line block ×4, first 2 shown]
	v_cvt_f32_f16_e32 v24, v24
	v_cvt_f32_f16_e32 v25, v25
	;; [unrolled: 1-line block ×4, first 2 shown]
	v_cvt_f32_f16_sdwa v83, v29 dst_sel:DWORD dst_unused:UNUSED_PAD src0_sel:WORD_1
	s_nop 0
	v_mfma_f32_16x16x16_f16 v[24:27], v[80:81], v[34:35], v[24:27]
	s_nop 7
	v_cvt_f16_f32_e32 v26, v26
	v_cvt_f16_f32_e32 v27, v27
	;; [unrolled: 1-line block ×4, first 2 shown]
	v_perm_b32 v46, v27, v26, s92
	ds_read_u16 v26, v204 offset:384
	ds_read_u16 v49, v204 offset:912
	ds_read_u16 v27, v204 offset:1440
	ds_read_u16 v50, v205 offset:384
	s_waitcnt lgkmcnt(2)
	v_perm_b32 v26, v49, v26, s92
	s_waitcnt lgkmcnt(0)
	v_perm_b32 v27, v50, v27, s92
	s_nop 1
	v_mfma_f32_16x16x16_f16 v[26:29], v[26:27], v[36:37], v[82:85]
	ds_read_u16 v49, v204 offset:17280
	ds_read_u16 v50, v204 offset:17808
	;; [unrolled: 1-line block ×4, first 2 shown]
	v_cvt_f32_f16_e32 v84, v31
	v_cvt_f32_f16_sdwa v85, v31 dst_sel:DWORD dst_unused:UNUSED_PAD src0_sel:WORD_1
	s_nop 1
	v_cvt_f16_f32_e32 v26, v26
	v_cvt_f16_f32_e32 v27, v27
	;; [unrolled: 1-line block ×4, first 2 shown]
	s_waitcnt lgkmcnt(0)
	v_perm_b32 v83, v82, v52, s92
	v_perm_b32 v82, v50, v49, s92
	v_cvt_f32_f16_e32 v26, v26
	v_cvt_f32_f16_e32 v27, v27
	;; [unrolled: 1-line block ×4, first 2 shown]
	s_nop 1
	v_mfma_f32_16x16x16_f16 v[26:29], v[82:83], v[34:35], v[26:29]
	s_nop 7
	v_cvt_f16_f32_e32 v28, v28
	v_cvt_f16_f32_e32 v29, v29
	;; [unrolled: 1-line block ×4, first 2 shown]
	v_perm_b32 v49, v29, v28, s92
	ds_read_u16 v28, v204 offset:416
	ds_read_u16 v50, v204 offset:944
	;; [unrolled: 1-line block ×4, first 2 shown]
	s_waitcnt lgkmcnt(2)
	v_perm_b32 v28, v50, v28, s92
	s_waitcnt lgkmcnt(0)
	v_perm_b32 v29, v52, v29, s92
	s_nop 1
	v_mfma_f32_16x16x16_f16 v[28:31], v[28:29], v[36:37], v[84:87]
	ds_read_u16 v50, v204 offset:17312
	ds_read_u16 v52, v204 offset:17840
	s_nop 0
	ds_read_u16 v84, v204 offset:18368
	ds_read_u16 v85, v205 offset:17312
	v_cvt_f32_f16_e32 v86, v33
	v_cvt_f32_f16_sdwa v87, v33 dst_sel:DWORD dst_unused:UNUSED_PAD src0_sel:WORD_1
	s_nop 0
	v_cvt_f16_f32_e32 v28, v28
	v_cvt_f16_f32_e32 v29, v29
	;; [unrolled: 1-line block ×4, first 2 shown]
	s_waitcnt lgkmcnt(0)
	v_perm_b32 v85, v85, v84, s92
	v_perm_b32 v84, v52, v50, s92
	v_cvt_f32_f16_e32 v28, v28
	v_cvt_f32_f16_e32 v29, v29
	;; [unrolled: 1-line block ×4, first 2 shown]
	s_nop 1
	v_mfma_f32_16x16x16_f16 v[28:31], v[84:85], v[34:35], v[28:31]
	s_nop 7
	v_cvt_f16_f32_e32 v30, v30
	v_cvt_f16_f32_e32 v31, v31
	;; [unrolled: 1-line block ×4, first 2 shown]
	v_perm_b32 v50, v31, v30, s92
	ds_read_u16 v30, v204 offset:448
	ds_read_u16 v52, v204 offset:976
	;; [unrolled: 1-line block ×4, first 2 shown]
	s_waitcnt lgkmcnt(2)
	v_perm_b32 v30, v52, v30, s92
	s_waitcnt lgkmcnt(0)
	v_perm_b32 v31, v90, v31, s92
	v_cvt_f32_f16_e32 v90, v42
	s_nop 0
	v_mfma_f32_16x16x16_f16 v[30:33], v[30:31], v[36:37], v[86:89]
	ds_read_u16 v52, v204 offset:17344
	s_nop 1
	ds_read_u16 v86, v204 offset:17872
	ds_read_u16 v87, v204 offset:18400
	;; [unrolled: 1-line block ×3, first 2 shown]
	v_cvt_f32_f16_sdwa v89, v43 dst_sel:DWORD dst_unused:UNUSED_PAD src0_sel:WORD_1
	s_nop 0
	v_cvt_f16_f32_e32 v30, v30
	v_cvt_f16_f32_e32 v31, v31
	;; [unrolled: 1-line block ×4, first 2 shown]
	s_waitcnt lgkmcnt(0)
	v_perm_b32 v87, v88, v87, s92
	v_perm_b32 v86, v86, v52, s92
	v_cvt_f32_f16_e32 v30, v30
	v_cvt_f32_f16_e32 v31, v31
	;; [unrolled: 1-line block ×5, first 2 shown]
	s_nop 0
	v_mfma_f32_16x16x16_f16 v[30:33], v[86:87], v[34:35], v[30:33]
	s_nop 7
	v_cvt_f16_f32_e32 v32, v32
	v_cvt_f16_f32_e32 v33, v33
	;; [unrolled: 1-line block ×4, first 2 shown]
	v_perm_b32 v52, v33, v32, s92
	ds_read_u16 v32, v204 offset:480
	ds_read_u16 v92, v204 offset:1008
	;; [unrolled: 1-line block ×4, first 2 shown]
	s_waitcnt lgkmcnt(2)
	v_perm_b32 v32, v92, v32, s92
	s_waitcnt lgkmcnt(0)
	v_perm_b32 v33, v93, v33, s92
	s_nop 1
	v_mfma_f32_16x16x16_f16 v[88:91], v[32:33], v[36:37], v[88:91]
	s_nop 7
	v_cvt_f16_f32_e32 v36, v88
	v_cvt_f16_f32_e32 v37, v89
	ds_read_u16 v32, v204 offset:17376
	ds_read_u16 v33, v204 offset:17904
	;; [unrolled: 1-line block ×4, first 2 shown]
	v_cvt_f16_f32_e32 v42, v90
	v_cvt_f16_f32_e32 v43, v91
	v_cvt_f32_f16_e32 v90, v36
	v_cvt_f32_f16_e32 v91, v37
	s_waitcnt lgkmcnt(0)
	v_perm_b32 v37, v89, v88, s92
	v_perm_b32 v36, v33, v32, s92
	v_cvt_f32_f16_e32 v92, v42
	v_cvt_f32_f16_e32 v93, v43
	v_perm_b32 v42, v81, v80, s92
	v_perm_b32 v43, v79, v78, s92
	v_mfma_f32_16x16x16_f16 v[32:35], v[36:37], v[34:35], v[90:93]
	s_barrier
	s_nop 6
	v_cvt_f16_f32_e32 v34, v34
	v_cvt_f16_f32_e32 v35, v35
	v_cvt_f16_f32_e32 v36, v32
	v_cvt_f16_f32_e32 v37, v33
	v_perm_b32 v34, v35, v34, s92
	ds_bpermute_b32 v35, v39, v41
	s_waitcnt lgkmcnt(0)
	v_add_f32_e32 v35, v41, v35
	ds_bpermute_b32 v39, v40, v35
	v_perm_b32 v41, v83, v82, s92
	s_waitcnt lgkmcnt(0)
	v_add_f32_e32 v39, v35, v39
	v_perm_b32 v35, v37, v36, s92
	v_perm_b32 v36, v87, v86, s92
	;; [unrolled: 1-line block ×3, first 2 shown]
	s_and_saveexec_b64 s[6:7], s[36:37]
	s_cbranch_execz .LBB29_308
; %bb.307:                              ;   in Loop: Header=BB29_14 Depth=1
	global_load_dword v35, v[142:143], off
	v_cvt_pk_f16_f32 v36, v2, v3
	v_max_f32_e32 v2, v38, v38
	v_cvt_pk_f16_f32 v4, v4, v5
	v_cvt_pk_f16_f32 v5, v6, v7
	;; [unrolled: 1-line block ×13, first 2 shown]
	s_waitcnt vmcnt(0)
	v_max_f32_e32 v3, v35, v35
	v_max_f32_e32 v2, v2, v3
	v_sub_f32_e32 v3, v38, v2
	v_sub_f32_e32 v17, v35, v2
	v_mul_f32_e32 v18, 0x3fb8aa3b, v3
	v_mul_f32_e32 v19, 0x3fb8aa3b, v17
	v_fma_f32 v20, v3, s5, -v18
	v_rndne_f32_e32 v21, v18
	v_fma_f32 v22, v17, s5, -v19
	v_rndne_f32_e32 v23, v19
	v_fmac_f32_e32 v20, 0x32a5705f, v3
	v_sub_f32_e32 v18, v18, v21
	v_fmac_f32_e32 v22, 0x32a5705f, v17
	v_sub_f32_e32 v19, v19, v23
	v_add_f32_e32 v18, v18, v20
	v_cvt_i32_f32_e32 v21, v21
	v_add_f32_e32 v19, v19, v22
	v_exp_f32_e32 v18, v18
	v_cvt_i32_f32_e32 v23, v23
	v_exp_f32_e32 v19, v19
	v_cmp_ngt_f32_e32 vcc, s34, v3
	v_ldexp_f32 v18, v18, v21
	v_cvt_pk_f16_f32 v20, v30, v31
	v_ldexp_f32 v19, v19, v23
	v_cndmask_b32_e32 v18, 0, v18, vcc
	v_cmp_ngt_f32_e32 vcc, s34, v17
	v_cvt_pk_f16_f32 v22, v32, v33
	s_nop 0
	v_cndmask_b32_e32 v19, 0, v19, vcc
	v_cmp_nlt_f32_e32 vcc, s81, v3
	s_nop 1
	v_cndmask_b32_e32 v18, v214, v18, vcc
	v_cmp_le_f32_e32 vcc, s35, v3
	s_nop 1
	v_cndmask_b32_e32 v18, 0, v18, vcc
	v_cvt_f16_f32_e32 v21, v18
	v_cmp_nlt_f32_e32 vcc, s81, v17
	v_mul_u32_u24_e32 v17, 0x10001, v21
	s_nop 0
	v_cndmask_b32_e32 v3, v214, v19, vcc
	v_fmac_f32_e32 v3, v39, v18
	v_pk_mul_f16 v53, v36, v17
	v_pk_mul_f16 v47, v47, v17
	;; [unrolled: 1-line block ×32, first 2 shown]
	v_mov_b64_e32 v[38:39], v[2:3]
.LBB29_308:                             ;   in Loop: Header=BB29_14 Depth=1
	s_or_b64 exec, exec, s[6:7]
	s_mov_b64 s[6:7], exec
	v_readlane_b32 s36, v255, 51
	v_readlane_b32 s37, v255, 52
	s_and_b64 s[36:37], s[6:7], s[36:37]
	v_readlane_b32 s90, v255, 40
	s_movk_i32 s44, 0x47
	s_mov_b64 exec, s[36:37]
; %bb.309:                              ;   in Loop: Header=BB29_14 Depth=1
	v_add_u32_e32 v2, 0, v231
	ds_write2_b32 v2, v38, v39 offset0:64 offset1:65
; %bb.310:                              ;   in Loop: Header=BB29_14 Depth=1
	s_or_b64 exec, exec, s[6:7]
	s_waitcnt lgkmcnt(0)
	s_barrier
	s_mov_b64 s[6:7], exec
	v_readlane_b32 s36, v255, 37
	v_readlane_b32 s37, v255, 38
	s_and_b64 s[36:37], s[6:7], s[36:37]
	s_xor_b64 s[6:7], s[36:37], s[6:7]
	s_mov_b64 exec, s[36:37]
	s_cbranch_execz .LBB29_312
; %bb.311:                              ;   in Loop: Header=BB29_14 Depth=1
	s_barrier
                                        ; implicit-def: $vgpr40
.LBB29_312:                             ;   in Loop: Header=BB29_14 Depth=1
	s_andn2_saveexec_b64 s[6:7], s[6:7]
	s_cbranch_execz .LBB29_316
; %bb.313:                              ;   in Loop: Header=BB29_14 Depth=1
	v_add_u32_e32 v4, 0, v232
	ds_read_b64 v[2:3], v4 offset:256
	s_waitcnt lgkmcnt(0)
	s_barrier
	ds_bpermute_b32 v5, v40, v2
	v_max_f32_e32 v6, v2, v2
	s_waitcnt lgkmcnt(0)
	v_max_f32_e32 v5, v5, v5
	v_max_f32_e32 v5, v6, v5
	v_sub_f32_e32 v2, v2, v5
	v_mul_f32_e32 v5, 0x3fb8aa3b, v2
	v_fma_f32 v6, v2, s5, -v5
	v_rndne_f32_e32 v7, v5
	v_fmac_f32_e32 v6, 0x32a5705f, v2
	v_sub_f32_e32 v5, v5, v7
	v_add_f32_e32 v5, v5, v6
	v_cvt_i32_f32_e32 v7, v7
	v_exp_f32_e32 v5, v5
	v_cmp_ngt_f32_e32 vcc, s34, v2
	v_ldexp_f32 v5, v5, v7
	s_nop 0
	v_cndmask_b32_e32 v5, 0, v5, vcc
	v_cmp_nlt_f32_e32 vcc, s81, v2
	s_nop 1
	v_cndmask_b32_e32 v2, v214, v5, vcc
	v_mul_f32_e32 v3, v3, v2
	ds_bpermute_b32 v5, v40, v3
	s_mov_b64 s[36:37], exec
	v_readlane_b32 s38, v255, 53
	v_readlane_b32 s39, v255, 54
	s_and_b64 s[38:39], s[36:37], s[38:39]
	s_mov_b64 exec, s[38:39]
	s_cbranch_execz .LBB29_315
; %bb.314:                              ;   in Loop: Header=BB29_14 Depth=1
	s_waitcnt lgkmcnt(0)
	v_add_f32_e32 v3, v3, v5
	ds_write_b64 v4, v[2:3] offset:256
.LBB29_315:                             ;   in Loop: Header=BB29_14 Depth=1
	s_or_b64 exec, exec, s[36:37]
.LBB29_316:                             ;   in Loop: Header=BB29_14 Depth=1
	s_or_b64 exec, exec, s[6:7]
	ds_write2_b32 v206, v53, v47 offset1:1
	ds_write2_b32 v206, v55, v48 offset0:8 offset1:9
	ds_write2_b32 v206, v58, v51 offset0:16 offset1:17
	;; [unrolled: 1-line block ×7, first 2 shown]
	s_waitcnt lgkmcnt(0)
	s_barrier
	s_and_saveexec_b64 s[36:37], s[42:43]
	s_cbranch_execz .LBB29_394
; %bb.317:                              ;   in Loop: Header=BB29_14 Depth=1
	v_add_u32_e32 v2, v207, v211
	v_cmp_gt_i32_e32 vcc, s80, v2
	v_mov_b32_e32 v3, 0x47
	s_and_saveexec_b64 s[6:7], vcc
	s_cbranch_execz .LBB29_319
; %bb.318:                              ;   in Loop: Header=BB29_14 Depth=1
	v_add_u32_e32 v3, 0, v233
	v_add_u32_e32 v6, v198, v233
	ds_read2_b32 v[4:5], v3 offset0:64 offset1:65
	ds_read2st64_b32 v[6:7], v6 offset1:17
	ds_read_b32 v8, v3 offset:4608
	v_readlane_b32 s38, v255, 45
	s_waitcnt lgkmcnt(1)
	v_cvt_f32_f16_e32 v10, v6
	v_cvt_f32_f16_sdwa v11, v6 dst_sel:DWORD dst_unused:UNUSED_PAD src0_sel:WORD_1
	v_cvt_f32_f16_e32 v6, v7
	v_cvt_f32_f16_sdwa v7, v7 dst_sel:DWORD dst_unused:UNUSED_PAD src0_sel:WORD_1
	v_mad_u64_u32 v[2:3], s[38:39], v2, s38, v[94:95]
	v_pk_fma_f32 v[10:11], v[4:5], v[10:11], 0 op_sel_hi:[0,1,0]
	s_waitcnt lgkmcnt(0)
	v_pk_fma_f32 v[6:7], v[8:9], v[6:7], v[10:11] op_sel_hi:[0,1,1]
	v_div_scale_f32 v4, s[38:39], v5, v5, v7
	v_rcp_f32_e32 v8, v4
	v_ashrrev_i32_e32 v3, 31, v2
	v_lshl_add_u64 v[2:3], v[2:3], 3, v[140:141]
	v_fma_f32 v9, -v4, v8, 1.0
	v_fmac_f32_e32 v8, v9, v8
	v_div_scale_f32 v9, vcc, v7, v5, v7
	v_mul_f32_e32 v10, v9, v8
	v_fma_f32 v11, -v4, v10, v9
	v_fmac_f32_e32 v10, v11, v8
	v_fma_f32 v4, -v4, v10, v9
	v_div_fmas_f32 v4, v4, v8, v10
	v_div_fixup_f32 v7, v4, v5, v7
	v_div_scale_f32 v4, s[38:39], v5, v5, v6
	v_rcp_f32_e32 v8, v4
	s_nop 0
	v_fma_f32 v9, -v4, v8, 1.0
	v_fmac_f32_e32 v8, v9, v8
	v_div_scale_f32 v9, vcc, v6, v5, v6
	v_mul_f32_e32 v10, v9, v8
	v_fma_f32 v11, -v4, v10, v9
	v_fmac_f32_e32 v10, v11, v8
	v_fma_f32 v4, -v4, v10, v9
	v_div_fmas_f32 v4, v4, v8, v10
	v_div_fixup_f32 v6, v4, v5, v6
	global_store_dwordx2 v[2:3], v[6:7], off
	v_mov_b32_e32 v3, 0
.LBB29_319:                             ;   in Loop: Header=BB29_14 Depth=1
	s_or_b64 exec, exec, s[6:7]
	v_cmp_gt_i32_e32 vcc, s44, v3
	s_mov_b64 s[6:7], -1
	s_and_saveexec_b64 s[38:39], vcc
; %bb.320:                              ;   in Loop: Header=BB29_14 Depth=1
	v_cmp_eq_u32_e32 vcc, 0, v3
	s_orn2_b64 s[6:7], vcc, exec
; %bb.321:                              ;   in Loop: Header=BB29_14 Depth=1
	s_or_b64 exec, exec, s[38:39]
	s_and_b64 exec, exec, s[6:7]
	s_cbranch_execz .LBB29_394
; %bb.322:                              ;   in Loop: Header=BB29_14 Depth=1
	v_add_u32_e32 v2, v208, v211
	v_cmp_gt_i32_e32 vcc, s80, v2
	v_mov_b32_e32 v3, 0x47
	s_and_saveexec_b64 s[6:7], vcc
	s_cbranch_execz .LBB29_324
; %bb.323:                              ;   in Loop: Header=BB29_14 Depth=1
	v_add_u32_e32 v3, 0, v234
	v_add_u32_e32 v6, v198, v234
	ds_read2_b32 v[4:5], v3 offset0:64 offset1:65
	ds_read2st64_b32 v[6:7], v6 offset1:17
	ds_read_b32 v8, v3 offset:4608
	v_readlane_b32 s38, v255, 45
	s_waitcnt lgkmcnt(1)
	v_cvt_f32_f16_e32 v10, v6
	v_cvt_f32_f16_sdwa v11, v6 dst_sel:DWORD dst_unused:UNUSED_PAD src0_sel:WORD_1
	v_cvt_f32_f16_e32 v6, v7
	v_cvt_f32_f16_sdwa v7, v7 dst_sel:DWORD dst_unused:UNUSED_PAD src0_sel:WORD_1
	v_mad_u64_u32 v[2:3], s[38:39], v2, s38, v[94:95]
	v_pk_fma_f32 v[10:11], v[4:5], v[10:11], 0 op_sel_hi:[0,1,0]
	s_waitcnt lgkmcnt(0)
	v_pk_fma_f32 v[6:7], v[8:9], v[6:7], v[10:11] op_sel_hi:[0,1,1]
	v_div_scale_f32 v4, s[38:39], v5, v5, v7
	v_rcp_f32_e32 v8, v4
	v_ashrrev_i32_e32 v3, 31, v2
	v_lshl_add_u64 v[2:3], v[2:3], 3, v[140:141]
	v_fma_f32 v9, -v4, v8, 1.0
	v_fmac_f32_e32 v8, v9, v8
	v_div_scale_f32 v9, vcc, v7, v5, v7
	v_mul_f32_e32 v10, v9, v8
	v_fma_f32 v11, -v4, v10, v9
	v_fmac_f32_e32 v10, v11, v8
	v_fma_f32 v4, -v4, v10, v9
	v_div_fmas_f32 v4, v4, v8, v10
	v_div_fixup_f32 v7, v4, v5, v7
	v_div_scale_f32 v4, s[38:39], v5, v5, v6
	v_rcp_f32_e32 v8, v4
	s_nop 0
	v_fma_f32 v9, -v4, v8, 1.0
	v_fmac_f32_e32 v8, v9, v8
	v_div_scale_f32 v9, vcc, v6, v5, v6
	v_mul_f32_e32 v10, v9, v8
	v_fma_f32 v11, -v4, v10, v9
	v_fmac_f32_e32 v10, v11, v8
	v_fma_f32 v4, -v4, v10, v9
	v_div_fmas_f32 v4, v4, v8, v10
	v_div_fixup_f32 v6, v4, v5, v6
	global_store_dwordx2 v[2:3], v[6:7], off
	v_mov_b32_e32 v3, 0
.LBB29_324:                             ;   in Loop: Header=BB29_14 Depth=1
	s_or_b64 exec, exec, s[6:7]
	v_cmp_gt_i32_e32 vcc, s44, v3
	s_mov_b64 s[6:7], -1
	s_and_saveexec_b64 s[38:39], vcc
; %bb.325:                              ;   in Loop: Header=BB29_14 Depth=1
	v_cmp_eq_u32_e32 vcc, 0, v3
	s_orn2_b64 s[6:7], vcc, exec
; %bb.326:                              ;   in Loop: Header=BB29_14 Depth=1
	s_or_b64 exec, exec, s[38:39]
	s_and_b64 exec, exec, s[6:7]
	;; [unrolled: 61-line block ×3, first 2 shown]
	s_cbranch_execz .LBB29_394
; %bb.332:                              ;   in Loop: Header=BB29_14 Depth=1
	v_add_u32_e32 v2, 12, v207
	v_add_u32_e32 v2, v2, v211
	v_cmp_gt_i32_e32 vcc, s80, v2
	v_mov_b32_e32 v3, 0x47
	s_and_saveexec_b64 s[6:7], vcc
	s_cbranch_execz .LBB29_334
; %bb.333:                              ;   in Loop: Header=BB29_14 Depth=1
	scratch_load_dword v6, off, off offset:80 ; 4-byte Folded Reload
	v_readlane_b32 s38, v255, 45
	s_waitcnt vmcnt(0)
	v_add_u32_e32 v3, 0, v6
	v_add_u32_e32 v6, v198, v6
	ds_read2_b32 v[4:5], v3 offset0:64 offset1:65
	ds_read2st64_b32 v[6:7], v6 offset1:17
	ds_read_b32 v8, v3 offset:4608
	v_mad_u64_u32 v[2:3], s[38:39], v2, s38, v[94:95]
	v_ashrrev_i32_e32 v3, 31, v2
	s_waitcnt lgkmcnt(1)
	v_cvt_f32_f16_e32 v10, v6
	v_cvt_f32_f16_sdwa v11, v6 dst_sel:DWORD dst_unused:UNUSED_PAD src0_sel:WORD_1
	v_cvt_f32_f16_e32 v6, v7
	v_cvt_f32_f16_sdwa v7, v7 dst_sel:DWORD dst_unused:UNUSED_PAD src0_sel:WORD_1
	v_lshl_add_u64 v[2:3], v[2:3], 3, v[140:141]
	v_pk_fma_f32 v[10:11], v[4:5], v[10:11], 0 op_sel_hi:[0,1,0]
	s_waitcnt lgkmcnt(0)
	v_pk_fma_f32 v[6:7], v[8:9], v[6:7], v[10:11] op_sel_hi:[0,1,1]
	v_div_scale_f32 v4, s[38:39], v5, v5, v7
	v_rcp_f32_e32 v8, v4
	s_nop 0
	v_fma_f32 v9, -v4, v8, 1.0
	v_fmac_f32_e32 v8, v9, v8
	v_div_scale_f32 v9, vcc, v7, v5, v7
	v_mul_f32_e32 v10, v9, v8
	v_fma_f32 v11, -v4, v10, v9
	v_fmac_f32_e32 v10, v11, v8
	v_fma_f32 v4, -v4, v10, v9
	v_div_fmas_f32 v4, v4, v8, v10
	v_div_fixup_f32 v7, v4, v5, v7
	v_div_scale_f32 v4, s[38:39], v5, v5, v6
	v_rcp_f32_e32 v8, v4
	s_nop 0
	v_fma_f32 v9, -v4, v8, 1.0
	v_fmac_f32_e32 v8, v9, v8
	v_div_scale_f32 v9, vcc, v6, v5, v6
	v_mul_f32_e32 v10, v9, v8
	v_fma_f32 v11, -v4, v10, v9
	v_fmac_f32_e32 v10, v11, v8
	v_fma_f32 v4, -v4, v10, v9
	v_div_fmas_f32 v4, v4, v8, v10
	v_div_fixup_f32 v6, v4, v5, v6
	global_store_dwordx2 v[2:3], v[6:7], off
	v_mov_b32_e32 v3, 0
.LBB29_334:                             ;   in Loop: Header=BB29_14 Depth=1
	s_or_b64 exec, exec, s[6:7]
	v_cmp_gt_i32_e32 vcc, s44, v3
	s_mov_b64 s[6:7], -1
	s_and_saveexec_b64 s[38:39], vcc
; %bb.335:                              ;   in Loop: Header=BB29_14 Depth=1
	v_cmp_eq_u32_e32 vcc, 0, v3
	s_orn2_b64 s[6:7], vcc, exec
; %bb.336:                              ;   in Loop: Header=BB29_14 Depth=1
	s_or_b64 exec, exec, s[38:39]
	s_and_b64 exec, exec, s[6:7]
	s_cbranch_execz .LBB29_394
; %bb.337:                              ;   in Loop: Header=BB29_14 Depth=1
	v_add_u32_e32 v2, 16, v207
	v_add_u32_e32 v2, v2, v211
	v_cmp_gt_i32_e32 vcc, s80, v2
	v_mov_b32_e32 v3, 0x47
	s_and_saveexec_b64 s[6:7], vcc
	s_cbranch_execz .LBB29_339
; %bb.338:                              ;   in Loop: Header=BB29_14 Depth=1
	scratch_load_dword v6, off, off offset:84 ; 4-byte Folded Reload
	v_readlane_b32 s38, v255, 45
	s_waitcnt vmcnt(0)
	v_add_u32_e32 v3, 0, v6
	v_add_u32_e32 v6, v198, v6
	ds_read2_b32 v[4:5], v3 offset0:64 offset1:65
	ds_read2st64_b32 v[6:7], v6 offset1:17
	ds_read_b32 v8, v3 offset:4608
	v_mad_u64_u32 v[2:3], s[38:39], v2, s38, v[94:95]
	v_ashrrev_i32_e32 v3, 31, v2
	s_waitcnt lgkmcnt(1)
	v_cvt_f32_f16_e32 v10, v6
	v_cvt_f32_f16_sdwa v11, v6 dst_sel:DWORD dst_unused:UNUSED_PAD src0_sel:WORD_1
	v_cvt_f32_f16_e32 v6, v7
	v_cvt_f32_f16_sdwa v7, v7 dst_sel:DWORD dst_unused:UNUSED_PAD src0_sel:WORD_1
	v_lshl_add_u64 v[2:3], v[2:3], 3, v[140:141]
	v_pk_fma_f32 v[10:11], v[4:5], v[10:11], 0 op_sel_hi:[0,1,0]
	s_waitcnt lgkmcnt(0)
	v_pk_fma_f32 v[6:7], v[8:9], v[6:7], v[10:11] op_sel_hi:[0,1,1]
	v_div_scale_f32 v4, s[38:39], v5, v5, v7
	v_rcp_f32_e32 v8, v4
	s_nop 0
	v_fma_f32 v9, -v4, v8, 1.0
	v_fmac_f32_e32 v8, v9, v8
	v_div_scale_f32 v9, vcc, v7, v5, v7
	v_mul_f32_e32 v10, v9, v8
	v_fma_f32 v11, -v4, v10, v9
	v_fmac_f32_e32 v10, v11, v8
	v_fma_f32 v4, -v4, v10, v9
	v_div_fmas_f32 v4, v4, v8, v10
	v_div_fixup_f32 v7, v4, v5, v7
	v_div_scale_f32 v4, s[38:39], v5, v5, v6
	v_rcp_f32_e32 v8, v4
	s_nop 0
	v_fma_f32 v9, -v4, v8, 1.0
	v_fmac_f32_e32 v8, v9, v8
	v_div_scale_f32 v9, vcc, v6, v5, v6
	v_mul_f32_e32 v10, v9, v8
	v_fma_f32 v11, -v4, v10, v9
	v_fmac_f32_e32 v10, v11, v8
	v_fma_f32 v4, -v4, v10, v9
	v_div_fmas_f32 v4, v4, v8, v10
	v_div_fixup_f32 v6, v4, v5, v6
	global_store_dwordx2 v[2:3], v[6:7], off
	v_mov_b32_e32 v3, 0
.LBB29_339:                             ;   in Loop: Header=BB29_14 Depth=1
	s_or_b64 exec, exec, s[6:7]
	v_cmp_gt_i32_e32 vcc, s44, v3
	s_mov_b64 s[6:7], -1
	s_and_saveexec_b64 s[38:39], vcc
; %bb.340:                              ;   in Loop: Header=BB29_14 Depth=1
	v_cmp_eq_u32_e32 vcc, 0, v3
	s_orn2_b64 s[6:7], vcc, exec
; %bb.341:                              ;   in Loop: Header=BB29_14 Depth=1
	s_or_b64 exec, exec, s[38:39]
	s_and_b64 exec, exec, s[6:7]
	s_cbranch_execz .LBB29_394
; %bb.342:                              ;   in Loop: Header=BB29_14 Depth=1
	v_add_u32_e32 v2, 20, v207
	v_add_u32_e32 v2, v2, v211
	v_cmp_gt_i32_e32 vcc, s80, v2
	v_mov_b32_e32 v3, 0x47
	s_and_saveexec_b64 s[6:7], vcc
	s_cbranch_execz .LBB29_344
; %bb.343:                              ;   in Loop: Header=BB29_14 Depth=1
	scratch_load_dword v6, off, off offset:92 ; 4-byte Folded Reload
	v_readlane_b32 s38, v255, 45
	s_waitcnt vmcnt(0)
	v_add_u32_e32 v3, 0, v6
	v_add_u32_e32 v6, v198, v6
	ds_read2_b32 v[4:5], v3 offset0:64 offset1:65
	ds_read2st64_b32 v[6:7], v6 offset1:17
	ds_read_b32 v8, v3 offset:4608
	v_mad_u64_u32 v[2:3], s[38:39], v2, s38, v[94:95]
	v_ashrrev_i32_e32 v3, 31, v2
	s_waitcnt lgkmcnt(1)
	v_cvt_f32_f16_e32 v10, v6
	v_cvt_f32_f16_sdwa v11, v6 dst_sel:DWORD dst_unused:UNUSED_PAD src0_sel:WORD_1
	v_cvt_f32_f16_e32 v6, v7
	v_cvt_f32_f16_sdwa v7, v7 dst_sel:DWORD dst_unused:UNUSED_PAD src0_sel:WORD_1
	v_lshl_add_u64 v[2:3], v[2:3], 3, v[140:141]
	v_pk_fma_f32 v[10:11], v[4:5], v[10:11], 0 op_sel_hi:[0,1,0]
	s_waitcnt lgkmcnt(0)
	v_pk_fma_f32 v[6:7], v[8:9], v[6:7], v[10:11] op_sel_hi:[0,1,1]
	v_div_scale_f32 v4, s[38:39], v5, v5, v7
	v_rcp_f32_e32 v8, v4
	s_nop 0
	v_fma_f32 v9, -v4, v8, 1.0
	v_fmac_f32_e32 v8, v9, v8
	v_div_scale_f32 v9, vcc, v7, v5, v7
	v_mul_f32_e32 v10, v9, v8
	v_fma_f32 v11, -v4, v10, v9
	v_fmac_f32_e32 v10, v11, v8
	v_fma_f32 v4, -v4, v10, v9
	v_div_fmas_f32 v4, v4, v8, v10
	v_div_fixup_f32 v7, v4, v5, v7
	v_div_scale_f32 v4, s[38:39], v5, v5, v6
	v_rcp_f32_e32 v8, v4
	s_nop 0
	v_fma_f32 v9, -v4, v8, 1.0
	v_fmac_f32_e32 v8, v9, v8
	v_div_scale_f32 v9, vcc, v6, v5, v6
	v_mul_f32_e32 v10, v9, v8
	v_fma_f32 v11, -v4, v10, v9
	v_fmac_f32_e32 v10, v11, v8
	v_fma_f32 v4, -v4, v10, v9
	v_div_fmas_f32 v4, v4, v8, v10
	v_div_fixup_f32 v6, v4, v5, v6
	global_store_dwordx2 v[2:3], v[6:7], off
	v_mov_b32_e32 v3, 0
.LBB29_344:                             ;   in Loop: Header=BB29_14 Depth=1
	s_or_b64 exec, exec, s[6:7]
	v_cmp_gt_i32_e32 vcc, s44, v3
	s_mov_b64 s[6:7], -1
	s_and_saveexec_b64 s[38:39], vcc
; %bb.345:                              ;   in Loop: Header=BB29_14 Depth=1
	v_cmp_eq_u32_e32 vcc, 0, v3
	s_orn2_b64 s[6:7], vcc, exec
; %bb.346:                              ;   in Loop: Header=BB29_14 Depth=1
	s_or_b64 exec, exec, s[38:39]
	s_and_b64 exec, exec, s[6:7]
	s_cbranch_execz .LBB29_394
; %bb.347:                              ;   in Loop: Header=BB29_14 Depth=1
	v_add_u32_e32 v2, 24, v207
	v_add_u32_e32 v2, v2, v211
	v_cmp_gt_i32_e32 vcc, s80, v2
	v_mov_b32_e32 v3, 0x47
	s_and_saveexec_b64 s[6:7], vcc
	s_cbranch_execz .LBB29_349
; %bb.348:                              ;   in Loop: Header=BB29_14 Depth=1
	scratch_load_dword v6, off, off offset:96 ; 4-byte Folded Reload
	v_readlane_b32 s38, v255, 45
	s_waitcnt vmcnt(0)
	v_add_u32_e32 v3, 0, v6
	v_add_u32_e32 v6, v198, v6
	ds_read2_b32 v[4:5], v3 offset0:64 offset1:65
	ds_read2st64_b32 v[6:7], v6 offset1:17
	ds_read_b32 v8, v3 offset:4608
	v_mad_u64_u32 v[2:3], s[38:39], v2, s38, v[94:95]
	v_ashrrev_i32_e32 v3, 31, v2
	s_waitcnt lgkmcnt(1)
	v_cvt_f32_f16_e32 v10, v6
	v_cvt_f32_f16_sdwa v11, v6 dst_sel:DWORD dst_unused:UNUSED_PAD src0_sel:WORD_1
	v_cvt_f32_f16_e32 v6, v7
	v_cvt_f32_f16_sdwa v7, v7 dst_sel:DWORD dst_unused:UNUSED_PAD src0_sel:WORD_1
	v_lshl_add_u64 v[2:3], v[2:3], 3, v[140:141]
	v_pk_fma_f32 v[10:11], v[4:5], v[10:11], 0 op_sel_hi:[0,1,0]
	s_waitcnt lgkmcnt(0)
	v_pk_fma_f32 v[6:7], v[8:9], v[6:7], v[10:11] op_sel_hi:[0,1,1]
	v_div_scale_f32 v4, s[38:39], v5, v5, v7
	v_rcp_f32_e32 v8, v4
	s_nop 0
	v_fma_f32 v9, -v4, v8, 1.0
	v_fmac_f32_e32 v8, v9, v8
	v_div_scale_f32 v9, vcc, v7, v5, v7
	v_mul_f32_e32 v10, v9, v8
	v_fma_f32 v11, -v4, v10, v9
	v_fmac_f32_e32 v10, v11, v8
	v_fma_f32 v4, -v4, v10, v9
	v_div_fmas_f32 v4, v4, v8, v10
	v_div_fixup_f32 v7, v4, v5, v7
	v_div_scale_f32 v4, s[38:39], v5, v5, v6
	v_rcp_f32_e32 v8, v4
	s_nop 0
	v_fma_f32 v9, -v4, v8, 1.0
	v_fmac_f32_e32 v8, v9, v8
	v_div_scale_f32 v9, vcc, v6, v5, v6
	v_mul_f32_e32 v10, v9, v8
	v_fma_f32 v11, -v4, v10, v9
	v_fmac_f32_e32 v10, v11, v8
	v_fma_f32 v4, -v4, v10, v9
	v_div_fmas_f32 v4, v4, v8, v10
	v_div_fixup_f32 v6, v4, v5, v6
	global_store_dwordx2 v[2:3], v[6:7], off
	v_mov_b32_e32 v3, 0
.LBB29_349:                             ;   in Loop: Header=BB29_14 Depth=1
	s_or_b64 exec, exec, s[6:7]
	v_cmp_gt_i32_e32 vcc, s44, v3
	s_mov_b64 s[6:7], -1
	s_and_saveexec_b64 s[38:39], vcc
; %bb.350:                              ;   in Loop: Header=BB29_14 Depth=1
	v_cmp_eq_u32_e32 vcc, 0, v3
	s_orn2_b64 s[6:7], vcc, exec
; %bb.351:                              ;   in Loop: Header=BB29_14 Depth=1
	s_or_b64 exec, exec, s[38:39]
	s_and_b64 exec, exec, s[6:7]
	s_cbranch_execz .LBB29_394
; %bb.352:                              ;   in Loop: Header=BB29_14 Depth=1
	v_add_u32_e32 v2, 28, v207
	v_add_u32_e32 v2, v2, v211
	v_cmp_gt_i32_e32 vcc, s80, v2
	v_mov_b32_e32 v3, 0x47
	s_and_saveexec_b64 s[6:7], vcc
	s_cbranch_execz .LBB29_354
; %bb.353:                              ;   in Loop: Header=BB29_14 Depth=1
	scratch_load_dword v6, off, off offset:100 ; 4-byte Folded Reload
	v_readlane_b32 s38, v255, 45
	s_waitcnt vmcnt(0)
	v_add_u32_e32 v3, 0, v6
	v_add_u32_e32 v6, v198, v6
	ds_read2_b32 v[4:5], v3 offset0:64 offset1:65
	ds_read2st64_b32 v[6:7], v6 offset1:17
	ds_read_b32 v8, v3 offset:4608
	v_mad_u64_u32 v[2:3], s[38:39], v2, s38, v[94:95]
	v_ashrrev_i32_e32 v3, 31, v2
	s_waitcnt lgkmcnt(1)
	v_cvt_f32_f16_e32 v10, v6
	v_cvt_f32_f16_sdwa v11, v6 dst_sel:DWORD dst_unused:UNUSED_PAD src0_sel:WORD_1
	v_cvt_f32_f16_e32 v6, v7
	v_cvt_f32_f16_sdwa v7, v7 dst_sel:DWORD dst_unused:UNUSED_PAD src0_sel:WORD_1
	v_lshl_add_u64 v[2:3], v[2:3], 3, v[140:141]
	v_pk_fma_f32 v[10:11], v[4:5], v[10:11], 0 op_sel_hi:[0,1,0]
	s_waitcnt lgkmcnt(0)
	v_pk_fma_f32 v[6:7], v[8:9], v[6:7], v[10:11] op_sel_hi:[0,1,1]
	v_div_scale_f32 v4, s[38:39], v5, v5, v7
	v_rcp_f32_e32 v8, v4
	s_nop 0
	v_fma_f32 v9, -v4, v8, 1.0
	v_fmac_f32_e32 v8, v9, v8
	v_div_scale_f32 v9, vcc, v7, v5, v7
	v_mul_f32_e32 v10, v9, v8
	v_fma_f32 v11, -v4, v10, v9
	v_fmac_f32_e32 v10, v11, v8
	v_fma_f32 v4, -v4, v10, v9
	v_div_fmas_f32 v4, v4, v8, v10
	v_div_fixup_f32 v7, v4, v5, v7
	v_div_scale_f32 v4, s[38:39], v5, v5, v6
	v_rcp_f32_e32 v8, v4
	s_nop 0
	v_fma_f32 v9, -v4, v8, 1.0
	v_fmac_f32_e32 v8, v9, v8
	v_div_scale_f32 v9, vcc, v6, v5, v6
	v_mul_f32_e32 v10, v9, v8
	v_fma_f32 v11, -v4, v10, v9
	v_fmac_f32_e32 v10, v11, v8
	v_fma_f32 v4, -v4, v10, v9
	v_div_fmas_f32 v4, v4, v8, v10
	v_div_fixup_f32 v6, v4, v5, v6
	global_store_dwordx2 v[2:3], v[6:7], off
	v_mov_b32_e32 v3, 0
.LBB29_354:                             ;   in Loop: Header=BB29_14 Depth=1
	s_or_b64 exec, exec, s[6:7]
	v_cmp_gt_i32_e32 vcc, s44, v3
	s_mov_b64 s[6:7], -1
	s_and_saveexec_b64 s[38:39], vcc
; %bb.355:                              ;   in Loop: Header=BB29_14 Depth=1
	v_cmp_eq_u32_e32 vcc, 0, v3
	s_orn2_b64 s[6:7], vcc, exec
; %bb.356:                              ;   in Loop: Header=BB29_14 Depth=1
	s_or_b64 exec, exec, s[38:39]
	s_and_b64 exec, exec, s[6:7]
	s_cbranch_execz .LBB29_394
; %bb.357:                              ;   in Loop: Header=BB29_14 Depth=1
	v_add_u32_e32 v2, 32, v207
	v_add_u32_e32 v2, v2, v211
	v_cmp_gt_i32_e32 vcc, s80, v2
	v_mov_b32_e32 v3, 0x47
	s_and_saveexec_b64 s[6:7], vcc
	s_cbranch_execz .LBB29_359
; %bb.358:                              ;   in Loop: Header=BB29_14 Depth=1
	scratch_load_dword v6, off, off offset:104 ; 4-byte Folded Reload
	v_readlane_b32 s38, v255, 45
	s_waitcnt vmcnt(0)
	v_add_u32_e32 v3, 0, v6
	v_add_u32_e32 v6, v198, v6
	ds_read2_b32 v[4:5], v3 offset0:64 offset1:65
	ds_read2st64_b32 v[6:7], v6 offset1:17
	ds_read_b32 v8, v3 offset:4608
	v_mad_u64_u32 v[2:3], s[38:39], v2, s38, v[94:95]
	v_ashrrev_i32_e32 v3, 31, v2
	s_waitcnt lgkmcnt(1)
	v_cvt_f32_f16_e32 v10, v6
	v_cvt_f32_f16_sdwa v11, v6 dst_sel:DWORD dst_unused:UNUSED_PAD src0_sel:WORD_1
	v_cvt_f32_f16_e32 v6, v7
	v_cvt_f32_f16_sdwa v7, v7 dst_sel:DWORD dst_unused:UNUSED_PAD src0_sel:WORD_1
	v_lshl_add_u64 v[2:3], v[2:3], 3, v[140:141]
	v_pk_fma_f32 v[10:11], v[4:5], v[10:11], 0 op_sel_hi:[0,1,0]
	s_waitcnt lgkmcnt(0)
	v_pk_fma_f32 v[6:7], v[8:9], v[6:7], v[10:11] op_sel_hi:[0,1,1]
	v_div_scale_f32 v4, s[38:39], v5, v5, v7
	v_rcp_f32_e32 v8, v4
	s_nop 0
	v_fma_f32 v9, -v4, v8, 1.0
	v_fmac_f32_e32 v8, v9, v8
	v_div_scale_f32 v9, vcc, v7, v5, v7
	v_mul_f32_e32 v10, v9, v8
	v_fma_f32 v11, -v4, v10, v9
	v_fmac_f32_e32 v10, v11, v8
	v_fma_f32 v4, -v4, v10, v9
	v_div_fmas_f32 v4, v4, v8, v10
	v_div_fixup_f32 v7, v4, v5, v7
	v_div_scale_f32 v4, s[38:39], v5, v5, v6
	v_rcp_f32_e32 v8, v4
	s_nop 0
	v_fma_f32 v9, -v4, v8, 1.0
	v_fmac_f32_e32 v8, v9, v8
	v_div_scale_f32 v9, vcc, v6, v5, v6
	v_mul_f32_e32 v10, v9, v8
	v_fma_f32 v11, -v4, v10, v9
	v_fmac_f32_e32 v10, v11, v8
	v_fma_f32 v4, -v4, v10, v9
	v_div_fmas_f32 v4, v4, v8, v10
	v_div_fixup_f32 v6, v4, v5, v6
	global_store_dwordx2 v[2:3], v[6:7], off
	v_mov_b32_e32 v3, 0
.LBB29_359:                             ;   in Loop: Header=BB29_14 Depth=1
	s_or_b64 exec, exec, s[6:7]
	v_cmp_gt_i32_e32 vcc, s44, v3
	s_mov_b64 s[6:7], -1
	s_and_saveexec_b64 s[38:39], vcc
; %bb.360:                              ;   in Loop: Header=BB29_14 Depth=1
	v_cmp_eq_u32_e32 vcc, 0, v3
	s_orn2_b64 s[6:7], vcc, exec
; %bb.361:                              ;   in Loop: Header=BB29_14 Depth=1
	s_or_b64 exec, exec, s[38:39]
	s_and_b64 exec, exec, s[6:7]
	s_cbranch_execz .LBB29_394
; %bb.362:                              ;   in Loop: Header=BB29_14 Depth=1
	v_add_u32_e32 v2, 36, v207
	v_add_u32_e32 v2, v2, v211
	v_cmp_gt_i32_e32 vcc, s80, v2
	v_mov_b32_e32 v3, 0x47
	s_and_saveexec_b64 s[6:7], vcc
	s_cbranch_execz .LBB29_364
; %bb.363:                              ;   in Loop: Header=BB29_14 Depth=1
	scratch_load_dword v6, off, off offset:108 ; 4-byte Folded Reload
	v_readlane_b32 s38, v255, 45
	s_waitcnt vmcnt(0)
	v_add_u32_e32 v3, 0, v6
	v_add_u32_e32 v6, v198, v6
	ds_read2_b32 v[4:5], v3 offset0:64 offset1:65
	ds_read2st64_b32 v[6:7], v6 offset1:17
	ds_read_b32 v8, v3 offset:4608
	v_mad_u64_u32 v[2:3], s[38:39], v2, s38, v[94:95]
	v_ashrrev_i32_e32 v3, 31, v2
	s_waitcnt lgkmcnt(1)
	v_cvt_f32_f16_e32 v10, v6
	v_cvt_f32_f16_sdwa v11, v6 dst_sel:DWORD dst_unused:UNUSED_PAD src0_sel:WORD_1
	v_cvt_f32_f16_e32 v6, v7
	v_cvt_f32_f16_sdwa v7, v7 dst_sel:DWORD dst_unused:UNUSED_PAD src0_sel:WORD_1
	v_lshl_add_u64 v[2:3], v[2:3], 3, v[140:141]
	v_pk_fma_f32 v[10:11], v[4:5], v[10:11], 0 op_sel_hi:[0,1,0]
	s_waitcnt lgkmcnt(0)
	v_pk_fma_f32 v[6:7], v[8:9], v[6:7], v[10:11] op_sel_hi:[0,1,1]
	v_div_scale_f32 v4, s[38:39], v5, v5, v7
	v_rcp_f32_e32 v8, v4
	s_nop 0
	v_fma_f32 v9, -v4, v8, 1.0
	v_fmac_f32_e32 v8, v9, v8
	v_div_scale_f32 v9, vcc, v7, v5, v7
	v_mul_f32_e32 v10, v9, v8
	v_fma_f32 v11, -v4, v10, v9
	v_fmac_f32_e32 v10, v11, v8
	v_fma_f32 v4, -v4, v10, v9
	v_div_fmas_f32 v4, v4, v8, v10
	v_div_fixup_f32 v7, v4, v5, v7
	v_div_scale_f32 v4, s[38:39], v5, v5, v6
	v_rcp_f32_e32 v8, v4
	s_nop 0
	v_fma_f32 v9, -v4, v8, 1.0
	v_fmac_f32_e32 v8, v9, v8
	v_div_scale_f32 v9, vcc, v6, v5, v6
	v_mul_f32_e32 v10, v9, v8
	v_fma_f32 v11, -v4, v10, v9
	v_fmac_f32_e32 v10, v11, v8
	v_fma_f32 v4, -v4, v10, v9
	v_div_fmas_f32 v4, v4, v8, v10
	v_div_fixup_f32 v6, v4, v5, v6
	global_store_dwordx2 v[2:3], v[6:7], off
	v_mov_b32_e32 v3, 0
.LBB29_364:                             ;   in Loop: Header=BB29_14 Depth=1
	s_or_b64 exec, exec, s[6:7]
	v_cmp_gt_i32_e32 vcc, s44, v3
	s_mov_b64 s[6:7], -1
	s_and_saveexec_b64 s[38:39], vcc
; %bb.365:                              ;   in Loop: Header=BB29_14 Depth=1
	v_cmp_eq_u32_e32 vcc, 0, v3
	s_orn2_b64 s[6:7], vcc, exec
; %bb.366:                              ;   in Loop: Header=BB29_14 Depth=1
	s_or_b64 exec, exec, s[38:39]
	s_and_b64 exec, exec, s[6:7]
	s_cbranch_execz .LBB29_394
; %bb.367:                              ;   in Loop: Header=BB29_14 Depth=1
	v_add_u32_e32 v2, 40, v207
	v_add_u32_e32 v2, v2, v211
	v_cmp_gt_i32_e32 vcc, s80, v2
	v_mov_b32_e32 v3, 0x47
	s_and_saveexec_b64 s[6:7], vcc
	s_cbranch_execz .LBB29_369
; %bb.368:                              ;   in Loop: Header=BB29_14 Depth=1
	scratch_load_dword v6, off, off offset:112 ; 4-byte Folded Reload
	v_readlane_b32 s38, v255, 45
	s_waitcnt vmcnt(0)
	v_add_u32_e32 v3, 0, v6
	v_add_u32_e32 v6, v198, v6
	ds_read2_b32 v[4:5], v3 offset0:64 offset1:65
	ds_read2st64_b32 v[6:7], v6 offset1:17
	ds_read_b32 v8, v3 offset:4608
	v_mad_u64_u32 v[2:3], s[38:39], v2, s38, v[94:95]
	v_ashrrev_i32_e32 v3, 31, v2
	s_waitcnt lgkmcnt(1)
	v_cvt_f32_f16_e32 v10, v6
	v_cvt_f32_f16_sdwa v11, v6 dst_sel:DWORD dst_unused:UNUSED_PAD src0_sel:WORD_1
	v_cvt_f32_f16_e32 v6, v7
	v_cvt_f32_f16_sdwa v7, v7 dst_sel:DWORD dst_unused:UNUSED_PAD src0_sel:WORD_1
	v_lshl_add_u64 v[2:3], v[2:3], 3, v[140:141]
	v_pk_fma_f32 v[10:11], v[4:5], v[10:11], 0 op_sel_hi:[0,1,0]
	s_waitcnt lgkmcnt(0)
	v_pk_fma_f32 v[6:7], v[8:9], v[6:7], v[10:11] op_sel_hi:[0,1,1]
	v_div_scale_f32 v4, s[38:39], v5, v5, v7
	v_rcp_f32_e32 v8, v4
	s_nop 0
	v_fma_f32 v9, -v4, v8, 1.0
	v_fmac_f32_e32 v8, v9, v8
	v_div_scale_f32 v9, vcc, v7, v5, v7
	v_mul_f32_e32 v10, v9, v8
	v_fma_f32 v11, -v4, v10, v9
	v_fmac_f32_e32 v10, v11, v8
	v_fma_f32 v4, -v4, v10, v9
	v_div_fmas_f32 v4, v4, v8, v10
	v_div_fixup_f32 v7, v4, v5, v7
	v_div_scale_f32 v4, s[38:39], v5, v5, v6
	v_rcp_f32_e32 v8, v4
	s_nop 0
	v_fma_f32 v9, -v4, v8, 1.0
	v_fmac_f32_e32 v8, v9, v8
	v_div_scale_f32 v9, vcc, v6, v5, v6
	v_mul_f32_e32 v10, v9, v8
	v_fma_f32 v11, -v4, v10, v9
	v_fmac_f32_e32 v10, v11, v8
	v_fma_f32 v4, -v4, v10, v9
	v_div_fmas_f32 v4, v4, v8, v10
	v_div_fixup_f32 v6, v4, v5, v6
	global_store_dwordx2 v[2:3], v[6:7], off
	v_mov_b32_e32 v3, 0
.LBB29_369:                             ;   in Loop: Header=BB29_14 Depth=1
	s_or_b64 exec, exec, s[6:7]
	v_cmp_gt_i32_e32 vcc, s44, v3
	s_mov_b64 s[6:7], -1
	s_and_saveexec_b64 s[38:39], vcc
; %bb.370:                              ;   in Loop: Header=BB29_14 Depth=1
	v_cmp_eq_u32_e32 vcc, 0, v3
	s_orn2_b64 s[6:7], vcc, exec
; %bb.371:                              ;   in Loop: Header=BB29_14 Depth=1
	s_or_b64 exec, exec, s[38:39]
	s_and_b64 exec, exec, s[6:7]
	s_cbranch_execz .LBB29_394
; %bb.372:                              ;   in Loop: Header=BB29_14 Depth=1
	v_add_u32_e32 v2, 44, v207
	v_add_u32_e32 v2, v2, v211
	v_cmp_gt_i32_e32 vcc, s80, v2
	v_mov_b32_e32 v3, 0x47
	s_and_saveexec_b64 s[6:7], vcc
	s_cbranch_execz .LBB29_374
; %bb.373:                              ;   in Loop: Header=BB29_14 Depth=1
	scratch_load_dword v6, off, off offset:116 ; 4-byte Folded Reload
	v_readlane_b32 s38, v255, 45
	s_waitcnt vmcnt(0)
	v_add_u32_e32 v3, 0, v6
	v_add_u32_e32 v6, v198, v6
	ds_read2_b32 v[4:5], v3 offset0:64 offset1:65
	ds_read2st64_b32 v[6:7], v6 offset1:17
	ds_read_b32 v8, v3 offset:4608
	v_mad_u64_u32 v[2:3], s[38:39], v2, s38, v[94:95]
	v_ashrrev_i32_e32 v3, 31, v2
	s_waitcnt lgkmcnt(1)
	v_cvt_f32_f16_e32 v10, v6
	v_cvt_f32_f16_sdwa v11, v6 dst_sel:DWORD dst_unused:UNUSED_PAD src0_sel:WORD_1
	v_cvt_f32_f16_e32 v6, v7
	v_cvt_f32_f16_sdwa v7, v7 dst_sel:DWORD dst_unused:UNUSED_PAD src0_sel:WORD_1
	v_lshl_add_u64 v[2:3], v[2:3], 3, v[140:141]
	v_pk_fma_f32 v[10:11], v[4:5], v[10:11], 0 op_sel_hi:[0,1,0]
	s_waitcnt lgkmcnt(0)
	v_pk_fma_f32 v[6:7], v[8:9], v[6:7], v[10:11] op_sel_hi:[0,1,1]
	v_div_scale_f32 v4, s[38:39], v5, v5, v7
	v_rcp_f32_e32 v8, v4
	s_nop 0
	v_fma_f32 v9, -v4, v8, 1.0
	v_fmac_f32_e32 v8, v9, v8
	v_div_scale_f32 v9, vcc, v7, v5, v7
	v_mul_f32_e32 v10, v9, v8
	v_fma_f32 v11, -v4, v10, v9
	v_fmac_f32_e32 v10, v11, v8
	v_fma_f32 v4, -v4, v10, v9
	v_div_fmas_f32 v4, v4, v8, v10
	v_div_fixup_f32 v7, v4, v5, v7
	v_div_scale_f32 v4, s[38:39], v5, v5, v6
	v_rcp_f32_e32 v8, v4
	s_nop 0
	v_fma_f32 v9, -v4, v8, 1.0
	v_fmac_f32_e32 v8, v9, v8
	v_div_scale_f32 v9, vcc, v6, v5, v6
	v_mul_f32_e32 v10, v9, v8
	v_fma_f32 v11, -v4, v10, v9
	v_fmac_f32_e32 v10, v11, v8
	v_fma_f32 v4, -v4, v10, v9
	v_div_fmas_f32 v4, v4, v8, v10
	v_div_fixup_f32 v6, v4, v5, v6
	global_store_dwordx2 v[2:3], v[6:7], off
	v_mov_b32_e32 v3, 0
.LBB29_374:                             ;   in Loop: Header=BB29_14 Depth=1
	s_or_b64 exec, exec, s[6:7]
	v_cmp_gt_i32_e32 vcc, s44, v3
	s_mov_b64 s[6:7], -1
	s_and_saveexec_b64 s[38:39], vcc
; %bb.375:                              ;   in Loop: Header=BB29_14 Depth=1
	v_cmp_eq_u32_e32 vcc, 0, v3
	s_orn2_b64 s[6:7], vcc, exec
; %bb.376:                              ;   in Loop: Header=BB29_14 Depth=1
	s_or_b64 exec, exec, s[38:39]
	s_and_b64 exec, exec, s[6:7]
	s_cbranch_execz .LBB29_394
; %bb.377:                              ;   in Loop: Header=BB29_14 Depth=1
	v_add_u32_e32 v2, 48, v207
	v_add_u32_e32 v2, v2, v211
	v_cmp_gt_i32_e32 vcc, s80, v2
	v_mov_b32_e32 v3, 0x47
	s_and_saveexec_b64 s[6:7], vcc
	s_cbranch_execz .LBB29_379
; %bb.378:                              ;   in Loop: Header=BB29_14 Depth=1
	scratch_load_dword v6, off, off offset:120 ; 4-byte Folded Reload
	v_readlane_b32 s38, v255, 45
	s_waitcnt vmcnt(0)
	v_add_u32_e32 v3, 0, v6
	v_add_u32_e32 v6, v198, v6
	ds_read2_b32 v[4:5], v3 offset0:64 offset1:65
	ds_read2st64_b32 v[6:7], v6 offset1:17
	ds_read_b32 v8, v3 offset:4608
	v_mad_u64_u32 v[2:3], s[38:39], v2, s38, v[94:95]
	v_ashrrev_i32_e32 v3, 31, v2
	s_waitcnt lgkmcnt(1)
	v_cvt_f32_f16_e32 v10, v6
	v_cvt_f32_f16_sdwa v11, v6 dst_sel:DWORD dst_unused:UNUSED_PAD src0_sel:WORD_1
	v_cvt_f32_f16_e32 v6, v7
	v_cvt_f32_f16_sdwa v7, v7 dst_sel:DWORD dst_unused:UNUSED_PAD src0_sel:WORD_1
	v_lshl_add_u64 v[2:3], v[2:3], 3, v[140:141]
	v_pk_fma_f32 v[10:11], v[4:5], v[10:11], 0 op_sel_hi:[0,1,0]
	s_waitcnt lgkmcnt(0)
	v_pk_fma_f32 v[6:7], v[8:9], v[6:7], v[10:11] op_sel_hi:[0,1,1]
	v_div_scale_f32 v4, s[38:39], v5, v5, v7
	v_rcp_f32_e32 v8, v4
	s_nop 0
	v_fma_f32 v9, -v4, v8, 1.0
	v_fmac_f32_e32 v8, v9, v8
	v_div_scale_f32 v9, vcc, v7, v5, v7
	v_mul_f32_e32 v10, v9, v8
	v_fma_f32 v11, -v4, v10, v9
	v_fmac_f32_e32 v10, v11, v8
	v_fma_f32 v4, -v4, v10, v9
	v_div_fmas_f32 v4, v4, v8, v10
	v_div_fixup_f32 v7, v4, v5, v7
	v_div_scale_f32 v4, s[38:39], v5, v5, v6
	v_rcp_f32_e32 v8, v4
	s_nop 0
	v_fma_f32 v9, -v4, v8, 1.0
	v_fmac_f32_e32 v8, v9, v8
	v_div_scale_f32 v9, vcc, v6, v5, v6
	v_mul_f32_e32 v10, v9, v8
	v_fma_f32 v11, -v4, v10, v9
	v_fmac_f32_e32 v10, v11, v8
	v_fma_f32 v4, -v4, v10, v9
	v_div_fmas_f32 v4, v4, v8, v10
	v_div_fixup_f32 v6, v4, v5, v6
	global_store_dwordx2 v[2:3], v[6:7], off
	v_mov_b32_e32 v3, 0
.LBB29_379:                             ;   in Loop: Header=BB29_14 Depth=1
	s_or_b64 exec, exec, s[6:7]
	v_cmp_gt_i32_e32 vcc, s44, v3
	s_mov_b64 s[6:7], -1
	s_and_saveexec_b64 s[38:39], vcc
; %bb.380:                              ;   in Loop: Header=BB29_14 Depth=1
	v_cmp_eq_u32_e32 vcc, 0, v3
	s_orn2_b64 s[6:7], vcc, exec
; %bb.381:                              ;   in Loop: Header=BB29_14 Depth=1
	s_or_b64 exec, exec, s[38:39]
	s_and_b64 exec, exec, s[6:7]
	s_cbranch_execz .LBB29_394
; %bb.382:                              ;   in Loop: Header=BB29_14 Depth=1
	v_add_u32_e32 v2, 52, v207
	v_add_u32_e32 v2, v2, v211
	v_cmp_gt_i32_e32 vcc, s80, v2
	v_mov_b32_e32 v3, 0x47
	s_and_saveexec_b64 s[6:7], vcc
	s_cbranch_execz .LBB29_384
; %bb.383:                              ;   in Loop: Header=BB29_14 Depth=1
	scratch_load_dword v6, off, off offset:124 ; 4-byte Folded Reload
	v_readlane_b32 s38, v255, 45
	s_waitcnt vmcnt(0)
	v_add_u32_e32 v3, 0, v6
	v_add_u32_e32 v6, v198, v6
	ds_read2_b32 v[4:5], v3 offset0:64 offset1:65
	ds_read2st64_b32 v[6:7], v6 offset1:17
	ds_read_b32 v8, v3 offset:4608
	v_mad_u64_u32 v[2:3], s[38:39], v2, s38, v[94:95]
	v_ashrrev_i32_e32 v3, 31, v2
	s_waitcnt lgkmcnt(1)
	v_cvt_f32_f16_e32 v10, v6
	v_cvt_f32_f16_sdwa v11, v6 dst_sel:DWORD dst_unused:UNUSED_PAD src0_sel:WORD_1
	v_cvt_f32_f16_e32 v6, v7
	v_cvt_f32_f16_sdwa v7, v7 dst_sel:DWORD dst_unused:UNUSED_PAD src0_sel:WORD_1
	v_lshl_add_u64 v[2:3], v[2:3], 3, v[140:141]
	v_pk_fma_f32 v[10:11], v[4:5], v[10:11], 0 op_sel_hi:[0,1,0]
	s_waitcnt lgkmcnt(0)
	v_pk_fma_f32 v[6:7], v[8:9], v[6:7], v[10:11] op_sel_hi:[0,1,1]
	v_div_scale_f32 v4, s[38:39], v5, v5, v7
	v_rcp_f32_e32 v8, v4
	s_nop 0
	v_fma_f32 v9, -v4, v8, 1.0
	v_fmac_f32_e32 v8, v9, v8
	v_div_scale_f32 v9, vcc, v7, v5, v7
	v_mul_f32_e32 v10, v9, v8
	v_fma_f32 v11, -v4, v10, v9
	v_fmac_f32_e32 v10, v11, v8
	v_fma_f32 v4, -v4, v10, v9
	v_div_fmas_f32 v4, v4, v8, v10
	v_div_fixup_f32 v7, v4, v5, v7
	v_div_scale_f32 v4, s[38:39], v5, v5, v6
	v_rcp_f32_e32 v8, v4
	s_nop 0
	v_fma_f32 v9, -v4, v8, 1.0
	v_fmac_f32_e32 v8, v9, v8
	v_div_scale_f32 v9, vcc, v6, v5, v6
	v_mul_f32_e32 v10, v9, v8
	v_fma_f32 v11, -v4, v10, v9
	v_fmac_f32_e32 v10, v11, v8
	v_fma_f32 v4, -v4, v10, v9
	v_div_fmas_f32 v4, v4, v8, v10
	v_div_fixup_f32 v6, v4, v5, v6
	global_store_dwordx2 v[2:3], v[6:7], off
	v_mov_b32_e32 v3, 0
.LBB29_384:                             ;   in Loop: Header=BB29_14 Depth=1
	s_or_b64 exec, exec, s[6:7]
	v_cmp_gt_i32_e32 vcc, s44, v3
	s_mov_b64 s[6:7], -1
	s_and_saveexec_b64 s[38:39], vcc
; %bb.385:                              ;   in Loop: Header=BB29_14 Depth=1
	v_cmp_eq_u32_e32 vcc, 0, v3
	s_orn2_b64 s[6:7], vcc, exec
; %bb.386:                              ;   in Loop: Header=BB29_14 Depth=1
	s_or_b64 exec, exec, s[38:39]
	s_and_b64 exec, exec, s[6:7]
	s_cbranch_execz .LBB29_394
; %bb.387:                              ;   in Loop: Header=BB29_14 Depth=1
	v_add_u32_e32 v2, 56, v207
	v_add_u32_e32 v2, v2, v211
	v_cmp_gt_i32_e32 vcc, s80, v2
	v_mov_b32_e32 v3, 0x47
	s_and_saveexec_b64 s[6:7], vcc
	s_cbranch_execz .LBB29_389
; %bb.388:                              ;   in Loop: Header=BB29_14 Depth=1
	scratch_load_dword v6, off, off offset:128 ; 4-byte Folded Reload
	v_readlane_b32 s38, v255, 45
	s_waitcnt vmcnt(0)
	v_add_u32_e32 v3, 0, v6
	v_add_u32_e32 v6, v198, v6
	ds_read2_b32 v[4:5], v3 offset0:64 offset1:65
	ds_read2st64_b32 v[6:7], v6 offset1:17
	ds_read_b32 v8, v3 offset:4608
	v_mad_u64_u32 v[2:3], s[38:39], v2, s38, v[94:95]
	v_ashrrev_i32_e32 v3, 31, v2
	s_waitcnt lgkmcnt(1)
	v_cvt_f32_f16_e32 v10, v6
	v_cvt_f32_f16_sdwa v11, v6 dst_sel:DWORD dst_unused:UNUSED_PAD src0_sel:WORD_1
	v_cvt_f32_f16_e32 v6, v7
	v_cvt_f32_f16_sdwa v7, v7 dst_sel:DWORD dst_unused:UNUSED_PAD src0_sel:WORD_1
	v_lshl_add_u64 v[2:3], v[2:3], 3, v[140:141]
	v_pk_fma_f32 v[10:11], v[4:5], v[10:11], 0 op_sel_hi:[0,1,0]
	s_waitcnt lgkmcnt(0)
	v_pk_fma_f32 v[6:7], v[8:9], v[6:7], v[10:11] op_sel_hi:[0,1,1]
	v_div_scale_f32 v4, s[38:39], v5, v5, v7
	v_rcp_f32_e32 v8, v4
	s_nop 0
	v_fma_f32 v9, -v4, v8, 1.0
	v_fmac_f32_e32 v8, v9, v8
	v_div_scale_f32 v9, vcc, v7, v5, v7
	v_mul_f32_e32 v10, v9, v8
	v_fma_f32 v11, -v4, v10, v9
	v_fmac_f32_e32 v10, v11, v8
	v_fma_f32 v4, -v4, v10, v9
	v_div_fmas_f32 v4, v4, v8, v10
	v_div_fixup_f32 v7, v4, v5, v7
	v_div_scale_f32 v4, s[38:39], v5, v5, v6
	v_rcp_f32_e32 v8, v4
	s_nop 0
	v_fma_f32 v9, -v4, v8, 1.0
	v_fmac_f32_e32 v8, v9, v8
	v_div_scale_f32 v9, vcc, v6, v5, v6
	v_mul_f32_e32 v10, v9, v8
	v_fma_f32 v11, -v4, v10, v9
	v_fmac_f32_e32 v10, v11, v8
	v_fma_f32 v4, -v4, v10, v9
	v_div_fmas_f32 v4, v4, v8, v10
	v_div_fixup_f32 v6, v4, v5, v6
	global_store_dwordx2 v[2:3], v[6:7], off
	v_mov_b32_e32 v3, 0
.LBB29_389:                             ;   in Loop: Header=BB29_14 Depth=1
	s_or_b64 exec, exec, s[6:7]
	v_cmp_gt_i32_e32 vcc, s44, v3
	s_mov_b64 s[6:7], -1
	s_and_saveexec_b64 s[38:39], vcc
; %bb.390:                              ;   in Loop: Header=BB29_14 Depth=1
	v_cmp_eq_u32_e32 vcc, 0, v3
	s_orn2_b64 s[6:7], vcc, exec
; %bb.391:                              ;   in Loop: Header=BB29_14 Depth=1
	s_or_b64 exec, exec, s[38:39]
	s_and_b64 exec, exec, s[6:7]
	s_cbranch_execz .LBB29_394
; %bb.392:                              ;   in Loop: Header=BB29_14 Depth=1
	v_add_u32_e32 v2, 60, v207
	v_add_u32_e32 v2, v2, v211
	v_cmp_gt_i32_e32 vcc, s80, v2
	s_and_b64 exec, exec, vcc
	s_cbranch_execz .LBB29_394
; %bb.393:                              ;   in Loop: Header=BB29_14 Depth=1
	scratch_load_dword v6, off, off offset:132 ; 4-byte Folded Reload
	v_readlane_b32 s6, v255, 45
	s_waitcnt vmcnt(0)
	v_add_u32_e32 v3, 0, v6
	v_add_u32_e32 v6, v198, v6
	ds_read2_b32 v[4:5], v3 offset0:64 offset1:65
	ds_read2st64_b32 v[6:7], v6 offset1:17
	ds_read_b32 v8, v3 offset:4608
	v_mad_u64_u32 v[2:3], s[6:7], v2, s6, v[94:95]
	v_ashrrev_i32_e32 v3, 31, v2
	s_waitcnt lgkmcnt(1)
	v_cvt_f32_f16_e32 v10, v6
	v_cvt_f32_f16_sdwa v11, v6 dst_sel:DWORD dst_unused:UNUSED_PAD src0_sel:WORD_1
	v_cvt_f32_f16_e32 v6, v7
	v_cvt_f32_f16_sdwa v7, v7 dst_sel:DWORD dst_unused:UNUSED_PAD src0_sel:WORD_1
	v_lshl_add_u64 v[2:3], v[2:3], 3, v[140:141]
	v_pk_fma_f32 v[10:11], v[4:5], v[10:11], 0 op_sel_hi:[0,1,0]
	s_waitcnt lgkmcnt(0)
	v_pk_fma_f32 v[6:7], v[8:9], v[6:7], v[10:11] op_sel_hi:[0,1,1]
	v_div_scale_f32 v4, s[6:7], v5, v5, v7
	v_rcp_f32_e32 v8, v4
	s_nop 0
	v_fma_f32 v9, -v4, v8, 1.0
	v_fmac_f32_e32 v8, v9, v8
	v_div_scale_f32 v9, vcc, v7, v5, v7
	v_mul_f32_e32 v10, v9, v8
	v_fma_f32 v11, -v4, v10, v9
	v_fmac_f32_e32 v10, v11, v8
	v_fma_f32 v4, -v4, v10, v9
	v_div_fmas_f32 v4, v4, v8, v10
	v_div_fixup_f32 v7, v4, v5, v7
	v_div_scale_f32 v4, s[6:7], v5, v5, v6
	v_rcp_f32_e32 v8, v4
	s_nop 0
	v_fma_f32 v9, -v4, v8, 1.0
	v_fmac_f32_e32 v8, v9, v8
	v_div_scale_f32 v9, vcc, v6, v5, v6
	v_mul_f32_e32 v10, v9, v8
	v_fma_f32 v11, -v4, v10, v9
	v_fmac_f32_e32 v10, v11, v8
	v_fma_f32 v4, -v4, v10, v9
	v_div_fmas_f32 v4, v4, v8, v10
	v_div_fixup_f32 v6, v4, v5, v6
	global_store_dwordx2 v[2:3], v[6:7], off
.LBB29_394:                             ;   in Loop: Header=BB29_14 Depth=1
	s_or_b64 exec, exec, s[36:37]
	s_barrier
	ds_write2_b32 v206, v72, v1 offset1:1
	ds_write2_b32 v206, v71, v44 offset0:8 offset1:9
	ds_write2_b32 v206, v43, v45 offset0:16 offset1:17
	;; [unrolled: 1-line block ×7, first 2 shown]
	s_waitcnt lgkmcnt(0)
	s_barrier
	s_and_saveexec_b64 s[36:37], s[42:43]
	s_cbranch_execz .LBB29_12
; %bb.395:                              ;   in Loop: Header=BB29_14 Depth=1
	v_add_u32_e32 v1, v207, v211
	v_cmp_gt_i32_e32 vcc, s80, v1
	v_mov_b32_e32 v2, 0x47
	s_and_saveexec_b64 s[6:7], vcc
	s_cbranch_execz .LBB29_397
; %bb.396:                              ;   in Loop: Header=BB29_14 Depth=1
	v_add_u32_e32 v6, 0, v233
	v_add_u32_e32 v4, v198, v233
	ds_read2_b32 v[2:3], v6 offset0:64 offset1:65
	ds_read2st64_b32 v[4:5], v4 offset1:17
	ds_read_b32 v6, v6 offset:4608
	v_readlane_b32 s38, v255, 45
	s_waitcnt lgkmcnt(1)
	v_cvt_f32_f16_e32 v10, v4
	v_cvt_f32_f16_sdwa v11, v4 dst_sel:DWORD dst_unused:UNUSED_PAD src0_sel:WORD_1
	v_cvt_f32_f16_e32 v4, v5
	v_cvt_f32_f16_sdwa v5, v5 dst_sel:DWORD dst_unused:UNUSED_PAD src0_sel:WORD_1
	v_mad_u64_u32 v[8:9], s[38:39], v1, s38, v[122:123]
	v_pk_fma_f32 v[10:11], v[2:3], v[10:11], 0 op_sel_hi:[0,1,0]
	s_waitcnt lgkmcnt(0)
	v_pk_fma_f32 v[4:5], v[6:7], v[4:5], v[10:11] op_sel_hi:[0,1,1]
	v_div_scale_f32 v1, s[38:39], v3, v3, v5
	v_rcp_f32_e32 v2, v1
	v_ashrrev_i32_e32 v9, 31, v8
	v_lshl_add_u64 v[8:9], v[8:9], 3, v[140:141]
	v_fma_f32 v6, -v1, v2, 1.0
	v_fmac_f32_e32 v2, v6, v2
	v_div_scale_f32 v6, vcc, v5, v3, v5
	v_mul_f32_e32 v7, v6, v2
	v_fma_f32 v10, -v1, v7, v6
	v_fmac_f32_e32 v7, v10, v2
	v_fma_f32 v1, -v1, v7, v6
	v_div_fmas_f32 v1, v1, v2, v7
	v_div_fixup_f32 v5, v1, v3, v5
	v_div_scale_f32 v1, s[38:39], v3, v3, v4
	v_rcp_f32_e32 v2, v1
	s_nop 0
	v_fma_f32 v6, -v1, v2, 1.0
	v_fmac_f32_e32 v2, v6, v2
	v_div_scale_f32 v6, vcc, v4, v3, v4
	v_mul_f32_e32 v7, v6, v2
	v_fma_f32 v10, -v1, v7, v6
	v_fmac_f32_e32 v7, v10, v2
	v_fma_f32 v1, -v1, v7, v6
	v_div_fmas_f32 v1, v1, v2, v7
	v_div_fixup_f32 v4, v1, v3, v4
	v_mov_b32_e32 v2, 0
	global_store_dwordx2 v[8:9], v[4:5], off
.LBB29_397:                             ;   in Loop: Header=BB29_14 Depth=1
	s_or_b64 exec, exec, s[6:7]
	v_cmp_gt_i32_e32 vcc, s44, v2
	s_mov_b64 s[6:7], -1
	s_and_saveexec_b64 s[38:39], vcc
; %bb.398:                              ;   in Loop: Header=BB29_14 Depth=1
	v_cmp_eq_u32_e32 vcc, 0, v2
	s_orn2_b64 s[6:7], vcc, exec
; %bb.399:                              ;   in Loop: Header=BB29_14 Depth=1
	s_or_b64 exec, exec, s[38:39]
	s_and_b64 exec, exec, s[6:7]
	s_cbranch_execz .LBB29_12
; %bb.400:                              ;   in Loop: Header=BB29_14 Depth=1
	v_add_u32_e32 v1, v208, v211
	v_cmp_gt_i32_e32 vcc, s80, v1
	v_mov_b32_e32 v2, 0x47
	s_and_saveexec_b64 s[6:7], vcc
	s_cbranch_execz .LBB29_402
; %bb.401:                              ;   in Loop: Header=BB29_14 Depth=1
	v_add_u32_e32 v6, 0, v234
	v_add_u32_e32 v4, v198, v234
	ds_read2_b32 v[2:3], v6 offset0:64 offset1:65
	ds_read2st64_b32 v[4:5], v4 offset1:17
	ds_read_b32 v6, v6 offset:4608
	v_readlane_b32 s38, v255, 45
	s_waitcnt lgkmcnt(1)
	v_cvt_f32_f16_e32 v10, v4
	v_cvt_f32_f16_sdwa v11, v4 dst_sel:DWORD dst_unused:UNUSED_PAD src0_sel:WORD_1
	v_cvt_f32_f16_e32 v4, v5
	v_cvt_f32_f16_sdwa v5, v5 dst_sel:DWORD dst_unused:UNUSED_PAD src0_sel:WORD_1
	v_mad_u64_u32 v[8:9], s[38:39], v1, s38, v[122:123]
	v_pk_fma_f32 v[10:11], v[2:3], v[10:11], 0 op_sel_hi:[0,1,0]
	s_waitcnt lgkmcnt(0)
	v_pk_fma_f32 v[4:5], v[6:7], v[4:5], v[10:11] op_sel_hi:[0,1,1]
	v_div_scale_f32 v1, s[38:39], v3, v3, v5
	v_rcp_f32_e32 v2, v1
	v_ashrrev_i32_e32 v9, 31, v8
	v_lshl_add_u64 v[8:9], v[8:9], 3, v[140:141]
	v_fma_f32 v6, -v1, v2, 1.0
	v_fmac_f32_e32 v2, v6, v2
	v_div_scale_f32 v6, vcc, v5, v3, v5
	v_mul_f32_e32 v7, v6, v2
	v_fma_f32 v10, -v1, v7, v6
	v_fmac_f32_e32 v7, v10, v2
	v_fma_f32 v1, -v1, v7, v6
	v_div_fmas_f32 v1, v1, v2, v7
	v_div_fixup_f32 v5, v1, v3, v5
	v_div_scale_f32 v1, s[38:39], v3, v3, v4
	v_rcp_f32_e32 v2, v1
	s_nop 0
	v_fma_f32 v6, -v1, v2, 1.0
	v_fmac_f32_e32 v2, v6, v2
	v_div_scale_f32 v6, vcc, v4, v3, v4
	v_mul_f32_e32 v7, v6, v2
	v_fma_f32 v10, -v1, v7, v6
	v_fmac_f32_e32 v7, v10, v2
	v_fma_f32 v1, -v1, v7, v6
	v_div_fmas_f32 v1, v1, v2, v7
	v_div_fixup_f32 v4, v1, v3, v4
	v_mov_b32_e32 v2, 0
	global_store_dwordx2 v[8:9], v[4:5], off
.LBB29_402:                             ;   in Loop: Header=BB29_14 Depth=1
	s_or_b64 exec, exec, s[6:7]
	v_cmp_gt_i32_e32 vcc, s44, v2
	s_mov_b64 s[6:7], -1
	s_and_saveexec_b64 s[38:39], vcc
; %bb.403:                              ;   in Loop: Header=BB29_14 Depth=1
	v_cmp_eq_u32_e32 vcc, 0, v2
	s_orn2_b64 s[6:7], vcc, exec
; %bb.404:                              ;   in Loop: Header=BB29_14 Depth=1
	s_or_b64 exec, exec, s[38:39]
	s_and_b64 exec, exec, s[6:7]
	;; [unrolled: 61-line block ×3, first 2 shown]
	s_cbranch_execz .LBB29_12
; %bb.410:                              ;   in Loop: Header=BB29_14 Depth=1
	v_add_u32_e32 v1, 12, v207
	v_add_u32_e32 v1, v1, v211
	v_cmp_gt_i32_e32 vcc, s80, v1
	v_mov_b32_e32 v2, 0x47
	s_and_saveexec_b64 s[6:7], vcc
	s_cbranch_execz .LBB29_412
; %bb.411:                              ;   in Loop: Header=BB29_14 Depth=1
	scratch_load_dword v4, off, off offset:80 ; 4-byte Folded Reload
	v_readlane_b32 s38, v255, 45
	s_waitcnt vmcnt(0)
	v_add_u32_e32 v6, 0, v4
	v_add_u32_e32 v4, v198, v4
	ds_read2_b32 v[2:3], v6 offset0:64 offset1:65
	ds_read2st64_b32 v[4:5], v4 offset1:17
	ds_read_b32 v6, v6 offset:4608
	v_mad_u64_u32 v[8:9], s[38:39], v1, s38, v[122:123]
	v_ashrrev_i32_e32 v9, 31, v8
	s_waitcnt lgkmcnt(1)
	v_cvt_f32_f16_e32 v10, v4
	v_cvt_f32_f16_sdwa v11, v4 dst_sel:DWORD dst_unused:UNUSED_PAD src0_sel:WORD_1
	v_cvt_f32_f16_e32 v4, v5
	v_cvt_f32_f16_sdwa v5, v5 dst_sel:DWORD dst_unused:UNUSED_PAD src0_sel:WORD_1
	v_lshl_add_u64 v[8:9], v[8:9], 3, v[140:141]
	v_pk_fma_f32 v[10:11], v[2:3], v[10:11], 0 op_sel_hi:[0,1,0]
	s_waitcnt lgkmcnt(0)
	v_pk_fma_f32 v[4:5], v[6:7], v[4:5], v[10:11] op_sel_hi:[0,1,1]
	v_div_scale_f32 v1, s[38:39], v3, v3, v5
	v_rcp_f32_e32 v2, v1
	s_nop 0
	v_fma_f32 v6, -v1, v2, 1.0
	v_fmac_f32_e32 v2, v6, v2
	v_div_scale_f32 v6, vcc, v5, v3, v5
	v_mul_f32_e32 v7, v6, v2
	v_fma_f32 v10, -v1, v7, v6
	v_fmac_f32_e32 v7, v10, v2
	v_fma_f32 v1, -v1, v7, v6
	v_div_fmas_f32 v1, v1, v2, v7
	v_div_fixup_f32 v5, v1, v3, v5
	v_div_scale_f32 v1, s[38:39], v3, v3, v4
	v_rcp_f32_e32 v2, v1
	s_nop 0
	v_fma_f32 v6, -v1, v2, 1.0
	v_fmac_f32_e32 v2, v6, v2
	v_div_scale_f32 v6, vcc, v4, v3, v4
	v_mul_f32_e32 v7, v6, v2
	v_fma_f32 v10, -v1, v7, v6
	v_fmac_f32_e32 v7, v10, v2
	v_fma_f32 v1, -v1, v7, v6
	v_div_fmas_f32 v1, v1, v2, v7
	v_div_fixup_f32 v4, v1, v3, v4
	v_mov_b32_e32 v2, 0
	global_store_dwordx2 v[8:9], v[4:5], off
.LBB29_412:                             ;   in Loop: Header=BB29_14 Depth=1
	s_or_b64 exec, exec, s[6:7]
	v_cmp_gt_i32_e32 vcc, s44, v2
	s_mov_b64 s[6:7], -1
	s_and_saveexec_b64 s[38:39], vcc
; %bb.413:                              ;   in Loop: Header=BB29_14 Depth=1
	v_cmp_eq_u32_e32 vcc, 0, v2
	s_orn2_b64 s[6:7], vcc, exec
; %bb.414:                              ;   in Loop: Header=BB29_14 Depth=1
	s_or_b64 exec, exec, s[38:39]
	s_and_b64 exec, exec, s[6:7]
	s_cbranch_execz .LBB29_12
; %bb.415:                              ;   in Loop: Header=BB29_14 Depth=1
	v_add_u32_e32 v1, 16, v207
	v_add_u32_e32 v1, v1, v211
	v_cmp_gt_i32_e32 vcc, s80, v1
	v_mov_b32_e32 v2, 0x47
	s_and_saveexec_b64 s[6:7], vcc
	s_cbranch_execz .LBB29_417
; %bb.416:                              ;   in Loop: Header=BB29_14 Depth=1
	scratch_load_dword v4, off, off offset:84 ; 4-byte Folded Reload
	v_readlane_b32 s38, v255, 45
	s_waitcnt vmcnt(0)
	v_add_u32_e32 v6, 0, v4
	v_add_u32_e32 v4, v198, v4
	ds_read2_b32 v[2:3], v6 offset0:64 offset1:65
	ds_read2st64_b32 v[4:5], v4 offset1:17
	ds_read_b32 v6, v6 offset:4608
	v_mad_u64_u32 v[8:9], s[38:39], v1, s38, v[122:123]
	v_ashrrev_i32_e32 v9, 31, v8
	s_waitcnt lgkmcnt(1)
	v_cvt_f32_f16_e32 v10, v4
	v_cvt_f32_f16_sdwa v11, v4 dst_sel:DWORD dst_unused:UNUSED_PAD src0_sel:WORD_1
	v_cvt_f32_f16_e32 v4, v5
	v_cvt_f32_f16_sdwa v5, v5 dst_sel:DWORD dst_unused:UNUSED_PAD src0_sel:WORD_1
	v_lshl_add_u64 v[8:9], v[8:9], 3, v[140:141]
	v_pk_fma_f32 v[10:11], v[2:3], v[10:11], 0 op_sel_hi:[0,1,0]
	s_waitcnt lgkmcnt(0)
	v_pk_fma_f32 v[4:5], v[6:7], v[4:5], v[10:11] op_sel_hi:[0,1,1]
	v_div_scale_f32 v1, s[38:39], v3, v3, v5
	v_rcp_f32_e32 v2, v1
	s_nop 0
	v_fma_f32 v6, -v1, v2, 1.0
	v_fmac_f32_e32 v2, v6, v2
	v_div_scale_f32 v6, vcc, v5, v3, v5
	v_mul_f32_e32 v7, v6, v2
	v_fma_f32 v10, -v1, v7, v6
	v_fmac_f32_e32 v7, v10, v2
	v_fma_f32 v1, -v1, v7, v6
	v_div_fmas_f32 v1, v1, v2, v7
	v_div_fixup_f32 v5, v1, v3, v5
	v_div_scale_f32 v1, s[38:39], v3, v3, v4
	v_rcp_f32_e32 v2, v1
	s_nop 0
	v_fma_f32 v6, -v1, v2, 1.0
	v_fmac_f32_e32 v2, v6, v2
	v_div_scale_f32 v6, vcc, v4, v3, v4
	v_mul_f32_e32 v7, v6, v2
	v_fma_f32 v10, -v1, v7, v6
	v_fmac_f32_e32 v7, v10, v2
	v_fma_f32 v1, -v1, v7, v6
	v_div_fmas_f32 v1, v1, v2, v7
	v_div_fixup_f32 v4, v1, v3, v4
	v_mov_b32_e32 v2, 0
	global_store_dwordx2 v[8:9], v[4:5], off
.LBB29_417:                             ;   in Loop: Header=BB29_14 Depth=1
	s_or_b64 exec, exec, s[6:7]
	v_cmp_gt_i32_e32 vcc, s44, v2
	s_mov_b64 s[6:7], -1
	s_and_saveexec_b64 s[38:39], vcc
; %bb.418:                              ;   in Loop: Header=BB29_14 Depth=1
	v_cmp_eq_u32_e32 vcc, 0, v2
	s_orn2_b64 s[6:7], vcc, exec
; %bb.419:                              ;   in Loop: Header=BB29_14 Depth=1
	s_or_b64 exec, exec, s[38:39]
	s_and_b64 exec, exec, s[6:7]
	s_cbranch_execz .LBB29_12
; %bb.420:                              ;   in Loop: Header=BB29_14 Depth=1
	v_add_u32_e32 v1, 20, v207
	v_add_u32_e32 v1, v1, v211
	v_cmp_gt_i32_e32 vcc, s80, v1
	v_mov_b32_e32 v2, 0x47
	s_and_saveexec_b64 s[6:7], vcc
	s_cbranch_execz .LBB29_422
; %bb.421:                              ;   in Loop: Header=BB29_14 Depth=1
	scratch_load_dword v4, off, off offset:92 ; 4-byte Folded Reload
	v_readlane_b32 s38, v255, 45
	s_waitcnt vmcnt(0)
	v_add_u32_e32 v6, 0, v4
	v_add_u32_e32 v4, v198, v4
	ds_read2_b32 v[2:3], v6 offset0:64 offset1:65
	ds_read2st64_b32 v[4:5], v4 offset1:17
	ds_read_b32 v6, v6 offset:4608
	v_mad_u64_u32 v[8:9], s[38:39], v1, s38, v[122:123]
	v_ashrrev_i32_e32 v9, 31, v8
	s_waitcnt lgkmcnt(1)
	v_cvt_f32_f16_e32 v10, v4
	v_cvt_f32_f16_sdwa v11, v4 dst_sel:DWORD dst_unused:UNUSED_PAD src0_sel:WORD_1
	v_cvt_f32_f16_e32 v4, v5
	v_cvt_f32_f16_sdwa v5, v5 dst_sel:DWORD dst_unused:UNUSED_PAD src0_sel:WORD_1
	v_lshl_add_u64 v[8:9], v[8:9], 3, v[140:141]
	v_pk_fma_f32 v[10:11], v[2:3], v[10:11], 0 op_sel_hi:[0,1,0]
	s_waitcnt lgkmcnt(0)
	v_pk_fma_f32 v[4:5], v[6:7], v[4:5], v[10:11] op_sel_hi:[0,1,1]
	v_div_scale_f32 v1, s[38:39], v3, v3, v5
	v_rcp_f32_e32 v2, v1
	s_nop 0
	v_fma_f32 v6, -v1, v2, 1.0
	v_fmac_f32_e32 v2, v6, v2
	v_div_scale_f32 v6, vcc, v5, v3, v5
	v_mul_f32_e32 v7, v6, v2
	v_fma_f32 v10, -v1, v7, v6
	v_fmac_f32_e32 v7, v10, v2
	v_fma_f32 v1, -v1, v7, v6
	v_div_fmas_f32 v1, v1, v2, v7
	v_div_fixup_f32 v5, v1, v3, v5
	v_div_scale_f32 v1, s[38:39], v3, v3, v4
	v_rcp_f32_e32 v2, v1
	s_nop 0
	v_fma_f32 v6, -v1, v2, 1.0
	v_fmac_f32_e32 v2, v6, v2
	v_div_scale_f32 v6, vcc, v4, v3, v4
	v_mul_f32_e32 v7, v6, v2
	v_fma_f32 v10, -v1, v7, v6
	v_fmac_f32_e32 v7, v10, v2
	v_fma_f32 v1, -v1, v7, v6
	v_div_fmas_f32 v1, v1, v2, v7
	v_div_fixup_f32 v4, v1, v3, v4
	v_mov_b32_e32 v2, 0
	global_store_dwordx2 v[8:9], v[4:5], off
.LBB29_422:                             ;   in Loop: Header=BB29_14 Depth=1
	s_or_b64 exec, exec, s[6:7]
	v_cmp_gt_i32_e32 vcc, s44, v2
	s_mov_b64 s[6:7], -1
	s_and_saveexec_b64 s[38:39], vcc
; %bb.423:                              ;   in Loop: Header=BB29_14 Depth=1
	v_cmp_eq_u32_e32 vcc, 0, v2
	s_orn2_b64 s[6:7], vcc, exec
; %bb.424:                              ;   in Loop: Header=BB29_14 Depth=1
	s_or_b64 exec, exec, s[38:39]
	s_and_b64 exec, exec, s[6:7]
	s_cbranch_execz .LBB29_12
; %bb.425:                              ;   in Loop: Header=BB29_14 Depth=1
	v_add_u32_e32 v1, 24, v207
	v_add_u32_e32 v1, v1, v211
	v_cmp_gt_i32_e32 vcc, s80, v1
	v_mov_b32_e32 v2, 0x47
	s_and_saveexec_b64 s[6:7], vcc
	s_cbranch_execz .LBB29_427
; %bb.426:                              ;   in Loop: Header=BB29_14 Depth=1
	scratch_load_dword v4, off, off offset:96 ; 4-byte Folded Reload
	v_readlane_b32 s38, v255, 45
	s_waitcnt vmcnt(0)
	v_add_u32_e32 v6, 0, v4
	v_add_u32_e32 v4, v198, v4
	ds_read2_b32 v[2:3], v6 offset0:64 offset1:65
	ds_read2st64_b32 v[4:5], v4 offset1:17
	ds_read_b32 v6, v6 offset:4608
	v_mad_u64_u32 v[8:9], s[38:39], v1, s38, v[122:123]
	v_ashrrev_i32_e32 v9, 31, v8
	s_waitcnt lgkmcnt(1)
	v_cvt_f32_f16_e32 v10, v4
	v_cvt_f32_f16_sdwa v11, v4 dst_sel:DWORD dst_unused:UNUSED_PAD src0_sel:WORD_1
	v_cvt_f32_f16_e32 v4, v5
	v_cvt_f32_f16_sdwa v5, v5 dst_sel:DWORD dst_unused:UNUSED_PAD src0_sel:WORD_1
	v_lshl_add_u64 v[8:9], v[8:9], 3, v[140:141]
	v_pk_fma_f32 v[10:11], v[2:3], v[10:11], 0 op_sel_hi:[0,1,0]
	s_waitcnt lgkmcnt(0)
	v_pk_fma_f32 v[4:5], v[6:7], v[4:5], v[10:11] op_sel_hi:[0,1,1]
	v_div_scale_f32 v1, s[38:39], v3, v3, v5
	v_rcp_f32_e32 v2, v1
	s_nop 0
	v_fma_f32 v6, -v1, v2, 1.0
	v_fmac_f32_e32 v2, v6, v2
	v_div_scale_f32 v6, vcc, v5, v3, v5
	v_mul_f32_e32 v7, v6, v2
	v_fma_f32 v10, -v1, v7, v6
	v_fmac_f32_e32 v7, v10, v2
	v_fma_f32 v1, -v1, v7, v6
	v_div_fmas_f32 v1, v1, v2, v7
	v_div_fixup_f32 v5, v1, v3, v5
	v_div_scale_f32 v1, s[38:39], v3, v3, v4
	v_rcp_f32_e32 v2, v1
	s_nop 0
	v_fma_f32 v6, -v1, v2, 1.0
	v_fmac_f32_e32 v2, v6, v2
	v_div_scale_f32 v6, vcc, v4, v3, v4
	v_mul_f32_e32 v7, v6, v2
	v_fma_f32 v10, -v1, v7, v6
	v_fmac_f32_e32 v7, v10, v2
	v_fma_f32 v1, -v1, v7, v6
	v_div_fmas_f32 v1, v1, v2, v7
	v_div_fixup_f32 v4, v1, v3, v4
	v_mov_b32_e32 v2, 0
	global_store_dwordx2 v[8:9], v[4:5], off
.LBB29_427:                             ;   in Loop: Header=BB29_14 Depth=1
	s_or_b64 exec, exec, s[6:7]
	v_cmp_gt_i32_e32 vcc, s44, v2
	s_mov_b64 s[6:7], -1
	s_and_saveexec_b64 s[38:39], vcc
; %bb.428:                              ;   in Loop: Header=BB29_14 Depth=1
	v_cmp_eq_u32_e32 vcc, 0, v2
	s_orn2_b64 s[6:7], vcc, exec
; %bb.429:                              ;   in Loop: Header=BB29_14 Depth=1
	s_or_b64 exec, exec, s[38:39]
	s_and_b64 exec, exec, s[6:7]
	s_cbranch_execz .LBB29_12
; %bb.430:                              ;   in Loop: Header=BB29_14 Depth=1
	v_add_u32_e32 v1, 28, v207
	v_add_u32_e32 v1, v1, v211
	v_cmp_gt_i32_e32 vcc, s80, v1
	v_mov_b32_e32 v2, 0x47
	s_and_saveexec_b64 s[6:7], vcc
	s_cbranch_execz .LBB29_432
; %bb.431:                              ;   in Loop: Header=BB29_14 Depth=1
	scratch_load_dword v4, off, off offset:100 ; 4-byte Folded Reload
	v_readlane_b32 s38, v255, 45
	s_waitcnt vmcnt(0)
	v_add_u32_e32 v6, 0, v4
	v_add_u32_e32 v4, v198, v4
	ds_read2_b32 v[2:3], v6 offset0:64 offset1:65
	ds_read2st64_b32 v[4:5], v4 offset1:17
	ds_read_b32 v6, v6 offset:4608
	v_mad_u64_u32 v[8:9], s[38:39], v1, s38, v[122:123]
	v_ashrrev_i32_e32 v9, 31, v8
	s_waitcnt lgkmcnt(1)
	v_cvt_f32_f16_e32 v10, v4
	v_cvt_f32_f16_sdwa v11, v4 dst_sel:DWORD dst_unused:UNUSED_PAD src0_sel:WORD_1
	v_cvt_f32_f16_e32 v4, v5
	v_cvt_f32_f16_sdwa v5, v5 dst_sel:DWORD dst_unused:UNUSED_PAD src0_sel:WORD_1
	v_lshl_add_u64 v[8:9], v[8:9], 3, v[140:141]
	v_pk_fma_f32 v[10:11], v[2:3], v[10:11], 0 op_sel_hi:[0,1,0]
	s_waitcnt lgkmcnt(0)
	v_pk_fma_f32 v[4:5], v[6:7], v[4:5], v[10:11] op_sel_hi:[0,1,1]
	v_div_scale_f32 v1, s[38:39], v3, v3, v5
	v_rcp_f32_e32 v2, v1
	s_nop 0
	v_fma_f32 v6, -v1, v2, 1.0
	v_fmac_f32_e32 v2, v6, v2
	v_div_scale_f32 v6, vcc, v5, v3, v5
	v_mul_f32_e32 v7, v6, v2
	v_fma_f32 v10, -v1, v7, v6
	v_fmac_f32_e32 v7, v10, v2
	v_fma_f32 v1, -v1, v7, v6
	v_div_fmas_f32 v1, v1, v2, v7
	v_div_fixup_f32 v5, v1, v3, v5
	v_div_scale_f32 v1, s[38:39], v3, v3, v4
	v_rcp_f32_e32 v2, v1
	s_nop 0
	v_fma_f32 v6, -v1, v2, 1.0
	v_fmac_f32_e32 v2, v6, v2
	v_div_scale_f32 v6, vcc, v4, v3, v4
	v_mul_f32_e32 v7, v6, v2
	v_fma_f32 v10, -v1, v7, v6
	v_fmac_f32_e32 v7, v10, v2
	v_fma_f32 v1, -v1, v7, v6
	v_div_fmas_f32 v1, v1, v2, v7
	v_div_fixup_f32 v4, v1, v3, v4
	v_mov_b32_e32 v2, 0
	global_store_dwordx2 v[8:9], v[4:5], off
.LBB29_432:                             ;   in Loop: Header=BB29_14 Depth=1
	s_or_b64 exec, exec, s[6:7]
	v_cmp_gt_i32_e32 vcc, s44, v2
	s_mov_b64 s[6:7], -1
	s_and_saveexec_b64 s[38:39], vcc
; %bb.433:                              ;   in Loop: Header=BB29_14 Depth=1
	v_cmp_eq_u32_e32 vcc, 0, v2
	s_orn2_b64 s[6:7], vcc, exec
; %bb.434:                              ;   in Loop: Header=BB29_14 Depth=1
	s_or_b64 exec, exec, s[38:39]
	s_and_b64 exec, exec, s[6:7]
	s_cbranch_execz .LBB29_12
; %bb.435:                              ;   in Loop: Header=BB29_14 Depth=1
	v_add_u32_e32 v1, 32, v207
	v_add_u32_e32 v1, v1, v211
	v_cmp_gt_i32_e32 vcc, s80, v1
	v_mov_b32_e32 v2, 0x47
	s_and_saveexec_b64 s[6:7], vcc
	s_cbranch_execz .LBB29_437
; %bb.436:                              ;   in Loop: Header=BB29_14 Depth=1
	scratch_load_dword v4, off, off offset:104 ; 4-byte Folded Reload
	v_readlane_b32 s38, v255, 45
	s_waitcnt vmcnt(0)
	v_add_u32_e32 v6, 0, v4
	v_add_u32_e32 v4, v198, v4
	ds_read2_b32 v[2:3], v6 offset0:64 offset1:65
	ds_read2st64_b32 v[4:5], v4 offset1:17
	ds_read_b32 v6, v6 offset:4608
	v_mad_u64_u32 v[8:9], s[38:39], v1, s38, v[122:123]
	v_ashrrev_i32_e32 v9, 31, v8
	s_waitcnt lgkmcnt(1)
	v_cvt_f32_f16_e32 v10, v4
	v_cvt_f32_f16_sdwa v11, v4 dst_sel:DWORD dst_unused:UNUSED_PAD src0_sel:WORD_1
	v_cvt_f32_f16_e32 v4, v5
	v_cvt_f32_f16_sdwa v5, v5 dst_sel:DWORD dst_unused:UNUSED_PAD src0_sel:WORD_1
	v_lshl_add_u64 v[8:9], v[8:9], 3, v[140:141]
	v_pk_fma_f32 v[10:11], v[2:3], v[10:11], 0 op_sel_hi:[0,1,0]
	s_waitcnt lgkmcnt(0)
	v_pk_fma_f32 v[4:5], v[6:7], v[4:5], v[10:11] op_sel_hi:[0,1,1]
	v_div_scale_f32 v1, s[38:39], v3, v3, v5
	v_rcp_f32_e32 v2, v1
	s_nop 0
	v_fma_f32 v6, -v1, v2, 1.0
	v_fmac_f32_e32 v2, v6, v2
	v_div_scale_f32 v6, vcc, v5, v3, v5
	v_mul_f32_e32 v7, v6, v2
	v_fma_f32 v10, -v1, v7, v6
	v_fmac_f32_e32 v7, v10, v2
	v_fma_f32 v1, -v1, v7, v6
	v_div_fmas_f32 v1, v1, v2, v7
	v_div_fixup_f32 v5, v1, v3, v5
	v_div_scale_f32 v1, s[38:39], v3, v3, v4
	v_rcp_f32_e32 v2, v1
	s_nop 0
	v_fma_f32 v6, -v1, v2, 1.0
	v_fmac_f32_e32 v2, v6, v2
	v_div_scale_f32 v6, vcc, v4, v3, v4
	v_mul_f32_e32 v7, v6, v2
	v_fma_f32 v10, -v1, v7, v6
	v_fmac_f32_e32 v7, v10, v2
	v_fma_f32 v1, -v1, v7, v6
	v_div_fmas_f32 v1, v1, v2, v7
	v_div_fixup_f32 v4, v1, v3, v4
	v_mov_b32_e32 v2, 0
	global_store_dwordx2 v[8:9], v[4:5], off
.LBB29_437:                             ;   in Loop: Header=BB29_14 Depth=1
	s_or_b64 exec, exec, s[6:7]
	v_cmp_gt_i32_e32 vcc, s44, v2
	s_mov_b64 s[6:7], -1
	s_and_saveexec_b64 s[38:39], vcc
; %bb.438:                              ;   in Loop: Header=BB29_14 Depth=1
	v_cmp_eq_u32_e32 vcc, 0, v2
	s_orn2_b64 s[6:7], vcc, exec
; %bb.439:                              ;   in Loop: Header=BB29_14 Depth=1
	s_or_b64 exec, exec, s[38:39]
	s_and_b64 exec, exec, s[6:7]
	s_cbranch_execz .LBB29_12
; %bb.440:                              ;   in Loop: Header=BB29_14 Depth=1
	v_add_u32_e32 v1, 36, v207
	v_add_u32_e32 v1, v1, v211
	v_cmp_gt_i32_e32 vcc, s80, v1
	v_mov_b32_e32 v2, 0x47
	s_and_saveexec_b64 s[6:7], vcc
	s_cbranch_execz .LBB29_442
; %bb.441:                              ;   in Loop: Header=BB29_14 Depth=1
	scratch_load_dword v4, off, off offset:108 ; 4-byte Folded Reload
	v_readlane_b32 s38, v255, 45
	s_waitcnt vmcnt(0)
	v_add_u32_e32 v6, 0, v4
	v_add_u32_e32 v4, v198, v4
	ds_read2_b32 v[2:3], v6 offset0:64 offset1:65
	ds_read2st64_b32 v[4:5], v4 offset1:17
	ds_read_b32 v6, v6 offset:4608
	v_mad_u64_u32 v[8:9], s[38:39], v1, s38, v[122:123]
	v_ashrrev_i32_e32 v9, 31, v8
	s_waitcnt lgkmcnt(1)
	v_cvt_f32_f16_e32 v10, v4
	v_cvt_f32_f16_sdwa v11, v4 dst_sel:DWORD dst_unused:UNUSED_PAD src0_sel:WORD_1
	v_cvt_f32_f16_e32 v4, v5
	v_cvt_f32_f16_sdwa v5, v5 dst_sel:DWORD dst_unused:UNUSED_PAD src0_sel:WORD_1
	v_lshl_add_u64 v[8:9], v[8:9], 3, v[140:141]
	v_pk_fma_f32 v[10:11], v[2:3], v[10:11], 0 op_sel_hi:[0,1,0]
	s_waitcnt lgkmcnt(0)
	v_pk_fma_f32 v[4:5], v[6:7], v[4:5], v[10:11] op_sel_hi:[0,1,1]
	v_div_scale_f32 v1, s[38:39], v3, v3, v5
	v_rcp_f32_e32 v2, v1
	s_nop 0
	v_fma_f32 v6, -v1, v2, 1.0
	v_fmac_f32_e32 v2, v6, v2
	v_div_scale_f32 v6, vcc, v5, v3, v5
	v_mul_f32_e32 v7, v6, v2
	v_fma_f32 v10, -v1, v7, v6
	v_fmac_f32_e32 v7, v10, v2
	v_fma_f32 v1, -v1, v7, v6
	v_div_fmas_f32 v1, v1, v2, v7
	v_div_fixup_f32 v5, v1, v3, v5
	v_div_scale_f32 v1, s[38:39], v3, v3, v4
	v_rcp_f32_e32 v2, v1
	s_nop 0
	v_fma_f32 v6, -v1, v2, 1.0
	v_fmac_f32_e32 v2, v6, v2
	v_div_scale_f32 v6, vcc, v4, v3, v4
	v_mul_f32_e32 v7, v6, v2
	v_fma_f32 v10, -v1, v7, v6
	v_fmac_f32_e32 v7, v10, v2
	v_fma_f32 v1, -v1, v7, v6
	v_div_fmas_f32 v1, v1, v2, v7
	v_div_fixup_f32 v4, v1, v3, v4
	v_mov_b32_e32 v2, 0
	global_store_dwordx2 v[8:9], v[4:5], off
.LBB29_442:                             ;   in Loop: Header=BB29_14 Depth=1
	s_or_b64 exec, exec, s[6:7]
	v_cmp_gt_i32_e32 vcc, s44, v2
	s_mov_b64 s[6:7], -1
	s_and_saveexec_b64 s[38:39], vcc
; %bb.443:                              ;   in Loop: Header=BB29_14 Depth=1
	v_cmp_eq_u32_e32 vcc, 0, v2
	s_orn2_b64 s[6:7], vcc, exec
; %bb.444:                              ;   in Loop: Header=BB29_14 Depth=1
	s_or_b64 exec, exec, s[38:39]
	s_and_b64 exec, exec, s[6:7]
	s_cbranch_execz .LBB29_12
; %bb.445:                              ;   in Loop: Header=BB29_14 Depth=1
	v_add_u32_e32 v1, 40, v207
	v_add_u32_e32 v1, v1, v211
	v_cmp_gt_i32_e32 vcc, s80, v1
	v_mov_b32_e32 v2, 0x47
	s_and_saveexec_b64 s[6:7], vcc
	s_cbranch_execz .LBB29_447
; %bb.446:                              ;   in Loop: Header=BB29_14 Depth=1
	scratch_load_dword v4, off, off offset:112 ; 4-byte Folded Reload
	v_readlane_b32 s38, v255, 45
	s_waitcnt vmcnt(0)
	v_add_u32_e32 v6, 0, v4
	v_add_u32_e32 v4, v198, v4
	ds_read2_b32 v[2:3], v6 offset0:64 offset1:65
	ds_read2st64_b32 v[4:5], v4 offset1:17
	ds_read_b32 v6, v6 offset:4608
	v_mad_u64_u32 v[8:9], s[38:39], v1, s38, v[122:123]
	v_ashrrev_i32_e32 v9, 31, v8
	s_waitcnt lgkmcnt(1)
	v_cvt_f32_f16_e32 v10, v4
	v_cvt_f32_f16_sdwa v11, v4 dst_sel:DWORD dst_unused:UNUSED_PAD src0_sel:WORD_1
	v_cvt_f32_f16_e32 v4, v5
	v_cvt_f32_f16_sdwa v5, v5 dst_sel:DWORD dst_unused:UNUSED_PAD src0_sel:WORD_1
	v_lshl_add_u64 v[8:9], v[8:9], 3, v[140:141]
	v_pk_fma_f32 v[10:11], v[2:3], v[10:11], 0 op_sel_hi:[0,1,0]
	s_waitcnt lgkmcnt(0)
	v_pk_fma_f32 v[4:5], v[6:7], v[4:5], v[10:11] op_sel_hi:[0,1,1]
	v_div_scale_f32 v1, s[38:39], v3, v3, v5
	v_rcp_f32_e32 v2, v1
	s_nop 0
	v_fma_f32 v6, -v1, v2, 1.0
	v_fmac_f32_e32 v2, v6, v2
	v_div_scale_f32 v6, vcc, v5, v3, v5
	v_mul_f32_e32 v7, v6, v2
	v_fma_f32 v10, -v1, v7, v6
	v_fmac_f32_e32 v7, v10, v2
	v_fma_f32 v1, -v1, v7, v6
	v_div_fmas_f32 v1, v1, v2, v7
	v_div_fixup_f32 v5, v1, v3, v5
	v_div_scale_f32 v1, s[38:39], v3, v3, v4
	v_rcp_f32_e32 v2, v1
	s_nop 0
	v_fma_f32 v6, -v1, v2, 1.0
	v_fmac_f32_e32 v2, v6, v2
	v_div_scale_f32 v6, vcc, v4, v3, v4
	v_mul_f32_e32 v7, v6, v2
	v_fma_f32 v10, -v1, v7, v6
	v_fmac_f32_e32 v7, v10, v2
	v_fma_f32 v1, -v1, v7, v6
	v_div_fmas_f32 v1, v1, v2, v7
	v_div_fixup_f32 v4, v1, v3, v4
	v_mov_b32_e32 v2, 0
	global_store_dwordx2 v[8:9], v[4:5], off
.LBB29_447:                             ;   in Loop: Header=BB29_14 Depth=1
	s_or_b64 exec, exec, s[6:7]
	v_cmp_gt_i32_e32 vcc, s44, v2
	s_mov_b64 s[6:7], -1
	s_and_saveexec_b64 s[38:39], vcc
; %bb.448:                              ;   in Loop: Header=BB29_14 Depth=1
	v_cmp_eq_u32_e32 vcc, 0, v2
	s_orn2_b64 s[6:7], vcc, exec
; %bb.449:                              ;   in Loop: Header=BB29_14 Depth=1
	s_or_b64 exec, exec, s[38:39]
	s_and_b64 exec, exec, s[6:7]
	s_cbranch_execz .LBB29_12
; %bb.450:                              ;   in Loop: Header=BB29_14 Depth=1
	v_add_u32_e32 v1, 44, v207
	v_add_u32_e32 v1, v1, v211
	v_cmp_gt_i32_e32 vcc, s80, v1
	v_mov_b32_e32 v2, 0x47
	s_and_saveexec_b64 s[6:7], vcc
	s_cbranch_execz .LBB29_452
; %bb.451:                              ;   in Loop: Header=BB29_14 Depth=1
	scratch_load_dword v4, off, off offset:116 ; 4-byte Folded Reload
	v_readlane_b32 s38, v255, 45
	s_waitcnt vmcnt(0)
	v_add_u32_e32 v6, 0, v4
	v_add_u32_e32 v4, v198, v4
	ds_read2_b32 v[2:3], v6 offset0:64 offset1:65
	ds_read2st64_b32 v[4:5], v4 offset1:17
	ds_read_b32 v6, v6 offset:4608
	v_mad_u64_u32 v[8:9], s[38:39], v1, s38, v[122:123]
	v_ashrrev_i32_e32 v9, 31, v8
	s_waitcnt lgkmcnt(1)
	v_cvt_f32_f16_e32 v10, v4
	v_cvt_f32_f16_sdwa v11, v4 dst_sel:DWORD dst_unused:UNUSED_PAD src0_sel:WORD_1
	v_cvt_f32_f16_e32 v4, v5
	v_cvt_f32_f16_sdwa v5, v5 dst_sel:DWORD dst_unused:UNUSED_PAD src0_sel:WORD_1
	v_lshl_add_u64 v[8:9], v[8:9], 3, v[140:141]
	v_pk_fma_f32 v[10:11], v[2:3], v[10:11], 0 op_sel_hi:[0,1,0]
	s_waitcnt lgkmcnt(0)
	v_pk_fma_f32 v[4:5], v[6:7], v[4:5], v[10:11] op_sel_hi:[0,1,1]
	v_div_scale_f32 v1, s[38:39], v3, v3, v5
	v_rcp_f32_e32 v2, v1
	s_nop 0
	v_fma_f32 v6, -v1, v2, 1.0
	v_fmac_f32_e32 v2, v6, v2
	v_div_scale_f32 v6, vcc, v5, v3, v5
	v_mul_f32_e32 v7, v6, v2
	v_fma_f32 v10, -v1, v7, v6
	v_fmac_f32_e32 v7, v10, v2
	v_fma_f32 v1, -v1, v7, v6
	v_div_fmas_f32 v1, v1, v2, v7
	v_div_fixup_f32 v5, v1, v3, v5
	v_div_scale_f32 v1, s[38:39], v3, v3, v4
	v_rcp_f32_e32 v2, v1
	s_nop 0
	v_fma_f32 v6, -v1, v2, 1.0
	v_fmac_f32_e32 v2, v6, v2
	v_div_scale_f32 v6, vcc, v4, v3, v4
	v_mul_f32_e32 v7, v6, v2
	v_fma_f32 v10, -v1, v7, v6
	v_fmac_f32_e32 v7, v10, v2
	v_fma_f32 v1, -v1, v7, v6
	v_div_fmas_f32 v1, v1, v2, v7
	v_div_fixup_f32 v4, v1, v3, v4
	v_mov_b32_e32 v2, 0
	global_store_dwordx2 v[8:9], v[4:5], off
.LBB29_452:                             ;   in Loop: Header=BB29_14 Depth=1
	s_or_b64 exec, exec, s[6:7]
	v_cmp_gt_i32_e32 vcc, s44, v2
	s_mov_b64 s[6:7], -1
	s_and_saveexec_b64 s[38:39], vcc
; %bb.453:                              ;   in Loop: Header=BB29_14 Depth=1
	v_cmp_eq_u32_e32 vcc, 0, v2
	s_orn2_b64 s[6:7], vcc, exec
; %bb.454:                              ;   in Loop: Header=BB29_14 Depth=1
	s_or_b64 exec, exec, s[38:39]
	s_and_b64 exec, exec, s[6:7]
	s_cbranch_execz .LBB29_12
; %bb.455:                              ;   in Loop: Header=BB29_14 Depth=1
	v_add_u32_e32 v1, 48, v207
	v_add_u32_e32 v1, v1, v211
	v_cmp_gt_i32_e32 vcc, s80, v1
	v_mov_b32_e32 v2, 0x47
	s_and_saveexec_b64 s[6:7], vcc
	s_cbranch_execz .LBB29_457
; %bb.456:                              ;   in Loop: Header=BB29_14 Depth=1
	scratch_load_dword v4, off, off offset:120 ; 4-byte Folded Reload
	v_readlane_b32 s38, v255, 45
	s_waitcnt vmcnt(0)
	v_add_u32_e32 v6, 0, v4
	v_add_u32_e32 v4, v198, v4
	ds_read2_b32 v[2:3], v6 offset0:64 offset1:65
	ds_read2st64_b32 v[4:5], v4 offset1:17
	ds_read_b32 v6, v6 offset:4608
	v_mad_u64_u32 v[8:9], s[38:39], v1, s38, v[122:123]
	v_ashrrev_i32_e32 v9, 31, v8
	s_waitcnt lgkmcnt(1)
	v_cvt_f32_f16_e32 v10, v4
	v_cvt_f32_f16_sdwa v11, v4 dst_sel:DWORD dst_unused:UNUSED_PAD src0_sel:WORD_1
	v_cvt_f32_f16_e32 v4, v5
	v_cvt_f32_f16_sdwa v5, v5 dst_sel:DWORD dst_unused:UNUSED_PAD src0_sel:WORD_1
	v_lshl_add_u64 v[8:9], v[8:9], 3, v[140:141]
	v_pk_fma_f32 v[10:11], v[2:3], v[10:11], 0 op_sel_hi:[0,1,0]
	s_waitcnt lgkmcnt(0)
	v_pk_fma_f32 v[4:5], v[6:7], v[4:5], v[10:11] op_sel_hi:[0,1,1]
	v_div_scale_f32 v1, s[38:39], v3, v3, v5
	v_rcp_f32_e32 v2, v1
	s_nop 0
	v_fma_f32 v6, -v1, v2, 1.0
	v_fmac_f32_e32 v2, v6, v2
	v_div_scale_f32 v6, vcc, v5, v3, v5
	v_mul_f32_e32 v7, v6, v2
	v_fma_f32 v10, -v1, v7, v6
	v_fmac_f32_e32 v7, v10, v2
	v_fma_f32 v1, -v1, v7, v6
	v_div_fmas_f32 v1, v1, v2, v7
	v_div_fixup_f32 v5, v1, v3, v5
	v_div_scale_f32 v1, s[38:39], v3, v3, v4
	v_rcp_f32_e32 v2, v1
	s_nop 0
	v_fma_f32 v6, -v1, v2, 1.0
	v_fmac_f32_e32 v2, v6, v2
	v_div_scale_f32 v6, vcc, v4, v3, v4
	v_mul_f32_e32 v7, v6, v2
	v_fma_f32 v10, -v1, v7, v6
	v_fmac_f32_e32 v7, v10, v2
	v_fma_f32 v1, -v1, v7, v6
	v_div_fmas_f32 v1, v1, v2, v7
	v_div_fixup_f32 v4, v1, v3, v4
	v_mov_b32_e32 v2, 0
	global_store_dwordx2 v[8:9], v[4:5], off
.LBB29_457:                             ;   in Loop: Header=BB29_14 Depth=1
	s_or_b64 exec, exec, s[6:7]
	v_cmp_gt_i32_e32 vcc, s44, v2
	s_mov_b64 s[6:7], -1
	s_and_saveexec_b64 s[38:39], vcc
; %bb.458:                              ;   in Loop: Header=BB29_14 Depth=1
	v_cmp_eq_u32_e32 vcc, 0, v2
	s_orn2_b64 s[6:7], vcc, exec
; %bb.459:                              ;   in Loop: Header=BB29_14 Depth=1
	s_or_b64 exec, exec, s[38:39]
	s_and_b64 exec, exec, s[6:7]
	s_cbranch_execz .LBB29_12
; %bb.460:                              ;   in Loop: Header=BB29_14 Depth=1
	v_add_u32_e32 v1, 52, v207
	v_add_u32_e32 v1, v1, v211
	v_cmp_gt_i32_e32 vcc, s80, v1
	v_mov_b32_e32 v2, 0x47
	s_and_saveexec_b64 s[6:7], vcc
	s_cbranch_execz .LBB29_462
; %bb.461:                              ;   in Loop: Header=BB29_14 Depth=1
	scratch_load_dword v4, off, off offset:124 ; 4-byte Folded Reload
	v_readlane_b32 s38, v255, 45
	s_waitcnt vmcnt(0)
	v_add_u32_e32 v6, 0, v4
	v_add_u32_e32 v4, v198, v4
	ds_read2_b32 v[2:3], v6 offset0:64 offset1:65
	ds_read2st64_b32 v[4:5], v4 offset1:17
	ds_read_b32 v6, v6 offset:4608
	v_mad_u64_u32 v[8:9], s[38:39], v1, s38, v[122:123]
	v_ashrrev_i32_e32 v9, 31, v8
	s_waitcnt lgkmcnt(1)
	v_cvt_f32_f16_e32 v10, v4
	v_cvt_f32_f16_sdwa v11, v4 dst_sel:DWORD dst_unused:UNUSED_PAD src0_sel:WORD_1
	v_cvt_f32_f16_e32 v4, v5
	v_cvt_f32_f16_sdwa v5, v5 dst_sel:DWORD dst_unused:UNUSED_PAD src0_sel:WORD_1
	v_lshl_add_u64 v[8:9], v[8:9], 3, v[140:141]
	v_pk_fma_f32 v[10:11], v[2:3], v[10:11], 0 op_sel_hi:[0,1,0]
	s_waitcnt lgkmcnt(0)
	v_pk_fma_f32 v[4:5], v[6:7], v[4:5], v[10:11] op_sel_hi:[0,1,1]
	v_div_scale_f32 v1, s[38:39], v3, v3, v5
	v_rcp_f32_e32 v2, v1
	s_nop 0
	v_fma_f32 v6, -v1, v2, 1.0
	v_fmac_f32_e32 v2, v6, v2
	v_div_scale_f32 v6, vcc, v5, v3, v5
	v_mul_f32_e32 v7, v6, v2
	v_fma_f32 v10, -v1, v7, v6
	v_fmac_f32_e32 v7, v10, v2
	v_fma_f32 v1, -v1, v7, v6
	v_div_fmas_f32 v1, v1, v2, v7
	v_div_fixup_f32 v5, v1, v3, v5
	v_div_scale_f32 v1, s[38:39], v3, v3, v4
	v_rcp_f32_e32 v2, v1
	s_nop 0
	v_fma_f32 v6, -v1, v2, 1.0
	v_fmac_f32_e32 v2, v6, v2
	v_div_scale_f32 v6, vcc, v4, v3, v4
	v_mul_f32_e32 v7, v6, v2
	v_fma_f32 v10, -v1, v7, v6
	v_fmac_f32_e32 v7, v10, v2
	v_fma_f32 v1, -v1, v7, v6
	v_div_fmas_f32 v1, v1, v2, v7
	v_div_fixup_f32 v4, v1, v3, v4
	v_mov_b32_e32 v2, 0
	global_store_dwordx2 v[8:9], v[4:5], off
.LBB29_462:                             ;   in Loop: Header=BB29_14 Depth=1
	s_or_b64 exec, exec, s[6:7]
	v_cmp_gt_i32_e32 vcc, s44, v2
	s_mov_b64 s[6:7], -1
	s_and_saveexec_b64 s[38:39], vcc
; %bb.463:                              ;   in Loop: Header=BB29_14 Depth=1
	v_cmp_eq_u32_e32 vcc, 0, v2
	s_orn2_b64 s[6:7], vcc, exec
; %bb.464:                              ;   in Loop: Header=BB29_14 Depth=1
	s_or_b64 exec, exec, s[38:39]
	s_and_b64 exec, exec, s[6:7]
	s_cbranch_execz .LBB29_12
; %bb.465:                              ;   in Loop: Header=BB29_14 Depth=1
	v_add_u32_e32 v1, 56, v207
	v_add_u32_e32 v1, v1, v211
	v_cmp_gt_i32_e32 vcc, s80, v1
	v_mov_b32_e32 v2, 0x47
	s_and_saveexec_b64 s[6:7], vcc
	s_cbranch_execz .LBB29_467
; %bb.466:                              ;   in Loop: Header=BB29_14 Depth=1
	scratch_load_dword v4, off, off offset:128 ; 4-byte Folded Reload
	v_readlane_b32 s38, v255, 45
	s_waitcnt vmcnt(0)
	v_add_u32_e32 v6, 0, v4
	v_add_u32_e32 v4, v198, v4
	ds_read2_b32 v[2:3], v6 offset0:64 offset1:65
	ds_read2st64_b32 v[4:5], v4 offset1:17
	ds_read_b32 v6, v6 offset:4608
	v_mad_u64_u32 v[8:9], s[38:39], v1, s38, v[122:123]
	v_ashrrev_i32_e32 v9, 31, v8
	s_waitcnt lgkmcnt(1)
	v_cvt_f32_f16_e32 v10, v4
	v_cvt_f32_f16_sdwa v11, v4 dst_sel:DWORD dst_unused:UNUSED_PAD src0_sel:WORD_1
	v_cvt_f32_f16_e32 v4, v5
	v_cvt_f32_f16_sdwa v5, v5 dst_sel:DWORD dst_unused:UNUSED_PAD src0_sel:WORD_1
	v_lshl_add_u64 v[8:9], v[8:9], 3, v[140:141]
	v_pk_fma_f32 v[10:11], v[2:3], v[10:11], 0 op_sel_hi:[0,1,0]
	s_waitcnt lgkmcnt(0)
	v_pk_fma_f32 v[4:5], v[6:7], v[4:5], v[10:11] op_sel_hi:[0,1,1]
	v_div_scale_f32 v1, s[38:39], v3, v3, v5
	v_rcp_f32_e32 v2, v1
	s_nop 0
	v_fma_f32 v6, -v1, v2, 1.0
	v_fmac_f32_e32 v2, v6, v2
	v_div_scale_f32 v6, vcc, v5, v3, v5
	v_mul_f32_e32 v7, v6, v2
	v_fma_f32 v10, -v1, v7, v6
	v_fmac_f32_e32 v7, v10, v2
	v_fma_f32 v1, -v1, v7, v6
	v_div_fmas_f32 v1, v1, v2, v7
	v_div_fixup_f32 v5, v1, v3, v5
	v_div_scale_f32 v1, s[38:39], v3, v3, v4
	v_rcp_f32_e32 v2, v1
	s_nop 0
	v_fma_f32 v6, -v1, v2, 1.0
	v_fmac_f32_e32 v2, v6, v2
	v_div_scale_f32 v6, vcc, v4, v3, v4
	v_mul_f32_e32 v7, v6, v2
	v_fma_f32 v10, -v1, v7, v6
	v_fmac_f32_e32 v7, v10, v2
	v_fma_f32 v1, -v1, v7, v6
	v_div_fmas_f32 v1, v1, v2, v7
	v_div_fixup_f32 v4, v1, v3, v4
	v_mov_b32_e32 v2, 0
	global_store_dwordx2 v[8:9], v[4:5], off
.LBB29_467:                             ;   in Loop: Header=BB29_14 Depth=1
	s_or_b64 exec, exec, s[6:7]
	v_cmp_gt_i32_e32 vcc, s44, v2
	s_mov_b64 s[6:7], -1
	s_and_saveexec_b64 s[38:39], vcc
; %bb.468:                              ;   in Loop: Header=BB29_14 Depth=1
	v_cmp_eq_u32_e32 vcc, 0, v2
	s_orn2_b64 s[6:7], vcc, exec
; %bb.469:                              ;   in Loop: Header=BB29_14 Depth=1
	s_or_b64 exec, exec, s[38:39]
	s_and_b64 exec, exec, s[6:7]
	s_cbranch_execz .LBB29_12
; %bb.470:                              ;   in Loop: Header=BB29_14 Depth=1
	v_add_u32_e32 v1, 60, v207
	v_add_u32_e32 v1, v1, v211
	v_cmp_gt_i32_e32 vcc, s80, v1
	s_and_b64 exec, exec, vcc
	s_cbranch_execz .LBB29_12
; %bb.471:                              ;   in Loop: Header=BB29_14 Depth=1
	scratch_load_dword v4, off, off offset:132 ; 4-byte Folded Reload
	v_readlane_b32 s6, v255, 45
	s_waitcnt vmcnt(0)
	v_add_u32_e32 v6, 0, v4
	v_add_u32_e32 v4, v198, v4
	ds_read2_b32 v[2:3], v6 offset0:64 offset1:65
	ds_read2st64_b32 v[4:5], v4 offset1:17
	ds_read_b32 v6, v6 offset:4608
	v_mad_u64_u32 v[8:9], s[6:7], v1, s6, v[122:123]
	v_ashrrev_i32_e32 v9, 31, v8
	s_waitcnt lgkmcnt(1)
	v_cvt_f32_f16_e32 v10, v4
	v_cvt_f32_f16_sdwa v11, v4 dst_sel:DWORD dst_unused:UNUSED_PAD src0_sel:WORD_1
	v_cvt_f32_f16_e32 v4, v5
	v_cvt_f32_f16_sdwa v5, v5 dst_sel:DWORD dst_unused:UNUSED_PAD src0_sel:WORD_1
	v_lshl_add_u64 v[8:9], v[8:9], 3, v[140:141]
	v_pk_fma_f32 v[10:11], v[2:3], v[10:11], 0 op_sel_hi:[0,1,0]
	s_waitcnt lgkmcnt(0)
	v_pk_fma_f32 v[4:5], v[6:7], v[4:5], v[10:11] op_sel_hi:[0,1,1]
	v_div_scale_f32 v1, s[6:7], v3, v3, v5
	v_rcp_f32_e32 v2, v1
	s_nop 0
	v_fma_f32 v6, -v1, v2, 1.0
	v_fmac_f32_e32 v2, v6, v2
	v_div_scale_f32 v6, vcc, v5, v3, v5
	v_mul_f32_e32 v7, v6, v2
	v_fma_f32 v10, -v1, v7, v6
	v_fmac_f32_e32 v7, v10, v2
	v_fma_f32 v1, -v1, v7, v6
	v_div_fmas_f32 v1, v1, v2, v7
	v_div_fixup_f32 v5, v1, v3, v5
	v_div_scale_f32 v1, s[6:7], v3, v3, v4
	v_rcp_f32_e32 v2, v1
	s_nop 0
	v_fma_f32 v6, -v1, v2, 1.0
	v_fmac_f32_e32 v2, v6, v2
	v_div_scale_f32 v6, vcc, v4, v3, v4
	v_mul_f32_e32 v7, v6, v2
	v_fma_f32 v10, -v1, v7, v6
	v_fmac_f32_e32 v7, v10, v2
	v_fma_f32 v1, -v1, v7, v6
	v_div_fmas_f32 v1, v1, v2, v7
	v_div_fixup_f32 v4, v1, v3, v4
	global_store_dwordx2 v[8:9], v[4:5], off
	s_branch .LBB29_12
.LBB29_472:
	scratch_load_dword v23, off, off offset:88 ; 4-byte Folded Reload
	v_readlane_b32 s12, v255, 27
	v_readlane_b32 s49, v255, 21
	;; [unrolled: 1-line block ×7, first 2 shown]
	v_lshlrev_b32_e32 v240, 4, v123
	v_lshlrev_b32_e32 v241, 3, v123
	v_readlane_b32 s17, v255, 44
	s_andn2_b64 vcc, exec, s[6:7]
	s_cbranch_vccnz .LBB29_10
.LBB29_473:
	v_readlane_b32 s7, v255, 5
	s_abs_i32 s0, s7
	v_cvt_f32_u32_e32 v1, s0
	s_sub_i32 s3, 0, s0
	s_abs_i32 s2, s62
	s_xor_b32 s1, s62, s7
	v_rcp_iflag_f32_e32 v1, v1
	s_ashr_i32 s1, s1, 31
	v_mul_f32_e32 v1, 0x4f7ffffe, v1
	v_cvt_u32_f32_e32 v1, v1
	s_nop 0
	v_readfirstlane_b32 s4, v1
	s_mul_i32 s3, s3, s4
	s_mul_hi_u32 s3, s4, s3
	s_add_i32 s4, s4, s3
	s_mul_hi_u32 s3, s2, s4
	s_mul_i32 s4, s3, s0
	s_sub_i32 s2, s2, s4
	s_add_i32 s5, s3, 1
	s_sub_i32 s4, s2, s0
	s_cmp_ge_u32 s2, s0
	s_cselect_b32 s3, s5, s3
	s_cselect_b32 s2, s4, s2
	s_add_i32 s4, s3, 1
	s_cmp_ge_u32 s2, s0
	s_cselect_b32 s0, s4, s3
	s_abs_i32 s2, s90
	v_cvt_f32_u32_e32 v1, s2
	s_xor_b32 s0, s0, s1
	s_sub_i32 s3, 0, s2
	s_sub_i32 s6, s0, s1
	v_rcp_iflag_f32_e32 v1, v1
	s_mul_i32 s0, s6, s7
	s_sub_i32 s0, s62, s0
	s_abs_i32 s4, s0
	v_mul_f32_e32 v1, 0x4f7ffffe, v1
	v_cvt_u32_f32_e32 v1, v1
	s_xor_b32 s1, s0, s90
	s_ashr_i32 s1, s1, 31
	v_readfirstlane_b32 s5, v1
	s_mul_i32 s3, s3, s5
	s_mul_hi_u32 s3, s5, s3
	s_add_i32 s5, s5, s3
	s_mul_hi_u32 s3, s4, s5
	s_mul_i32 s5, s3, s2
	s_sub_i32 s4, s4, s5
	s_add_i32 s7, s3, 1
	s_sub_i32 s5, s4, s2
	s_cmp_ge_u32 s4, s2
	s_cselect_b32 s3, s7, s3
	s_cselect_b32 s4, s5, s4
	s_add_i32 s5, s3, 1
	s_cmp_ge_u32 s4, s2
	s_cselect_b32 s2, s5, s3
	s_abs_i32 s3, s99
	v_cvt_f32_u32_e32 v1, s3
	s_xor_b32 s2, s2, s1
	s_sub_i32 s4, 0, s3
	s_sub_i32 s7, s2, s1
	v_rcp_iflag_f32_e32 v1, v1
	s_mul_i32 s1, s7, s90
	s_sub_i32 s1, s0, s1
	s_abs_i32 s2, s1
	v_mul_f32_e32 v1, 0x4f7ffffe, v1
	v_cvt_u32_f32_e32 v1, v1
	s_xor_b32 s0, s1, s99
	s_ashr_i32 s0, s0, 31
	v_readfirstlane_b32 s5, v1
	s_mul_i32 s4, s4, s5
	s_mul_hi_u32 s4, s5, s4
	s_add_i32 s5, s5, s4
	s_mul_hi_u32 s4, s2, s5
	s_mul_i32 s5, s4, s3
	s_sub_i32 s2, s2, s5
	s_add_i32 s8, s4, 1
	s_sub_i32 s5, s2, s3
	s_cmp_ge_u32 s2, s3
	s_cselect_b32 s4, s8, s4
	s_cselect_b32 s2, s5, s2
	s_add_i32 s5, s4, 1
	s_cmp_ge_u32 s2, s3
	s_cselect_b32 s2, s5, s4
	s_xor_b32 s2, s2, s0
	s_sub_i32 s0, s2, s0
	s_mul_i32 s2, s0, s99
	s_sub_i32 s1, s1, s2
	s_abs_i32 s10, s1
	v_readlane_b32 s2, v255, 20
	s_ashr_i32 s8, s6, 31
	s_mul_hi_u32 s9, s10, s2
	s_cmp_eq_u64 s[70:71], 0
	s_mov_b64 s[2:3], 0
	s_cbranch_scc1 .LBB29_475
; %bb.474:
	s_abs_i32 s2, s16
	v_cvt_f32_u32_e32 v1, s2
	s_sub_i32 s4, 0, s2
	s_abs_i32 s3, s6
	v_readlane_b32 s16, v255, 15
	v_rcp_iflag_f32_e32 v1, v1
	v_readlane_b32 s17, v255, 16
	v_mul_f32_e32 v1, 0x4f7ffffe, v1
	v_cvt_u32_f32_e32 v1, v1
	s_nop 0
	v_readfirstlane_b32 s5, v1
	s_mul_i32 s4, s4, s5
	s_mul_hi_u32 s4, s5, s4
	s_add_i32 s5, s5, s4
	s_mul_hi_u32 s4, s3, s5
	s_mul_i32 s4, s4, s2
	s_sub_i32 s3, s3, s4
	s_sub_i32 s4, s3, s2
	s_cmp_ge_u32 s3, s2
	s_cselect_b32 s3, s4, s3
	s_sub_i32 s4, s3, s2
	s_cmp_ge_u32 s3, s2
	s_cselect_b32 s2, s4, s3
	s_xor_b32 s2, s2, s8
	s_sub_i32 s2, s2, s8
	s_ashr_i32 s3, s2, 31
	s_mul_hi_u32 s4, s16, s2
	s_mul_i32 s3, s16, s3
	s_mul_i32 s5, s17, s2
	s_add_i32 s3, s4, s3
	s_add_i32 s3, s3, s5
	s_mul_i32 s2, s16, s2
	s_add_u32 s2, s70, s2
	s_addc_u32 s3, s71, s3
.LBB29_475:
	s_ashr_i32 s12, s1, 31
	v_readlane_b32 s1, v255, 2
	s_mul_i32 s11, s7, s1
	s_add_i32 s11, s11, s0
	v_cmp_le_f32_e64 s[0:1], s13, 0
	s_and_b64 vcc, exec, s[0:1]
	v_mov_b32_e32 v72, 1.0
	s_cbranch_vccnz .LBB29_477
; %bb.476:
	v_readlane_b32 s0, v255, 12
	v_mov_b32_e32 v2, s15
	v_mov_b32_e32 v3, s14
	;; [unrolled: 1-line block ×3, first 2 shown]
	v_sub_co_u32_e32 v1, vcc, s11, v1
	s_add_i32 s0, s11, 1
	v_lshlrev_b32_e32 v1, 1, v1
	v_cndmask_b32_e32 v2, v2, v3, vcc
	v_or_b32_e32 v1, 1, v1
	v_mov_b32_e32 v3, s0
	v_cndmask_b32_e32 v1, v1, v3, vcc
	v_cvt_f32_i32_e32 v1, v1
	v_cmp_neq_f32_e32 vcc, 1.0, v2
	s_mov_b32 s0, 0x3f2aaaab
	s_movk_i32 s4, 0x204
	v_cndmask_b32_e32 v1, 1.0, v1, vcc
	v_cmp_neq_f32_e32 vcc, 0, v1
	s_mov_b32 s1, 0x42b17218
	s_mov_b32 s5, 0x3fb8aa3b
	v_cndmask_b32_e32 v18, 1.0, v2, vcc
	v_frexp_mant_f32_e64 v2, |v18|
	v_cmp_gt_f32_e32 vcc, s0, v2
	s_mov_b32 s0, 0x3f317218
	s_brev_b32 s13, -2
	v_cndmask_b32_e64 v3, 1.0, 2.0, vcc
	v_mul_f32_e32 v2, v2, v3
	v_add_f32_e32 v5, 1.0, v2
	v_rcp_f32_e32 v10, v5
	v_add_f32_e32 v3, -1.0, v5
	v_sub_f32_e32 v7, v2, v3
	v_add_f32_e32 v3, -1.0, v2
	v_mul_f32_e32 v11, v3, v10
	v_mul_f32_e32 v4, v5, v11
	v_fma_f32 v6, v11, v5, -v4
	v_fmac_f32_e32 v6, v11, v7
	v_add_f32_e32 v2, v4, v6
	v_sub_f32_e32 v5, v3, v2
	v_pk_add_f32 v[8:9], v[2:3], v[4:5] neg_lo:[0,1] neg_hi:[0,1]
	v_mov_b32_e32 v7, v2
	v_pk_add_f32 v[2:3], v[8:9], v[6:7] neg_lo:[0,1] neg_hi:[0,1]
	v_mov_b32_e32 v6, 0x3e91f4c4
	v_add_f32_e32 v2, v2, v3
	v_add_f32_e32 v2, v5, v2
	v_mul_f32_e32 v3, v10, v2
	v_add_f32_e32 v2, v11, v3
	v_sub_f32_e32 v4, v2, v11
	v_sub_f32_e32 v12, v3, v4
	v_mul_f32_e32 v3, v2, v2
	v_fma_f32 v5, v2, v2, -v3
	v_add_f32_e32 v4, v12, v12
	v_fmac_f32_e32 v5, v2, v4
	v_add_f32_e32 v4, v3, v5
	v_fmac_f32_e32 v6, 0x3e76c4e1, v4
	v_fmaak_f32 v6, v4, v6, 0x3ecccdef
	v_sub_f32_e32 v3, v4, v3
	v_sub_f32_e32 v13, v5, v3
	v_mul_f32_e32 v3, v4, v6
	v_fma_f32 v5, v4, v6, -v3
	v_fmac_f32_e32 v5, v13, v6
	v_add_f32_e32 v6, v3, v5
	v_add_f32_e32 v7, 0x3f2aaaaa, v6
	v_sub_f32_e32 v3, v6, v3
	v_sub_f32_e32 v3, v5, v3
	v_add_f32_e32 v5, 0xbf2aaaaa, v7
	v_add_f32_e32 v3, 0x31739010, v3
	v_sub_f32_e32 v5, v6, v5
	v_pk_mul_f32 v[8:9], v[2:3], v[4:5]
	v_pk_add_f32 v[10:11], v[2:3], v[4:5]
	v_fma_f32 v6, v4, v2, -v8
	v_fmac_f32_e32 v6, v4, v12
	v_mov_b32_e32 v9, v11
	v_fmac_f32_e32 v6, v13, v2
	v_pk_add_f32 v[4:5], v[8:9], v[6:7]
	v_ldexp_f32 v14, v12, 1
	v_sub_f32_e32 v3, v4, v8
	v_sub_f32_e32 v3, v6, v3
	;; [unrolled: 1-line block ×3, first 2 shown]
	v_add_f32_e32 v9, v11, v6
	v_pk_mul_f32 v[6:7], v[4:5], v[4:5] op_sel:[0,1] op_sel_hi:[1,0]
	v_cvt_f64_f32_e64 v[10:11], |v18|
	v_frexp_exp_i32_f64_e32 v7, v[10:11]
	v_subbrev_co_u32_e32 v7, vcc, 0, v7, vcc
	v_cvt_f32_i32_e32 v7, v7
	v_fma_f32 v8, v4, v5, -v6
	v_fmac_f32_e32 v8, v4, v9
	v_fmac_f32_e32 v8, v3, v5
	v_mul_f32_e32 v4, 0x3f317218, v7
	v_fma_f32 v3, v7, s0, -v4
	v_fmamk_f32 v10, v7, 0xb102e308, v3
	v_ldexp_f32 v11, v2, 1
	v_add_f32_e32 v5, v6, v8
	v_pk_add_f32 v[2:3], v[4:5], v[10:11]
	v_mov_b32_e32 v12, v5
	v_mov_b32_e32 v13, v3
	;; [unrolled: 1-line block ×3, first 2 shown]
	v_pk_add_f32 v[6:7], v[12:13], v[6:7] neg_lo:[0,1] neg_hi:[0,1]
	v_mov_b32_e32 v9, v5
	v_pk_add_f32 v[6:7], v[8:9], v[6:7] neg_lo:[0,1] neg_hi:[0,1]
	v_mov_b32_e32 v11, v2
	v_add_f32_e32 v5, v14, v6
	v_add_f32_e32 v5, v5, v7
	v_pk_add_f32 v[6:7], v[2:3], v[4:5] neg_lo:[0,1] neg_hi:[0,1]
	v_pk_add_f32 v[8:9], v[2:3], v[4:5]
	v_mov_b32_e32 v16, v3
	v_mov_b32_e32 v7, v9
	v_pk_add_f32 v[12:13], v[10:11], v[6:7] neg_lo:[0,1] neg_hi:[0,1]
	v_pk_add_f32 v[6:7], v[10:11], v[6:7]
	v_mov_b32_e32 v4, v5
	v_pk_add_f32 v[10:11], v[6:7], v[2:3] op_sel:[1,0] op_sel_hi:[0,1] neg_lo:[0,1] neg_hi:[0,1]
	v_pk_add_f32 v[14:15], v[8:9], v[10:11] op_sel_hi:[1,0] neg_lo:[0,1] neg_hi:[0,1]
	v_mov_b32_e32 v8, v9
	v_mov_b32_e32 v9, v7
	;; [unrolled: 1-line block ×3, first 2 shown]
	v_pk_add_f32 v[8:9], v[8:9], v[16:17] neg_lo:[0,1] neg_hi:[0,1]
	v_mov_b32_e32 v5, v2
	v_pk_add_f32 v[2:3], v[4:5], v[8:9] neg_lo:[0,1] neg_hi:[0,1]
	v_mov_b32_e32 v14, v12
	v_pk_add_f32 v[4:5], v[14:15], v[2:3]
	v_mov_b32_e32 v13, v7
	v_pk_add_f32 v[8:9], v[4:5], v[4:5] op_sel:[0,1] op_sel_hi:[1,0]
	s_mov_b32 s0, 0x7f800000
	v_pk_add_f32 v[6:7], v[6:7], v[8:9] op_sel:[1,0] op_sel_hi:[0,1]
	v_mov_b32_e32 v5, v6
	v_pk_add_f32 v[10:11], v[4:5], v[12:13] neg_lo:[0,1] neg_hi:[0,1]
	v_mov_b32_e32 v3, v8
	v_sub_f32_e32 v4, v4, v10
	v_pk_add_f32 v[2:3], v[2:3], v[10:11] neg_lo:[0,1] neg_hi:[0,1]
	v_sub_f32_e32 v4, v12, v4
	v_add_f32_e32 v2, v2, v4
	v_add_f32_e32 v2, v2, v3
	;; [unrolled: 1-line block ×3, first 2 shown]
	v_sub_f32_e32 v4, v3, v6
	v_sub_f32_e32 v2, v2, v4
	v_mul_f32_e32 v4, v1, v3
	v_fma_f32 v3, v1, v3, -v4
	v_fmac_f32_e32 v3, v1, v2
	v_add_f32_e32 v2, v4, v3
	v_cmp_class_f32_e64 vcc, v4, s4
	v_sub_f32_e32 v5, v2, v4
	v_sub_f32_e32 v3, v3, v5
	v_cndmask_b32_e32 v2, v2, v4, vcc
	v_mov_b32_e32 v4, 0x37000000
	v_cmp_eq_f32_e32 vcc, s1, v2
	v_cmp_class_f32_e64 s[14:15], v18, s4
	s_nop 0
	v_cndmask_b32_e32 v4, 0, v4, vcc
	v_sub_f32_e32 v5, v2, v4
	v_mul_f32_e32 v6, 0x3fb8aa3b, v5
	v_fma_f32 v7, v5, s5, -v6
	v_rndne_f32_e32 v8, v6
	v_fmamk_f32 v7, v5, 0x32a5705f, v7
	v_sub_f32_e32 v6, v6, v8
	v_add_f32_e32 v6, v6, v7
	v_exp_f32_e32 v6, v6
	v_cvt_i32_f32_e32 v7, v8
	v_cmp_neq_f32_e64 vcc, |v2|, s0
	s_mov_b32 s0, 0xc2ce8ed0
	s_nop 0
	v_cndmask_b32_e32 v2, 0, v3, vcc
	v_ldexp_f32 v3, v6, v7
	v_cmp_ngt_f32_e32 vcc, s0, v5
	v_add_f32_e32 v2, v4, v2
	v_mov_b32_e32 v4, 0x7f800000
	v_cndmask_b32_e32 v3, 0, v3, vcc
	v_cmp_nlt_f32_e32 vcc, s1, v5
	v_mov_b32_e32 v5, 0x7fc00000
	s_nop 0
	v_cndmask_b32_e32 v3, v4, v3, vcc
	v_fma_f32 v2, v3, v2, v3
	v_cmp_class_f32_e64 vcc, v3, s4
	v_cmp_gt_f32_e64 s[4:5], 0, v1
	s_nop 0
	v_cndmask_b32_e32 v2, v2, v3, vcc
	v_trunc_f32_e32 v3, v1
	v_cmp_eq_f32_e32 vcc, v3, v1
	v_mul_f32_e32 v3, 0.5, v1
	v_trunc_f32_e32 v6, v3
	v_cmp_neq_f32_e64 s[0:1], v6, v3
	s_and_b64 s[0:1], vcc, s[0:1]
	s_nop 0
	v_cndmask_b32_e64 v3, 1.0, v18, s[0:1]
	v_bfi_b32 v2, s13, v2, v3
	v_cndmask_b32_e32 v3, v5, v2, vcc
	v_cmp_gt_f32_e32 vcc, 0, v18
	s_nop 1
	v_cndmask_b32_e32 v2, v2, v3, vcc
	v_cmp_eq_f32_e32 vcc, 0, v18
	s_xor_b64 s[4:5], s[4:5], vcc
	v_cndmask_b32_e64 v1, v4, 0, s[4:5]
	v_cndmask_b32_e64 v3, 0, v18, s[0:1]
	v_bfi_b32 v1, s13, v1, v3
	s_or_b64 vcc, vcc, s[14:15]
	v_cndmask_b32_e32 v1, v2, v1, vcc
	v_cmp_o_f32_e32 vcc, v18, v18
	s_nop 1
	v_cndmask_b32_e32 v72, v5, v1, vcc
.LBB29_477:
	s_mul_i32 s1, s9, s33
	v_readlane_b32 s0, v255, 19
	s_sub_i32 s1, s10, s1
	s_xor_b32 s0, s12, s0
	s_add_i32 s4, s9, 1
	s_sub_i32 s5, s1, s33
	s_cmp_ge_u32 s1, s33
	s_cselect_b32 s4, s4, s9
	s_cselect_b32 s1, s5, s1
	s_add_i32 s5, s4, 1
	s_cmp_ge_u32 s1, s33
	s_cselect_b32 s1, s5, s4
	s_xor_b32 s1, s1, s0
	s_sub_i32 s4, s1, s0
	s_cmp_eq_u64 s[74:75], 0
	v_mov_b32_e32 v32, s86
	s_cbranch_scc1 .LBB29_479
; %bb.478:
	v_readlane_b32 s0, v255, 0
	s_mul_i32 s0, s6, s0
	s_add_i32 s0, s4, s0
	s_ashr_i32 s1, s0, 31
	s_lshl_b64 s[0:1], s[0:1], 2
	s_add_u32 s0, s74, s0
	s_addc_u32 s1, s75, s1
	v_mov_b32_e32 v1, 0
	global_load_dword v1, v1, s[0:1]
	s_waitcnt vmcnt(0)
	v_ashrrev_i32_e32 v2, 31, v1
	v_lshrrev_b32_e32 v2, 26, v2
	v_add_u32_e32 v1, v1, v2
	v_ashrrev_i32_e32 v1, 6, v1
	v_min_i32_e32 v32, s86, v1
.LBB29_479:
	v_readlane_b32 s12, v255, 8
	v_readlane_b32 s13, v255, 9
	s_mul_i32 s0, s6, s13
	s_ashr_i32 s1, s0, 31
	s_add_u32 s0, s64, s0
	s_mul_i32 s11, s11, s12
	s_addc_u32 s1, s65, s1
	s_ashr_i32 s5, s11, 31
	s_add_u32 s0, s0, s11
	s_addc_u32 s1, s1, s5
	s_lshl_b32 s9, s4, 6
	v_and_b32_e32 v70, 0x3ff, v0
	v_add_u32_e32 v140, s9, v123
	s_mov_b32 s10, 0x10001
	v_lshl_add_u32 v71, v70, 2, 0
	v_cmp_le_i32_e32 vcc, s80, v140
	s_and_saveexec_b64 s[4:5], vcc
	s_xor_b64 s[4:5], exec, s[4:5]
; %bb.480:
	s_movk_i32 s11, 0x210
	v_mad_u32_u24 v0, v123, s11, v71
	v_mov_b32_e32 v1, 0
	ds_write2st64_b32 v0, v1, v1 offset1:1
; %bb.481:
	s_or_saveexec_b64 s[4:5], s[4:5]
	s_waitcnt vmcnt(0)
	v_mul_lo_u32 v0, v23, s10
	v_lshlrev_b32_e32 v139, 2, v70
	s_xor_b64 exec, exec, s[4:5]
	s_cbranch_execz .LBB29_483
; %bb.482:
	v_mad_u64_u32 v[2:3], s[10:11], v140, s63, v[70:71]
	v_ashrrev_i32_e32 v3, 31, v2
	v_lshl_add_u64 v[2:3], v[2:3], 3, s[0:1]
	global_load_dwordx2 v[4:5], v[2:3], off
	global_load_dwordx2 v[6:7], v[2:3], off offset:512
	v_mul_u32_u24_e32 v1, 0x210, v123
	v_add3_u32 v1, 0, v1, v139
	s_waitcnt vmcnt(1)
	v_cvt_pk_f16_f32 v2, v4, v5
	s_waitcnt vmcnt(0)
	v_cvt_pk_f16_f32 v3, v6, v7
	v_pk_mul_f16 v2, v2, v0
	v_pk_mul_f16 v3, v3, v0
	ds_write2st64_b32 v1, v2, v3 offset1:1
.LBB29_483:
	s_or_b64 exec, exec, s[4:5]
	v_add_u32_e32 v141, s9, v196
	v_cmp_le_i32_e32 vcc, s80, v141
	s_and_saveexec_b64 s[4:5], vcc
	s_xor_b64 s[4:5], exec, s[4:5]
; %bb.484:
	s_movk_i32 s10, 0x210
	v_mad_u32_u24 v1, v196, s10, v71
	v_mov_b32_e32 v2, 0
	ds_write2st64_b32 v1, v2, v2 offset1:1
                                        ; implicit-def: $vgpr196
; %bb.485:
	s_andn2_saveexec_b64 s[4:5], s[4:5]
	s_cbranch_execz .LBB29_487
; %bb.486:
	v_mad_u64_u32 v[2:3], s[10:11], v141, s63, v[70:71]
	v_ashrrev_i32_e32 v3, 31, v2
	v_lshl_add_u64 v[2:3], v[2:3], 3, s[0:1]
	global_load_dwordx2 v[4:5], v[2:3], off
	global_load_dwordx2 v[6:7], v[2:3], off offset:512
	v_mul_u32_u24_e32 v1, 0x210, v196
	v_add3_u32 v1, 0, v1, v139
	s_waitcnt vmcnt(1)
	v_cvt_pk_f16_f32 v2, v4, v5
	s_waitcnt vmcnt(0)
	v_cvt_pk_f16_f32 v3, v6, v7
	v_pk_mul_f16 v2, v2, v0
	v_pk_mul_f16 v3, v3, v0
	ds_write2st64_b32 v1, v2, v3 offset1:1
.LBB29_487:
	s_or_b64 exec, exec, s[4:5]
	v_add_u32_e32 v143, s9, v195
	v_cmp_le_i32_e32 vcc, s80, v143
	s_and_saveexec_b64 s[4:5], vcc
	s_xor_b64 s[4:5], exec, s[4:5]
; %bb.488:
	s_movk_i32 s10, 0x210
	v_mad_u32_u24 v1, v195, s10, v71
	v_mov_b32_e32 v2, 0
	ds_write2st64_b32 v1, v2, v2 offset1:1
                                        ; implicit-def: $vgpr195
; %bb.489:
	s_andn2_saveexec_b64 s[4:5], s[4:5]
	s_cbranch_execz .LBB29_491
; %bb.490:
	v_mad_u64_u32 v[2:3], s[10:11], v143, s63, v[70:71]
	v_ashrrev_i32_e32 v3, 31, v2
	v_lshl_add_u64 v[2:3], v[2:3], 3, s[0:1]
	global_load_dwordx2 v[4:5], v[2:3], off
	global_load_dwordx2 v[6:7], v[2:3], off offset:512
	v_mul_u32_u24_e32 v1, 0x210, v195
	v_add3_u32 v1, 0, v1, v139
	s_waitcnt vmcnt(1)
	v_cvt_pk_f16_f32 v2, v4, v5
	s_waitcnt vmcnt(0)
	v_cvt_pk_f16_f32 v3, v6, v7
	v_pk_mul_f16 v2, v2, v0
	v_pk_mul_f16 v3, v3, v0
	ds_write2st64_b32 v1, v2, v3 offset1:1
.LBB29_491:
	s_or_b64 exec, exec, s[4:5]
	v_add_u32_e32 v144, s9, v194
	v_cmp_le_i32_e32 vcc, s80, v144
	s_and_saveexec_b64 s[4:5], vcc
	s_xor_b64 s[4:5], exec, s[4:5]
; %bb.492:
	s_movk_i32 s10, 0x210
	v_mad_u32_u24 v1, v194, s10, v71
	v_mov_b32_e32 v2, 0
	ds_write2st64_b32 v1, v2, v2 offset1:1
                                        ; implicit-def: $vgpr194
; %bb.493:
	s_andn2_saveexec_b64 s[4:5], s[4:5]
	s_cbranch_execz .LBB29_495
; %bb.494:
	v_mad_u64_u32 v[2:3], s[10:11], v144, s63, v[70:71]
	v_ashrrev_i32_e32 v3, 31, v2
	v_lshl_add_u64 v[2:3], v[2:3], 3, s[0:1]
	global_load_dwordx2 v[4:5], v[2:3], off
	global_load_dwordx2 v[6:7], v[2:3], off offset:512
	v_mul_u32_u24_e32 v1, 0x210, v194
	v_add3_u32 v1, 0, v1, v139
	s_waitcnt vmcnt(1)
	v_cvt_pk_f16_f32 v2, v4, v5
	s_waitcnt vmcnt(0)
	v_cvt_pk_f16_f32 v3, v6, v7
	v_pk_mul_f16 v2, v2, v0
	v_pk_mul_f16 v3, v3, v0
	ds_write2st64_b32 v1, v2, v3 offset1:1
.LBB29_495:
	s_or_b64 exec, exec, s[4:5]
	v_add_u32_e32 v145, s9, v193
	v_cmp_le_i32_e32 vcc, s80, v145
	s_and_saveexec_b64 s[4:5], vcc
	s_xor_b64 s[4:5], exec, s[4:5]
; %bb.496:
	s_movk_i32 s10, 0x210
	v_mad_u32_u24 v1, v193, s10, v71
	v_mov_b32_e32 v2, 0
	ds_write2st64_b32 v1, v2, v2 offset1:1
                                        ; implicit-def: $vgpr193
; %bb.497:
	s_andn2_saveexec_b64 s[4:5], s[4:5]
	s_cbranch_execz .LBB29_499
; %bb.498:
	v_mad_u64_u32 v[2:3], s[10:11], v145, s63, v[70:71]
	v_ashrrev_i32_e32 v3, 31, v2
	v_lshl_add_u64 v[2:3], v[2:3], 3, s[0:1]
	global_load_dwordx2 v[4:5], v[2:3], off
	global_load_dwordx2 v[6:7], v[2:3], off offset:512
	v_mul_u32_u24_e32 v1, 0x210, v193
	v_add3_u32 v1, 0, v1, v139
	s_waitcnt vmcnt(1)
	v_cvt_pk_f16_f32 v2, v4, v5
	s_waitcnt vmcnt(0)
	v_cvt_pk_f16_f32 v3, v6, v7
	v_pk_mul_f16 v2, v2, v0
	v_pk_mul_f16 v3, v3, v0
	ds_write2st64_b32 v1, v2, v3 offset1:1
.LBB29_499:
	s_or_b64 exec, exec, s[4:5]
	v_add_u32_e32 v146, s9, v192
	v_cmp_le_i32_e32 vcc, s80, v146
	s_and_saveexec_b64 s[4:5], vcc
	s_xor_b64 s[4:5], exec, s[4:5]
; %bb.500:
	s_movk_i32 s10, 0x210
	v_mad_u32_u24 v1, v192, s10, v71
	v_mov_b32_e32 v2, 0
	ds_write2st64_b32 v1, v2, v2 offset1:1
                                        ; implicit-def: $vgpr192
; %bb.501:
	s_andn2_saveexec_b64 s[4:5], s[4:5]
	s_cbranch_execz .LBB29_503
; %bb.502:
	v_mad_u64_u32 v[2:3], s[10:11], v146, s63, v[70:71]
	v_ashrrev_i32_e32 v3, 31, v2
	v_lshl_add_u64 v[2:3], v[2:3], 3, s[0:1]
	global_load_dwordx2 v[4:5], v[2:3], off
	global_load_dwordx2 v[6:7], v[2:3], off offset:512
	v_mul_u32_u24_e32 v1, 0x210, v192
	v_add3_u32 v1, 0, v1, v139
	s_waitcnt vmcnt(1)
	v_cvt_pk_f16_f32 v2, v4, v5
	s_waitcnt vmcnt(0)
	v_cvt_pk_f16_f32 v3, v6, v7
	v_pk_mul_f16 v2, v2, v0
	v_pk_mul_f16 v3, v3, v0
	ds_write2st64_b32 v1, v2, v3 offset1:1
.LBB29_503:
	s_or_b64 exec, exec, s[4:5]
	v_add_u32_e32 v148, s9, v99
	v_cmp_le_i32_e32 vcc, s80, v148
	s_and_saveexec_b64 s[4:5], vcc
	s_xor_b64 s[4:5], exec, s[4:5]
; %bb.504:
	s_movk_i32 s10, 0x210
	v_mad_u32_u24 v1, v99, s10, v71
	v_mov_b32_e32 v2, 0
	ds_write2st64_b32 v1, v2, v2 offset1:1
                                        ; implicit-def: $vgpr99
; %bb.505:
	s_andn2_saveexec_b64 s[4:5], s[4:5]
	s_cbranch_execz .LBB29_507
; %bb.506:
	v_mad_u64_u32 v[2:3], s[10:11], v148, s63, v[70:71]
	v_ashrrev_i32_e32 v3, 31, v2
	v_lshl_add_u64 v[2:3], v[2:3], 3, s[0:1]
	global_load_dwordx2 v[4:5], v[2:3], off
	global_load_dwordx2 v[6:7], v[2:3], off offset:512
	v_mul_u32_u24_e32 v1, 0x210, v99
	v_add3_u32 v1, 0, v1, v139
	s_waitcnt vmcnt(1)
	v_cvt_pk_f16_f32 v2, v4, v5
	s_waitcnt vmcnt(0)
	v_cvt_pk_f16_f32 v3, v6, v7
	v_pk_mul_f16 v2, v2, v0
	v_pk_mul_f16 v3, v3, v0
	ds_write2st64_b32 v1, v2, v3 offset1:1
.LBB29_507:
	s_or_b64 exec, exec, s[4:5]
	v_add_u32_e32 v149, s9, v95
	v_cmp_le_i32_e32 vcc, s80, v149
	s_and_saveexec_b64 s[4:5], vcc
	s_xor_b64 s[4:5], exec, s[4:5]
; %bb.508:
	s_movk_i32 s9, 0x210
	v_mad_u32_u24 v0, v95, s9, v71
	v_mov_b32_e32 v1, 0
	ds_write2st64_b32 v0, v1, v1 offset1:1
                                        ; implicit-def: $vgpr95
                                        ; implicit-def: $vgpr0
; %bb.509:
	s_andn2_saveexec_b64 s[4:5], s[4:5]
	s_cbranch_execz .LBB29_511
; %bb.510:
	v_mad_u64_u32 v[2:3], s[10:11], v149, s63, v[70:71]
	v_ashrrev_i32_e32 v3, 31, v2
	v_lshl_add_u64 v[2:3], v[2:3], 3, s[0:1]
	global_load_dwordx2 v[4:5], v[2:3], off
	global_load_dwordx2 v[6:7], v[2:3], off offset:512
	v_mul_u32_u24_e32 v1, 0x210, v95
	v_add3_u32 v1, 0, v1, v139
	s_waitcnt vmcnt(1)
	v_cvt_pk_f16_f32 v2, v4, v5
	s_waitcnt vmcnt(0)
	v_cvt_pk_f16_f32 v3, v6, v7
	v_pk_mul_f16 v2, v2, v0
	v_pk_mul_f16 v0, v3, v0
	ds_write2st64_b32 v1, v2, v0 offset1:1
.LBB29_511:
	s_or_b64 exec, exec, s[4:5]
	v_readlane_b32 s4, v255, 13
	v_readlane_b32 s5, v255, 14
	s_mul_i32 s0, s4, s8
	s_mul_hi_u32 s1, s4, s6
	s_add_i32 s0, s1, s0
	s_mul_i32 s1, s5, s6
	s_add_i32 s0, s0, s1
	s_mul_i32 s1, s4, s6
	s_add_u32 s1, s68, s1
	s_mul_i32 s4, s7, s87
	s_addc_u32 s0, s69, s0
	s_ashr_i32 s5, s4, 31
	s_add_u32 s33, s1, s4
	s_addc_u32 s40, s0, s5
	s_mul_i32 s0, s84, s8
	s_mul_hi_u32 s1, s84, s6
	s_add_i32 s0, s1, s0
	s_mul_i32 s1, s85, s6
	v_readlane_b32 s4, v255, 17
	s_add_i32 s0, s0, s1
	s_mul_i32 s1, s84, s6
	v_readlane_b32 s5, v255, 18
	s_add_u32 s1, s66, s1
	s_mul_i32 s7, s7, s5
	s_addc_u32 s0, s67, s0
	s_ashr_i32 s4, s7, 31
	s_add_u32 s41, s1, s7
	v_lshrrev_b32_e32 v1, 3, v70
	s_addc_u32 s43, s0, s4
	v_and_b32_e32 v33, 0x1ff0, v241
	s_movk_i32 s0, 0x210
	v_and_b32_e32 v118, 15, v70
	v_and_b32_e32 v1, 0x7e, v1
	v_mad_u32_u24 v0, v33, s0, 0
	v_mul_u32_u24_e32 v147, 0x210, v118
	v_lshlrev_b32_e32 v119, 2, v1
	v_add3_u32 v0, v0, v147, v119
	s_waitcnt lgkmcnt(0)
	s_barrier
	ds_read2_b64 v[28:31], v0 offset1:4
	ds_read2_b64 v[24:27], v0 offset0:8 offset1:12
	ds_read2_b64 v[20:23], v0 offset0:16 offset1:20
	;; [unrolled: 1-line block ×7, first 2 shown]
	v_add_u32_e32 v151, -1, v32
	v_cmp_ge_i32_e32 vcc, s42, v151
	s_mov_b32 s44, 0
	s_and_b64 vcc, exec, vcc
	v_or_b32_e32 v142, v33, v118
	v_lshlrev_b32_e32 v74, 1, v70
	v_mbcnt_lo_u32_b32 v138, -1, 0
	v_and_b32_e32 v136, 8, v241
	v_lshrrev_b32_e32 v150, 5, v70
	v_lshrrev_b32_e32 v137, 2, v70
	v_lshlrev_b32_e32 v135, 1, v118
	s_waitcnt lgkmcnt(0)
	s_barrier
	s_cbranch_vccnz .LBB29_524
; %bb.512:
	v_mul_hi_u32 v32, s96, v140
	v_add_u32_e32 v32, v140, v32
	v_lshrrev_b32_e32 v32, s97, v32
	v_mul_lo_u32 v32, v32, s80
	v_sub_u32_e32 v32, v140, v32
	v_mad_i64_i32 v[80:81], s[4:5], v32, s98, 0
	v_mul_hi_u32 v32, s96, v141
	v_add_u32_e32 v32, v141, v32
	v_lshrrev_b32_e32 v32, s97, v32
	v_mul_lo_u32 v32, v32, s80
	v_sub_u32_e32 v32, v141, v32
	v_mad_i64_i32 v[82:83], s[4:5], v32, s98, 0
	;; [unrolled: 6-line block ×8, first 2 shown]
	v_mbcnt_hi_u32_b32 v32, -1, v138
	v_and_b32_e32 v37, 64, v32
	v_add_u32_e32 v37, 64, v37
	v_xor_b32_e32 v38, 32, v32
	v_mov_b32_e32 v77, 0
	v_cmp_lt_i32_e32 vcc, v38, v37
	v_mov_b32_e32 v75, v77
	v_lshl_add_u64 v[78:79], s[2:3], 0, v[74:75]
	v_cndmask_b32_e32 v38, v32, v38, vcc
	v_lshlrev_b32_e32 v75, 2, v38
	v_xor_b32_e32 v38, 16, v32
	v_cmp_lt_i32_e32 vcc, v38, v37
	s_cmp_lg_u64 s[2:3], 0
	s_cselect_b64 s[34:35], -1, 0
	v_cndmask_b32_e32 v32, v32, v38, vcc
	v_lshlrev_b32_e32 v152, 2, v32
	v_lshl_add_u32 v38, v123, 1, v150
	v_and_b32_e32 v32, 0x7c, v139
	v_mul_u32_u24_e32 v39, 0x210, v38
	v_lshlrev_b32_e32 v40, 2, v32
	v_and_b32_e32 v35, 16, v240
	v_add3_u32 v153, 0, v39, v40
	v_mul_lo_u32 v96, s94, v38
	s_lshl_b32 s11, s94, 4
	v_and_b32_e32 v40, 0xfc, v137
	v_mul_lo_u32 v104, s82, v38
	s_lshl_b32 s26, s82, 4
	s_movk_i32 s10, 0x90
	v_mul_u32_u24_e32 v36, 0x210, v35
	s_movk_i32 s4, 0x420
	v_add_u32_e32 v98, s11, v96
	v_add_u32_e32 v41, v40, v35
	v_add_u16_e32 v35, v40, v35
	v_add_u32_e32 v106, s26, v104
	v_mad_u32_u24 v37, v136, s4, 0
	v_cmp_gt_u32_e64 s[28:29], 64, v38
	v_cmp_gt_u32_e64 s[4:5], 48, v38
	v_cmp_gt_u32_e64 s[6:7], 32, v38
	v_add_u32_e32 v100, s11, v98
	v_cmp_gt_u32_e64 s[8:9], 16, v38
	v_mad_u32_u24 v42, v142, s10, 0
	v_lshrrev_b16_e32 v35, 1, v35
	v_add_u32_e32 v108, s26, v106
	v_mul_u32_u24_e32 v38, 0x210, v40
	v_or_b32_e32 v40, 3, v137
	s_mov_b64 s[30:31], src_private_base
	v_add_u32_e32 v33, 0, v74
	v_mul_u32_u24_e32 v34, 0x90, v123
	v_add_u32_e32 v102, s11, v100
	v_add3_u32 v39, 0, v147, v119
	v_lshl_add_u32 v35, v35, 2, v42
	v_lshl_add_u32 v42, v41, 1, v42
	v_add_u32_e32 v110, s26, v108
	v_mul_u32_u24_e32 v40, 0x210, v40
	v_cmp_lt_u32_e64 s[0:1], 63, v70
	v_ashrrev_i32_e32 v97, 31, v96
	v_add_u32_e32 v154, 0x2100, v153
	v_ashrrev_i32_e32 v99, 31, v98
	v_add_u32_e32 v155, 0x4200, v153
	;; [unrolled: 2-line block ×4, first 2 shown]
	v_add_u32_e32 v158, 0x44, v42
	v_cmp_gt_u32_e64 s[10:11], 64, v41
	v_cmp_gt_u32_e64 s[12:13], 63, v41
	;; [unrolled: 1-line block ×8, first 2 shown]
	v_ashrrev_i32_e32 v105, 31, v104
	v_ashrrev_i32_e32 v107, 31, v106
	;; [unrolled: 1-line block ×4, first 2 shown]
	v_add3_u32 v159, v37, v38, v135
	v_add3_u32 v160, v37, v40, v135
	v_mov_b32_e32 v112, v72
	v_mov_b32_e32 v113, v72
	s_lshl_b32 s36, s42, 6
	v_mov_b32_e32 v46, 0xfeffffff
	v_lshlrev_b32_e32 v76, 2, v32
	v_add_u32_e32 v161, v39, v36
	v_add_u32_e32 v162, 0x8400, v35
	s_mov_b32 s30, 0x3fb8aa3b
	s_mov_b32 s45, 0xc2ce8ed0
	;; [unrolled: 1-line block ×5, first 2 shown]
	v_add_u32_e32 v163, v33, v34
	v_mov_b32_e32 v164, 0
	v_mov_b32_e32 v176, v77
	;; [unrolled: 1-line block ×39, first 2 shown]
.LBB29_513:                             ; =>This Inner Loop Header: Depth=1
	v_cndmask_b32_e64 v32, 0, 1, s[34:35]
	v_cmp_ne_u32_e64 s[26:27], 1, v32
	s_andn2_b64 vcc, exec, s[34:35]
	s_ashr_i32 s37, s36, 31
	s_cbranch_vccnz .LBB29_519
; %bb.514:                              ;   in Loop: Header=BB29_513 Depth=1
	s_and_saveexec_b64 s[38:39], s[0:1]
	s_xor_b64 s[38:39], exec, s[38:39]
	s_cbranch_execz .LBB29_516
; %bb.515:                              ;   in Loop: Header=BB29_513 Depth=1
	ds_write_b16 v163, v77 offset:33792
	ds_write_b16 v163, v77 offset:34944
	;; [unrolled: 1-line block ×4, first 2 shown]
.LBB29_516:                             ;   in Loop: Header=BB29_513 Depth=1
	s_or_saveexec_b64 s[38:39], s[38:39]
	v_mov_b32_e32 v32, 0
	v_mov_b32_e32 v33, 0
	;; [unrolled: 1-line block ×4, first 2 shown]
	s_xor_b64 exec, exec, s[38:39]
	s_cbranch_execz .LBB29_518
; %bb.517:                              ;   in Loop: Header=BB29_513 Depth=1
	v_lshl_add_u64 v[32:33], s[36:37], 1, v[78:79]
	v_lshl_add_u64 v[34:35], v[80:81], 1, v[32:33]
	v_lshl_add_u64 v[36:37], v[82:83], 1, v[32:33]
	v_lshl_add_u64 v[38:39], v[84:85], 1, v[32:33]
	v_lshl_add_u64 v[48:49], v[86:87], 1, v[32:33]
	v_lshl_add_u64 v[56:57], v[88:89], 1, v[32:33]
	v_lshl_add_u64 v[60:61], v[90:91], 1, v[32:33]
	v_lshl_add_u64 v[64:65], v[92:93], 1, v[32:33]
	v_lshl_add_u64 v[68:69], v[94:95], 1, v[32:33]
	global_load_ushort v47, v[34:35], off
	s_nop 0
	global_load_ushort v36, v[36:37], off
	s_nop 0
	;; [unrolled: 2-line block ×3, first 2 shown]
	global_load_ushort v38, v[48:49], off
	global_load_ushort v32, v[56:57], off
	global_load_ushort v33, v[60:61], off
	global_load_ushort v34, v[64:65], off
	global_load_ushort v35, v[68:69], off
	s_waitcnt vmcnt(7)
	ds_write_b16 v163, v47 offset:33792
	s_waitcnt vmcnt(6)
	ds_write_b16 v163, v36 offset:34944
	;; [unrolled: 2-line block ×4, first 2 shown]
.LBB29_518:                             ;   in Loop: Header=BB29_513 Depth=1
	s_or_b64 exec, exec, s[38:39]
	s_waitcnt vmcnt(3)
	ds_write_b16 v163, v32 offset:38400
	s_waitcnt vmcnt(2)
	ds_write_b16 v163, v33 offset:39552
	;; [unrolled: 2-line block ×4, first 2 shown]
.LBB29_519:                             ;   in Loop: Header=BB29_513 Depth=1
	s_mul_hi_i32 s39, s36, s94
	s_mul_i32 s38, s36, s94
	s_lshl_b64 s[38:39], s[38:39], 2
	s_add_u32 s38, s41, s38
	s_addc_u32 s39, s43, s39
	v_lshl_add_u64 v[32:33], v[96:97], 2, s[38:39]
	v_lshl_add_u64 v[32:33], v[32:33], 0, v[76:77]
	v_mov_b32_e32 v38, s31
	v_cndmask_b32_e64 v33, v38, v33, s[28:29]
	v_cndmask_b32_e64 v32, v164, v32, s[28:29]
	scratch_store_dwordx4 off, v[176:179], off
	flat_load_dwordx4 v[32:35], v[32:33]
	v_lshl_add_u64 v[36:37], v[98:99], 2, s[38:39]
	v_lshl_add_u64 v[36:37], v[36:37], 0, v[76:77]
	v_cndmask_b32_e64 v37, v38, v37, s[4:5]
	v_cndmask_b32_e64 v36, v164, v36, s[4:5]
	v_add_u32_e32 v47, 0x4000, v161
	s_and_b64 vcc, exec, s[26:27]
	s_waitcnt vmcnt(0) lgkmcnt(0)
	ds_write_b128 v153, v[32:35]
	flat_load_dwordx4 v[32:35], v[36:37]
	v_lshl_add_u64 v[36:37], v[100:101], 2, s[38:39]
	v_lshl_add_u64 v[36:37], v[36:37], 0, v[76:77]
	v_cndmask_b32_e64 v37, v38, v37, s[6:7]
	v_cndmask_b32_e64 v36, v164, v36, s[6:7]
	s_waitcnt vmcnt(0) lgkmcnt(0)
	ds_write_b128 v154, v[32:35]
	flat_load_dwordx4 v[32:35], v[36:37]
	v_lshl_add_u64 v[36:37], v[102:103], 2, s[38:39]
	v_lshl_add_u64 v[36:37], v[36:37], 0, v[76:77]
	v_cndmask_b32_e64 v37, v38, v37, s[8:9]
	v_cndmask_b32_e64 v36, v164, v36, s[8:9]
	s_waitcnt vmcnt(0) lgkmcnt(0)
	ds_write_b128 v155, v[32:35]
	flat_load_dwordx4 v[32:35], v[36:37]
	s_waitcnt vmcnt(0) lgkmcnt(0)
	ds_write_b128 v156, v[32:35]
	s_waitcnt lgkmcnt(0)
	s_barrier
	ds_read2_b64 v[32:35], v161 offset1:4
	ds_read2_b64 v[114:117], v47 offset0:64 offset1:68
	s_waitcnt lgkmcnt(1)
	v_mfma_f32_16x16x16_f16 v[36:39], v[32:33], v[28:29], 0
	s_waitcnt lgkmcnt(0)
	v_mfma_f32_16x16x16_f16 v[168:171], v[114:115], v[28:29], 0
	v_mfma_f32_16x16x16_f16 v[32:35], v[34:35], v[30:31], v[36:39]
	;; [unrolled: 1-line block ×3, first 2 shown]
	ds_read2_b64 v[114:117], v161 offset0:8 offset1:12
	s_nop 4
	ds_read2_b64 v[168:171], v47 offset0:72 offset1:76
	s_waitcnt lgkmcnt(1)
	v_mfma_f32_16x16x16_f16 v[32:35], v[114:115], v[24:25], v[32:35]
	s_waitcnt lgkmcnt(0)
	v_mfma_f32_16x16x16_f16 v[36:39], v[168:169], v[24:25], v[36:39]
	v_mfma_f32_16x16x16_f16 v[32:35], v[116:117], v[26:27], v[32:35]
	ds_read2_b64 v[114:117], v161 offset0:16 offset1:20
	v_mfma_f32_16x16x16_f16 v[36:39], v[170:171], v[26:27], v[36:39]
	ds_read2_b64 v[168:171], v47 offset0:80 offset1:84
	s_waitcnt lgkmcnt(1)
	v_mfma_f32_16x16x16_f16 v[32:35], v[114:115], v[20:21], v[32:35]
	s_waitcnt lgkmcnt(0)
	v_mfma_f32_16x16x16_f16 v[36:39], v[168:169], v[20:21], v[36:39]
	v_mfma_f32_16x16x16_f16 v[32:35], v[116:117], v[22:23], v[32:35]
	ds_read2_b64 v[114:117], v161 offset0:24 offset1:28
	v_mfma_f32_16x16x16_f16 v[36:39], v[170:171], v[22:23], v[36:39]
	;; [unrolled: 8-line block ×6, first 2 shown]
	ds_read2_b64 v[168:171], v47 offset0:120 offset1:124
	s_waitcnt lgkmcnt(0)
	s_barrier
	v_mfma_f32_16x16x16_f16 v[32:35], v[114:115], v[0:1], v[32:35]
	v_mfma_f32_16x16x16_f16 v[172:175], v[168:169], v[0:1], v[36:39]
	;; [unrolled: 1-line block ×4, first 2 shown]
	s_cbranch_vccnz .LBB29_521
; %bb.520:                              ;   in Loop: Header=BB29_513 Depth=1
	ds_read2_b32 v[48:49], v162 offset1:1
	ds_read_b32 v47, v157 offset:33792
	ds_read_b32 v60, v158 offset:33792
	v_mov_b32_e32 v73, v72
	s_waitcnt lgkmcnt(2)
	v_cvt_f32_f16_e32 v56, v48
	v_cvt_f32_f16_sdwa v57, v48 dst_sel:DWORD dst_unused:UNUSED_PAD src0_sel:WORD_1
	v_cvt_f32_f16_e32 v48, v49
	v_cvt_f32_f16_sdwa v49, v49 dst_sel:DWORD dst_unused:UNUSED_PAD src0_sel:WORD_1
	s_waitcnt lgkmcnt(1)
	v_cvt_f32_f16_sdwa v61, v47 dst_sel:DWORD dst_unused:UNUSED_PAD src0_sel:WORD_1
	s_waitcnt lgkmcnt(0)
	v_cvt_f32_f16_sdwa v65, v60 dst_sel:DWORD dst_unused:UNUSED_PAD src0_sel:WORD_1
	v_cvt_f32_f16_e32 v64, v60
	v_cvt_f32_f16_e32 v60, v47
	v_pk_fma_f32 v[38:39], v[72:73], v[48:49], v[38:39]
	v_pk_fma_f32 v[36:37], v[112:113], v[56:57], v[36:37]
	;; [unrolled: 1-line block ×4, first 2 shown]
.LBB29_521:                             ;   in Loop: Header=BB29_513 Depth=1
	s_mul_hi_i32 s27, s36, s82
	s_mul_i32 s26, s36, s82
	s_lshl_b64 s[26:27], s[26:27], 2
	s_add_u32 s26, s33, s26
	s_addc_u32 s27, s40, s27
	v_lshl_add_u64 v[48:49], v[104:105], 2, s[26:27]
	v_lshl_add_u64 v[48:49], v[48:49], 0, v[76:77]
	v_mov_b32_e32 v73, s31
	v_cndmask_b32_e64 v49, v73, v49, s[28:29]
	v_cndmask_b32_e64 v48, v164, v48, s[28:29]
	scratch_store_dwordx4 off, v[176:179], off
	flat_load_dwordx4 v[114:117], v[48:49]
	v_lshl_add_u64 v[48:49], v[106:107], 2, s[26:27]
	v_lshl_add_u64 v[48:49], v[48:49], 0, v[76:77]
	v_cndmask_b32_e64 v49, v73, v49, s[4:5]
	v_cndmask_b32_e64 v48, v164, v48, s[4:5]
	v_add_f32_e32 v64, 0x40051340, v36
	v_max_f32_e32 v65, v46, v46
	v_max_f32_e32 v64, v65, v64
	v_cndmask_b32_e64 v172, v46, v64, s[10:11]
	v_add_f32_e32 v68, 0x40051340, v37
	v_max_f32_e32 v64, v172, v172
	v_max_f32_e32 v68, v64, v68
	;; [unrolled: 4-line block ×8, first 2 shown]
	v_cndmask_b32_e64 v167, v68, v69, s[24:25]
	ds_bpermute_b32 v168, v75, v167
	v_max_f32_e32 v167, v167, v167
	v_lshl_add_u64 v[64:65], v[108:109], 2, s[26:27]
	v_lshl_add_u64 v[68:69], v[110:111], 2, s[26:27]
	;; [unrolled: 1-line block ×3, first 2 shown]
	s_waitcnt lgkmcnt(0)
	v_max_f32_e32 v168, v168, v168
	v_max_f32_e32 v167, v167, v168
	ds_bpermute_b32 v168, v152, v167
	v_lshl_add_u64 v[68:69], v[68:69], 0, v[76:77]
	v_cndmask_b32_e64 v65, v73, v65, s[6:7]
	v_cndmask_b32_e64 v69, v73, v69, s[8:9]
	;; [unrolled: 1-line block ×3, first 2 shown]
	s_waitcnt lgkmcnt(0)
	v_max_f32_e32 v73, v168, v168
	v_max_f32_e32 v73, v167, v73
	v_sub_f32_e32 v167, v36, v73
	v_sub_f32_e32 v168, v37, v73
	;; [unrolled: 1-line block ×4, first 2 shown]
	v_cndmask_b32_e64 v68, v164, v68, s[8:9]
	v_sub_f32_e32 v32, v32, v73
	v_sub_f32_e32 v33, v33, v73
	;; [unrolled: 1-line block ×4, first 2 shown]
	v_mul_f32_e32 v171, 0x3fb8aa3b, v34
	v_sub_f32_e32 v46, v46, v73
	v_mul_f32_e32 v172, 0x3fb8aa3b, v35
	v_fma_f32 v190, v34, s30, -v171
	v_rndne_f32_e32 v191, v171
	v_mul_f32_e32 v173, 0x3fb8aa3b, v46
	v_fma_f32 v192, v35, s30, -v172
	v_rndne_f32_e32 v193, v172
	v_fmac_f32_e32 v190, 0x32a5705f, v34
	v_sub_f32_e32 v171, v171, v191
	v_cmp_ngt_f32_e32 vcc, s45, v167
	v_fma_f32 v194, v46, s30, -v173
	v_rndne_f32_e32 v195, v173
	v_fmac_f32_e32 v192, 0x32a5705f, v35
	v_sub_f32_e32 v172, v172, v193
	v_add_f32_e32 v171, v171, v190
	v_cvt_i32_f32_e32 v191, v191
	v_fmac_f32_e32 v194, 0x32a5705f, v46
	v_sub_f32_e32 v173, v173, v195
	v_add_f32_e32 v172, v172, v192
	s_waitcnt vmcnt(0)
	ds_write_b128 v153, v[114:117]
	flat_load_dwordx4 v[114:117], v[48:49]
	v_exp_f32_e32 v171, v171
	v_cvt_i32_f32_e32 v193, v193
	v_add_f32_e32 v173, v173, v194
	v_exp_f32_e32 v172, v172
	v_cvt_i32_f32_e32 v195, v195
	v_exp_f32_e32 v173, v173
	v_mov_b32_e32 v47, s44
	v_mov_b32_e32 v48, s44
	;; [unrolled: 1-line block ×7, first 2 shown]
	s_add_i32 s42, s42, 1
	s_add_i32 s36, s36, 64
	s_waitcnt vmcnt(0) lgkmcnt(0)
	ds_write_b128 v154, v[114:117]
	flat_load_dwordx4 v[36:39], v[64:65]
	v_mul_f32_e32 v65, 0x3fb8aa3b, v168
	v_mul_f32_e32 v114, 0x3fb8aa3b, v169
	v_fma_f32 v180, v168, s30, -v65
	v_rndne_f32_e32 v181, v65
	v_fma_f32 v182, v169, s30, -v114
	v_rndne_f32_e32 v183, v114
	v_fmac_f32_e32 v180, 0x32a5705f, v168
	v_sub_f32_e32 v65, v65, v181
	v_fmac_f32_e32 v182, 0x32a5705f, v169
	v_sub_f32_e32 v114, v114, v183
	v_add_f32_e32 v65, v65, v180
	v_add_f32_e32 v114, v114, v182
	v_cvt_i32_f32_e32 v181, v181
	v_cvt_i32_f32_e32 v183, v183
	v_exp_f32_e32 v65, v65
	v_exp_f32_e32 v114, v114
	v_mul_f32_e32 v64, 0x3fb8aa3b, v167
	v_fma_f32 v174, v167, s30, -v64
	v_ldexp_f32 v65, v65, v181
	v_ldexp_f32 v114, v114, v183
	v_rndne_f32_e32 v175, v64
	v_fmac_f32_e32 v174, 0x32a5705f, v167
	v_sub_f32_e32 v64, v64, v175
	v_mul_f32_e32 v115, 0x3fb8aa3b, v170
	v_add_f32_e32 v64, v64, v174
	v_mul_f32_e32 v116, 0x3fb8aa3b, v32
	v_fma_f32 v184, v170, s30, -v115
	v_rndne_f32_e32 v185, v115
	v_cvt_i32_f32_e32 v175, v175
	v_exp_f32_e32 v64, v64
	v_mul_f32_e32 v117, 0x3fb8aa3b, v33
	v_fma_f32 v186, v32, s30, -v116
	v_rndne_f32_e32 v187, v116
	v_fmac_f32_e32 v184, 0x32a5705f, v170
	v_sub_f32_e32 v115, v115, v185
	v_fma_f32 v188, v33, s30, -v117
	v_rndne_f32_e32 v189, v117
	v_fmac_f32_e32 v186, 0x32a5705f, v32
	v_sub_f32_e32 v116, v116, v187
	v_add_f32_e32 v115, v115, v184
	v_cvt_i32_f32_e32 v185, v185
	v_fmac_f32_e32 v188, 0x32a5705f, v33
	v_sub_f32_e32 v117, v117, v189
	v_add_f32_e32 v116, v116, v186
	v_exp_f32_e32 v115, v115
	v_cvt_i32_f32_e32 v187, v187
	v_add_f32_e32 v117, v117, v188
	v_exp_f32_e32 v116, v116
	v_ldexp_f32 v64, v64, v175
	v_cvt_i32_f32_e32 v189, v189
	v_exp_f32_e32 v117, v117
	v_cndmask_b32_e32 v64, 0, v64, vcc
	v_cmp_ngt_f32_e32 vcc, s45, v168
	v_ldexp_f32 v115, v115, v185
	s_waitcnt vmcnt(0) lgkmcnt(0)
	ds_write_b128 v155, v[36:39]
	flat_load_dwordx4 v[180:183], v[68:69]
	v_cndmask_b32_e32 v65, 0, v65, vcc
	v_cmp_ngt_f32_e32 vcc, s45, v169
	v_ldexp_f32 v36, v116, v187
	v_ldexp_f32 v37, v117, v189
	v_cndmask_b32_e32 v69, 0, v114, vcc
	v_cmp_ngt_f32_e32 vcc, s45, v170
	v_ldexp_f32 v38, v171, v191
	v_ldexp_f32 v39, v172, v193
	v_cndmask_b32_e32 v114, 0, v115, vcc
	v_cmp_ngt_f32_e32 vcc, s45, v32
	v_ldexp_f32 v68, v173, v195
	s_waitcnt vmcnt(0) lgkmcnt(0)
	ds_write_b128 v156, v[180:183]
	v_cndmask_b32_e32 v36, 0, v36, vcc
	v_cmp_ngt_f32_e32 vcc, s45, v33
	s_waitcnt lgkmcnt(0)
	s_barrier
	v_cndmask_b32_e32 v37, 0, v37, vcc
	v_cmp_ngt_f32_e32 vcc, s45, v34
	s_nop 1
	v_cndmask_b32_e32 v38, 0, v38, vcc
	v_cmp_ngt_f32_e32 vcc, s45, v35
	s_nop 1
	;; [unrolled: 3-line block ×3, first 2 shown]
	v_cndmask_b32_e32 v68, 0, v68, vcc
	v_cmp_nlt_f32_e32 vcc, s46, v167
	s_nop 1
	v_cndmask_b32_e32 v64, v165, v64, vcc
	v_cmp_nlt_f32_e32 vcc, s46, v168
	s_nop 1
	;; [unrolled: 3-line block ×4, first 2 shown]
	v_cndmask_b32_e32 v171, v165, v114, vcc
	v_cmp_nlt_f32_e32 vcc, s46, v32
	v_cndmask_b32_e64 v32, 0, v64, s[10:11]
	s_nop 0
	v_cndmask_b32_e32 v170, v165, v36, vcc
	v_cmp_nlt_f32_e32 vcc, s46, v33
	v_cndmask_b32_e64 v36, v56, v170, s[18:19]
	s_nop 0
	v_cndmask_b32_e32 v169, v165, v37, vcc
	v_cmp_nlt_f32_e32 vcc, s46, v34
	v_cndmask_b32_e64 v34, v48, v172, s[14:15]
	v_cndmask_b32_e64 v37, v57, v169, s[20:21]
	v_cndmask_b32_e32 v168, v165, v38, vcc
	v_cmp_nlt_f32_e32 vcc, s46, v35
	v_cndmask_b32_e64 v35, v47, v173, s[12:13]
	v_cndmask_b32_e64 v47, v49, v171, s[16:17]
	;; [unrolled: 4-line block ×3, first 2 shown]
	v_cndmask_b32_e32 v39, v165, v68, vcc
	v_cmp_le_f32_e32 vcc, s47, v46
	v_cvt_pk_f16_f32 v115, v34, v47
	v_cvt_pk_f16_f32 v117, v38, v48
	v_cndmask_b32_e32 v167, 0, v39, vcc
	v_cvt_f16_f32_e32 v39, v167
	v_cvt_pk_f16_f32 v114, v32, v35
	v_cvt_pk_f16_f32 v116, v36, v37
	v_cmp_lt_i32_e32 vcc, s42, v151
	v_mul_u32_u24_e32 v174, 0x10001, v39
	v_pk_mul_f16 v47, v53, v174
	v_pk_mul_f16 v64, v52, v174
	ds_read_u16 v48, v159
	ds_read_u16 v56, v159 offset:32
	ds_read_u16 v60, v159 offset:64
	ds_read_u16 v65, v159 offset:96
	ds_read_u16 v68, v159 offset:128
	ds_read_u16 v69, v159 offset:160
	ds_read_u16 v175, v159 offset:192
	ds_read_u16 v180, v159 offset:224
	ds_read_u16 v52, v159 offset:528
	ds_read_u16 v61, v159 offset:560
	ds_read_u16 v181, v159 offset:592
	ds_read_u16 v182, v159 offset:624
	ds_read_u16 v183, v159 offset:656
	ds_read_u16 v184, v159 offset:688
	ds_read_u16 v185, v159 offset:720
	ds_read_u16 v186, v159 offset:752
	ds_read_u16 v49, v159 offset:1056
	ds_read_u16 v57, v159 offset:1088
	ds_read_u16 v187, v159 offset:1120
	ds_read_u16 v188, v159 offset:1152
	ds_read_u16 v189, v159 offset:1184
	ds_read_u16 v190, v159 offset:1216
	ds_read_u16 v191, v159 offset:1248
	ds_read_u16 v192, v159 offset:1280
	ds_read_u16 v53, v160
	ds_read_u16 v193, v160 offset:32
	ds_read_u16 v194, v160 offset:64
	;; [unrolled: 1-line block ×39, first 2 shown]
	v_pk_mul_f16 v35, v45, v174
	v_pk_mul_f16 v37, v41, v174
	s_waitcnt lgkmcnt(14)
	v_perm_b32 v49, v53, v49, s48
	v_perm_b32 v48, v52, v48, s48
	v_pk_mul_f16 v39, v44, v174
	v_pk_mul_f16 v41, v40, v174
	v_cvt_f32_f16_e32 v34, v35
	v_cvt_f32_f16_sdwa v35, v35 dst_sel:DWORD dst_unused:UNUSED_PAD src0_sel:WORD_1
	v_cvt_f32_f16_e32 v36, v37
	v_cvt_f32_f16_sdwa v37, v37 dst_sel:DWORD dst_unused:UNUSED_PAD src0_sel:WORD_1
	v_perm_b32 v57, v193, v57, s48
	v_perm_b32 v56, v61, v56, s48
	v_cvt_f32_f16_e32 v38, v39
	v_cvt_f32_f16_sdwa v39, v39 dst_sel:DWORD dst_unused:UNUSED_PAD src0_sel:WORD_1
	v_cvt_f32_f16_e32 v40, v41
	v_cvt_f32_f16_sdwa v41, v41 dst_sel:DWORD dst_unused:UNUSED_PAD src0_sel:WORD_1
	v_mfma_f32_16x16x16_f16 v[34:37], v[48:49], v[114:115], v[34:37]
	s_waitcnt lgkmcnt(7)
	v_perm_b32 v53, v224, v216, s48
	v_perm_b32 v52, v208, v200, s48
	s_waitcnt lgkmcnt(6)
	v_perm_b32 v49, v225, v217, s48
	v_mfma_f32_16x16x16_f16 v[38:41], v[56:57], v[114:115], v[38:41]
	v_perm_b32 v48, v209, v201, s48
	s_nop 0
	v_cvt_f16_f32_e32 v34, v34
	v_cvt_f16_f32_e32 v35, v35
	;; [unrolled: 1-line block ×4, first 2 shown]
	s_nop 1
	v_cvt_f16_f32_e32 v38, v38
	v_cvt_f16_f32_e32 v39, v39
	;; [unrolled: 1-line block ×4, first 2 shown]
	v_cvt_f32_f16_e32 v34, v34
	v_cvt_f32_f16_e32 v35, v35
	;; [unrolled: 1-line block ×8, first 2 shown]
	v_pk_mul_f16 v43, v43, v174
	v_pk_mul_f16 v45, v42, v174
	v_perm_b32 v61, v194, v187, s48
	v_perm_b32 v60, v181, v60, s48
	v_cvt_f32_f16_e32 v42, v43
	v_cvt_f32_f16_sdwa v43, v43 dst_sel:DWORD dst_unused:UNUSED_PAD src0_sel:WORD_1
	v_cvt_f32_f16_e32 v44, v45
	v_cvt_f32_f16_sdwa v45, v45 dst_sel:DWORD dst_unused:UNUSED_PAD src0_sel:WORD_1
	v_mfma_f32_16x16x16_f16 v[34:37], v[52:53], v[116:117], v[34:37]
	v_perm_b32 v53, v195, v188, s48
	v_perm_b32 v52, v182, v65, s48
	v_cvt_f32_f16_e32 v46, v47
	v_cvt_f32_f16_sdwa v47, v47 dst_sel:DWORD dst_unused:UNUSED_PAD src0_sel:WORD_1
	v_mfma_f32_16x16x16_f16 v[38:41], v[48:49], v[116:117], v[38:41]
	v_cvt_f32_f16_e32 v48, v64
	v_cvt_f32_f16_sdwa v49, v64 dst_sel:DWORD dst_unused:UNUSED_PAD src0_sel:WORD_1
	s_waitcnt lgkmcnt(5)
	v_perm_b32 v57, v226, v218, s48
	v_mfma_f32_16x16x16_f16 v[42:45], v[60:61], v[114:115], v[42:45]
	v_perm_b32 v56, v210, v202, s48
	v_pk_mul_f16 v51, v51, v174
	v_pk_mul_f16 v60, v50, v174
	v_mfma_f32_16x16x16_f16 v[46:49], v[52:53], v[114:115], v[46:49]
	s_waitcnt lgkmcnt(4)
	v_perm_b32 v53, v227, v219, s48
	s_nop 1
	v_cvt_f16_f32_e32 v42, v42
	v_cvt_f16_f32_e32 v43, v43
	;; [unrolled: 1-line block ×8, first 2 shown]
	v_cvt_f32_f16_e32 v42, v42
	v_cvt_f32_f16_e32 v43, v43
	;; [unrolled: 1-line block ×4, first 2 shown]
	v_perm_b32 v52, v211, v203, s48
	v_cvt_f32_f16_e32 v46, v46
	v_cvt_f32_f16_e32 v47, v47
	;; [unrolled: 1-line block ×4, first 2 shown]
	v_mfma_f32_16x16x16_f16 v[42:45], v[56:57], v[116:117], v[42:45]
	v_perm_b32 v57, v196, v189, s48
	v_perm_b32 v56, v183, v68, s48
	v_cvt_f32_f16_e32 v50, v51
	v_mfma_f32_16x16x16_f16 v[46:49], v[52:53], v[116:117], v[46:49]
	v_cvt_f32_f16_sdwa v51, v51 dst_sel:DWORD dst_unused:UNUSED_PAD src0_sel:WORD_1
	v_cvt_f32_f16_e32 v52, v60
	v_cvt_f32_f16_sdwa v53, v60 dst_sel:DWORD dst_unused:UNUSED_PAD src0_sel:WORD_1
	v_pk_mul_f16 v55, v55, v174
	v_pk_mul_f16 v64, v54, v174
	v_mfma_f32_16x16x16_f16 v[50:53], v[56:57], v[114:115], v[50:53]
	s_waitcnt lgkmcnt(3)
	v_perm_b32 v57, v228, v220, s48
	v_perm_b32 v56, v212, v204, s48
	v_perm_b32 v61, v197, v190, s48
	v_perm_b32 v60, v184, v69, s48
	s_nop 2
	v_cvt_f16_f32_e32 v50, v50
	v_cvt_f16_f32_e32 v51, v51
	v_cvt_f16_f32_e32 v52, v52
	v_cvt_f16_f32_e32 v53, v53
	v_cvt_f32_f16_e32 v50, v50
	v_cvt_f32_f16_e32 v51, v51
	v_cvt_f32_f16_e32 v52, v52
	v_cvt_f32_f16_e32 v53, v53
	v_cvt_f32_f16_e32 v54, v55
	v_cvt_f32_f16_sdwa v55, v55 dst_sel:DWORD dst_unused:UNUSED_PAD src0_sel:WORD_1
	v_mfma_f32_16x16x16_f16 v[50:53], v[56:57], v[116:117], v[50:53]
	v_cvt_f32_f16_e32 v56, v64
	v_cvt_f32_f16_sdwa v57, v64 dst_sel:DWORD dst_unused:UNUSED_PAD src0_sel:WORD_1
	v_pk_mul_f16 v59, v59, v174
	v_pk_mul_f16 v68, v58, v174
	v_mfma_f32_16x16x16_f16 v[54:57], v[60:61], v[114:115], v[54:57]
	s_waitcnt lgkmcnt(2)
	v_perm_b32 v61, v229, v221, s48
	v_perm_b32 v60, v213, v205, s48
	v_perm_b32 v65, v198, v191, s48
	v_perm_b32 v64, v185, v175, s48
	s_nop 2
	v_cvt_f16_f32_e32 v54, v54
	v_cvt_f16_f32_e32 v55, v55
	v_cvt_f16_f32_e32 v56, v56
	v_cvt_f16_f32_e32 v57, v57
	v_cvt_f32_f16_e32 v54, v54
	v_cvt_f32_f16_e32 v55, v55
	v_cvt_f32_f16_e32 v56, v56
	v_cvt_f32_f16_e32 v57, v57
	v_cvt_f32_f16_e32 v58, v59
	v_cvt_f32_f16_sdwa v59, v59 dst_sel:DWORD dst_unused:UNUSED_PAD src0_sel:WORD_1
	v_mfma_f32_16x16x16_f16 v[54:57], v[60:61], v[116:117], v[54:57]
	;; [unrolled: 22-line block ×3, first 2 shown]
	v_cvt_f32_f16_e32 v64, v175
	v_cvt_f32_f16_sdwa v65, v175 dst_sel:DWORD dst_unused:UNUSED_PAD src0_sel:WORD_1
	v_pk_mul_f16 v67, v67, v174
	v_pk_mul_f16 v175, v66, v174
	v_mfma_f32_16x16x16_f16 v[62:65], v[68:69], v[114:115], v[62:65]
	s_waitcnt lgkmcnt(0)
	v_perm_b32 v69, v231, v223, s48
	v_perm_b32 v68, v215, v207, s48
	v_cvt_f32_f16_e32 v66, v67
	v_cvt_f32_f16_sdwa v67, v67 dst_sel:DWORD dst_unused:UNUSED_PAD src0_sel:WORD_1
	s_nop 2
	v_cvt_f16_f32_e32 v62, v62
	v_cvt_f16_f32_e32 v63, v63
	;; [unrolled: 1-line block ×4, first 2 shown]
	v_cvt_f32_f16_e32 v62, v62
	v_cvt_f32_f16_e32 v63, v63
	;; [unrolled: 1-line block ×4, first 2 shown]
	v_pk_mul_f16 v134, v134, v174
	v_pk_mul_f16 v133, v133, v174
	v_mfma_f32_16x16x16_f16 v[62:65], v[68:69], v[116:117], v[62:65]
	ds_read_u16 v69, v159 offset:1312
	ds_read_u16 v184, v159 offset:1344
	;; [unrolled: 1-line block ×16, first 2 shown]
	s_waitcnt lgkmcnt(7)
	v_perm_b32 v181, v180, v69, s48
	ds_read_u16 v69, v159 offset:256
	ds_read_u16 v186, v159 offset:288
	ds_read_u16 v190, v159 offset:320
	ds_read_u16 v202, v159 offset:352
	ds_read_u16 v203, v159 offset:384
	ds_read_u16 v204, v159 offset:416
	ds_read_u16 v205, v159 offset:448
	ds_read_u16 v206, v159 offset:480
	ds_read_u16 v180, v159 offset:784
	ds_read_u16 v187, v159 offset:816
	ds_read_u16 v191, v159 offset:848
	ds_read_u16 v207, v159 offset:880
	ds_read_u16 v208, v159 offset:912
	ds_read_u16 v209, v159 offset:944
	ds_read_u16 v210, v159 offset:976
	ds_read_u16 v211, v159 offset:1008
	s_waitcnt lgkmcnt(7)
	v_perm_b32 v180, v180, v69, s48
	v_cvt_f32_f16_e32 v68, v175
	v_cvt_f32_f16_sdwa v69, v175 dst_sel:DWORD dst_unused:UNUSED_PAD src0_sel:WORD_1
	v_perm_b32 v185, v185, v184, s48
	s_waitcnt lgkmcnt(6)
	v_perm_b32 v184, v187, v186, s48
	v_mfma_f32_16x16x16_f16 v[66:69], v[180:181], v[114:115], v[66:69]
	ds_read_u16 v175, v159 offset:18208
	ds_read_u16 v212, v159 offset:18240
	;; [unrolled: 1-line block ×16, first 2 shown]
	s_waitcnt lgkmcnt(7)
	v_perm_b32 v181, v180, v175, s48
	ds_read_u16 v175, v159 offset:17152
	ds_read_u16 v226, v159 offset:17184
	;; [unrolled: 1-line block ×16, first 2 shown]
	v_cvt_f16_f32_e32 v66, v66
	v_cvt_f16_f32_e32 v67, v67
	;; [unrolled: 1-line block ×4, first 2 shown]
	s_waitcnt lgkmcnt(7)
	v_perm_b32 v180, v180, v175, s48
	v_cvt_f32_f16_e32 v66, v66
	v_cvt_f32_f16_e32 v67, v67
	;; [unrolled: 1-line block ×4, first 2 shown]
	v_pk_mul_f16 v132, v132, v174
	v_pk_mul_f16 v131, v131, v174
	v_mfma_f32_16x16x16_f16 v[180:183], v[180:181], v[116:117], v[66:69]
	v_pk_mul_f16 v130, v130, v174
	v_pk_mul_f16 v129, v129, v174
	s_nop 0
	v_cvt_f32_f16_e32 v66, v134
	v_cvt_f32_f16_sdwa v67, v134 dst_sel:DWORD dst_unused:UNUSED_PAD src0_sel:WORD_1
	v_cvt_f32_f16_e32 v68, v133
	v_cvt_f32_f16_sdwa v69, v133 dst_sel:DWORD dst_unused:UNUSED_PAD src0_sel:WORD_1
	v_perm_b32 v133, v189, v188, s48
	v_pk_mul_f16 v128, v128, v174
	v_mfma_f32_16x16x16_f16 v[66:69], v[184:185], v[114:115], v[66:69]
	v_perm_b32 v185, v219, v212, s48
	s_waitcnt lgkmcnt(6)
	v_perm_b32 v184, v233, v226, s48
	v_pk_mul_f16 v127, v127, v174
	v_pk_mul_f16 v126, v126, v174
	s_nop 2
	v_cvt_f16_f32_e32 v66, v66
	v_cvt_f16_f32_e32 v67, v67
	;; [unrolled: 1-line block ×4, first 2 shown]
	v_cvt_f32_f16_e32 v66, v66
	v_cvt_f32_f16_e32 v67, v67
	;; [unrolled: 1-line block ×4, first 2 shown]
	v_pk_mul_f16 v125, v125, v174
	v_add_f32_e32 v134, v173, v32
	v_mfma_f32_16x16x16_f16 v[184:187], v[184:185], v[116:117], v[66:69]
	v_cndmask_b32_e64 v32, v32, v134, s[12:13]
	v_pk_mul_f16 v124, v124, v174
	s_nop 0
	v_cvt_f32_f16_e32 v66, v132
	v_cvt_f32_f16_sdwa v67, v132 dst_sel:DWORD dst_unused:UNUSED_PAD src0_sel:WORD_1
	v_perm_b32 v132, v191, v190, s48
	v_cvt_f32_f16_e32 v68, v131
	v_cvt_f32_f16_sdwa v69, v131 dst_sel:DWORD dst_unused:UNUSED_PAD src0_sel:WORD_1
	v_perm_b32 v131, v194, v192, s48
	v_pk_mul_f16 v122, v122, v174
	v_mfma_f32_16x16x16_f16 v[66:69], v[132:133], v[114:115], v[66:69]
	v_perm_b32 v133, v220, v213, s48
	s_waitcnt lgkmcnt(5)
	v_perm_b32 v132, v234, v227, s48
	v_pk_mul_f16 v121, v121, v174
	v_cvt_pk_f16_f32 v63, v62, v63
	s_nop 2
	v_cvt_f16_f32_e32 v66, v66
	v_cvt_f16_f32_e32 v67, v67
	;; [unrolled: 1-line block ×4, first 2 shown]
	v_cvt_f32_f16_e32 v66, v66
	v_cvt_f32_f16_e32 v67, v67
	;; [unrolled: 1-line block ×4, first 2 shown]
	v_cvt_pk_f16_f32 v62, v64, v65
	v_cvt_pk_f16_f32 v59, v58, v59
	v_mfma_f32_16x16x16_f16 v[188:191], v[132:133], v[116:117], v[66:69]
	v_cvt_pk_f16_f32 v58, v60, v61
	v_cvt_pk_f16_f32 v55, v54, v55
	s_nop 0
	v_cvt_f32_f16_e32 v66, v130
	v_cvt_f32_f16_sdwa v67, v130 dst_sel:DWORD dst_unused:UNUSED_PAD src0_sel:WORD_1
	v_perm_b32 v130, v207, v202, s48
	v_cvt_f32_f16_e32 v68, v129
	v_cvt_f32_f16_sdwa v69, v129 dst_sel:DWORD dst_unused:UNUSED_PAD src0_sel:WORD_1
	v_perm_b32 v129, v195, v193, s48
	v_cvt_pk_f16_f32 v54, v56, v57
	v_mfma_f32_16x16x16_f16 v[66:69], v[130:131], v[114:115], v[66:69]
	v_perm_b32 v131, v221, v214, s48
	s_waitcnt lgkmcnt(4)
	v_perm_b32 v130, v235, v228, s48
	v_cvt_pk_f16_f32 v51, v50, v51
	v_cvt_pk_f16_f32 v50, v52, v53
	s_nop 2
	v_cvt_f16_f32_e32 v66, v66
	v_cvt_f16_f32_e32 v67, v67
	;; [unrolled: 1-line block ×4, first 2 shown]
	v_cvt_f32_f16_e32 v66, v66
	v_cvt_f32_f16_e32 v67, v67
	;; [unrolled: 1-line block ×4, first 2 shown]
	v_cvt_pk_f16_f32 v53, v46, v47
	v_cvt_pk_f16_f32 v52, v48, v49
	v_mfma_f32_16x16x16_f16 v[130:133], v[130:131], v[116:117], v[66:69]
	v_cvt_pk_f16_f32 v43, v42, v43
	v_cvt_pk_f16_f32 v42, v44, v45
	s_nop 0
	v_cvt_f32_f16_e32 v66, v128
	v_cvt_f32_f16_sdwa v67, v128 dst_sel:DWORD dst_unused:UNUSED_PAD src0_sel:WORD_1
	v_perm_b32 v128, v208, v203, s48
	v_cvt_f32_f16_e32 v68, v127
	v_cvt_f32_f16_sdwa v69, v127 dst_sel:DWORD dst_unused:UNUSED_PAD src0_sel:WORD_1
	v_perm_b32 v127, v199, v196, s48
	v_cvt_pk_f16_f32 v130, v130, v131
	v_mfma_f32_16x16x16_f16 v[66:69], v[128:129], v[114:115], v[66:69]
	v_perm_b32 v129, v222, v215, s48
	s_waitcnt lgkmcnt(3)
	v_perm_b32 v128, v236, v229, s48
	v_cvt_pk_f16_f32 v131, v190, v191
	v_cvt_pk_f16_f32 v44, v38, v39
	s_nop 2
	v_cvt_f16_f32_e32 v66, v66
	v_cvt_f16_f32_e32 v67, v67
	;; [unrolled: 1-line block ×4, first 2 shown]
	v_cvt_f32_f16_e32 v66, v66
	v_cvt_f32_f16_e32 v67, v67
	;; [unrolled: 1-line block ×4, first 2 shown]
	v_cvt_pk_f16_f32 v40, v40, v41
	v_cvt_pk_f16_f32 v45, v34, v35
	v_mfma_f32_16x16x16_f16 v[192:195], v[128:129], v[116:117], v[66:69]
	v_cvt_pk_f16_f32 v41, v36, v37
	s_and_b64 vcc, exec, vcc
	s_nop 0
	v_cvt_f32_f16_e32 v66, v126
	v_cvt_f32_f16_sdwa v67, v126 dst_sel:DWORD dst_unused:UNUSED_PAD src0_sel:WORD_1
	v_perm_b32 v126, v209, v204, s48
	v_cvt_f32_f16_e32 v68, v125
	v_cvt_f32_f16_sdwa v69, v125 dst_sel:DWORD dst_unused:UNUSED_PAD src0_sel:WORD_1
	v_add_f32_e32 v125, v32, v172
	v_cndmask_b32_e64 v32, v32, v125, s[14:15]
	v_mfma_f32_16x16x16_f16 v[66:69], v[126:127], v[114:115], v[66:69]
	v_perm_b32 v127, v223, v216, s48
	s_waitcnt lgkmcnt(2)
	v_perm_b32 v126, v237, v230, s48
	v_perm_b32 v125, v200, v197, s48
	v_add_f32_e32 v134, v32, v171
	s_nop 2
	v_cvt_f16_f32_e32 v66, v66
	v_cvt_f16_f32_e32 v67, v67
	;; [unrolled: 1-line block ×4, first 2 shown]
	v_cvt_f32_f16_e32 v66, v66
	v_cvt_f32_f16_e32 v67, v67
	;; [unrolled: 1-line block ×4, first 2 shown]
	v_cndmask_b32_e64 v32, v32, v134, s[16:17]
	v_pk_mul_f16 v134, v120, v174
	v_mfma_f32_16x16x16_f16 v[126:129], v[126:127], v[116:117], v[66:69]
	v_perm_b32 v120, v211, v206, s48
	s_waitcnt lgkmcnt(0)
	s_nop 0
	v_cvt_f32_f16_e32 v66, v124
	v_cvt_f32_f16_sdwa v67, v124 dst_sel:DWORD dst_unused:UNUSED_PAD src0_sel:WORD_1
	v_perm_b32 v124, v210, v205, s48
	v_cvt_f32_f16_e32 v68, v122
	v_cvt_f32_f16_sdwa v69, v122 dst_sel:DWORD dst_unused:UNUSED_PAD src0_sel:WORD_1
	v_add_f32_e32 v122, v170, v32
	v_cndmask_b32_e64 v32, v32, v122, s[18:19]
	v_mfma_f32_16x16x16_f16 v[66:69], v[124:125], v[114:115], v[66:69]
	v_perm_b32 v125, v224, v217, s48
	v_perm_b32 v124, v238, v231, s48
	v_add_f32_e32 v122, v169, v32
	v_cndmask_b32_e64 v32, v32, v122, s[20:21]
	s_nop 3
	v_cvt_f16_f32_e32 v66, v66
	v_cvt_f16_f32_e32 v67, v67
	v_cvt_f16_f32_e32 v68, v68
	v_cvt_f16_f32_e32 v69, v69
	v_cvt_f32_f16_e32 v66, v66
	v_cvt_f32_f16_e32 v67, v67
	;; [unrolled: 1-line block ×4, first 2 shown]
	v_add_f32_e32 v122, v168, v32
	v_cndmask_b32_e64 v32, v32, v122, s[22:23]
	v_mfma_f32_16x16x16_f16 v[170:173], v[124:125], v[116:117], v[66:69]
	v_add_f32_e32 v33, v33, v32
	v_cvt_pk_f16_f32 v126, v126, v127
	s_nop 0
	v_cvt_f32_f16_e32 v66, v121
	v_cvt_f32_f16_sdwa v67, v121 dst_sel:DWORD dst_unused:UNUSED_PAD src0_sel:WORD_1
	v_perm_b32 v121, v201, v198, s48
	v_cvt_f32_f16_e32 v68, v134
	v_cvt_f32_f16_sdwa v69, v134 dst_sel:DWORD dst_unused:UNUSED_PAD src0_sel:WORD_1
	v_cvt_pk_f16_f32 v124, v170, v171
	v_cvt_pk_f16_f32 v122, v172, v173
	v_mfma_f32_16x16x16_f16 v[66:69], v[120:121], v[114:115], v[66:69]
	v_cvt_pk_f16_f32 v125, v128, v129
	v_cvt_pk_f16_f32 v128, v192, v193
	;; [unrolled: 1-line block ×4, first 2 shown]
	s_nop 3
	v_cvt_f16_f32_e32 v66, v66
	v_cvt_f16_f32_e32 v67, v67
	;; [unrolled: 1-line block ×4, first 2 shown]
	v_cvt_f32_f16_e32 v196, v66
	v_cvt_f32_f16_e32 v197, v67
	v_perm_b32 v67, v225, v218, s48
	v_perm_b32 v66, v239, v232, s48
	v_cvt_f32_f16_e32 v198, v68
	v_cvt_f32_f16_e32 v199, v69
	v_cndmask_b32_e64 v68, v32, v33, s[24:25]
	v_fmac_f32_e32 v68, v166, v167
	v_mfma_f32_16x16x16_f16 v[114:117], v[66:67], v[116:117], v[196:199]
	v_cvt_pk_f16_f32 v132, v188, v189
	v_cvt_pk_f16_f32 v134, v184, v185
	;; [unrolled: 1-line block ×4, first 2 shown]
	s_nop 3
	v_cvt_pk_f16_f32 v121, v114, v115
	v_cvt_pk_f16_f32 v120, v116, v117
	;; [unrolled: 1-line block ×3, first 2 shown]
	s_barrier
	s_cbranch_vccz .LBB29_525
; %bb.522:                              ;   in Loop: Header=BB29_513 Depth=1
	v_mov_b32_e32 v166, v68
	v_mov_b32_e32 v46, v73
	s_branch .LBB29_513
.LBB29_523:
                                        ; implicit-def: $sgpr4_sgpr5
                                        ; kill: killed $sgpr4_sgpr5
	s_load_dwordx2 s[96:97], s[0:1], 0x5c
	s_branch .LBB29_7
.LBB29_524:
	v_mov_b32_e32 v73, 0xfeffffff
	v_mov_b32_e32 v68, 0
	;; [unrolled: 1-line block ×34, first 2 shown]
.LBB29_525:
	s_lshl_b32 s8, s42, 6
	v_readlane_b32 s0, v255, 3
	s_sub_i32 s18, s0, s8
	s_cmp_lg_u64 s[2:3], 0
	s_cselect_b64 s[10:11], -1, 0
	s_ashr_i32 s9, s8, 31
	s_cmp_eq_u64 s[2:3], 0
	v_readlane_b32 s1, v255, 4
	s_cbranch_scc1 .LBB29_543
; %bb.526:
	s_lshl_b64 s[0:1], s[8:9], 1
	s_add_u32 s0, s2, s0
	s_addc_u32 s1, s3, s1
	v_mov_b32_e32 v75, 0
	v_cmp_gt_i32_e32 vcc, s18, v70
	v_lshl_add_u64 v[32:33], s[0:1], 0, v[74:75]
	v_mov_b32_e32 v36, 0
	s_and_saveexec_b64 s[0:1], vcc
	s_cbranch_execz .LBB29_528
; %bb.527:
	v_mul_hi_u32 v34, s96, v140
	v_add_u32_e32 v34, v140, v34
	v_lshrrev_b32_e32 v34, s97, v34
	v_mul_lo_u32 v34, v34, s80
	v_sub_u32_e32 v34, v140, v34
	v_mad_i64_i32 v[34:35], s[2:3], v34, s98, 0
	v_lshl_add_u64 v[34:35], v[34:35], 1, v[32:33]
	global_load_ushort v36, v[34:35], off
.LBB29_528:
	s_or_b64 exec, exec, s[0:1]
	v_lshl_add_u32 v34, v70, 1, 0
	s_movk_i32 s0, 0x90
	v_mul_u32_u24_e32 v35, 0x90, v123
	v_mad_u32_u24 v37, v123, s0, v34
	s_waitcnt vmcnt(0)
	ds_write_b16 v37, v36 offset:33792
	s_and_saveexec_b64 s[0:1], vcc
	s_cbranch_execz .LBB29_530
; %bb.529:
	v_mul_hi_u32 v36, s96, v141
	v_add_u32_e32 v36, v141, v36
	v_lshrrev_b32_e32 v36, s97, v36
	v_mul_lo_u32 v36, v36, s80
	v_sub_u32_e32 v36, v141, v36
	v_mad_i64_i32 v[36:37], s[2:3], v36, s98, 0
	v_lshl_add_u64 v[36:37], v[36:37], 1, v[32:33]
	global_load_ushort v75, v[36:37], off
.LBB29_530:
	s_or_b64 exec, exec, s[0:1]
	v_add_u32_e32 v34, v34, v35
	v_mov_b32_e32 v35, 0
	v_mov_b32_e32 v36, 0
	s_waitcnt vmcnt(0)
	ds_write_b16 v34, v75 offset:34944
	s_and_saveexec_b64 s[0:1], vcc
	s_cbranch_execz .LBB29_532
; %bb.531:
	v_mul_hi_u32 v36, s96, v143
	v_add_u32_e32 v36, v143, v36
	v_lshrrev_b32_e32 v36, s97, v36
	v_mul_lo_u32 v36, v36, s80
	v_sub_u32_e32 v36, v143, v36
	v_mad_i64_i32 v[36:37], s[2:3], v36, s98, 0
	v_lshl_add_u64 v[36:37], v[36:37], 1, v[32:33]
	global_load_ushort v36, v[36:37], off
.LBB29_532:
	s_or_b64 exec, exec, s[0:1]
	s_waitcnt vmcnt(0)
	ds_write_b16 v34, v36 offset:36096
	s_and_saveexec_b64 s[0:1], vcc
	s_cbranch_execz .LBB29_534
; %bb.533:
	v_mul_hi_u32 v35, s96, v144
	v_add_u32_e32 v35, v144, v35
	v_lshrrev_b32_e32 v35, s97, v35
	v_mul_lo_u32 v35, v35, s80
	v_sub_u32_e32 v35, v144, v35
	v_mad_i64_i32 v[36:37], s[2:3], v35, s98, 0
	v_lshl_add_u64 v[36:37], v[36:37], 1, v[32:33]
	global_load_ushort v35, v[36:37], off
.LBB29_534:
	s_or_b64 exec, exec, s[0:1]
	s_waitcnt vmcnt(0)
	ds_write_b16 v34, v35 offset:37248
	v_mov_b32_e32 v35, 0
	v_mov_b32_e32 v36, 0
	s_and_saveexec_b64 s[0:1], vcc
	s_cbranch_execz .LBB29_536
; %bb.535:
	v_mul_hi_u32 v36, s96, v145
	v_add_u32_e32 v36, v145, v36
	v_lshrrev_b32_e32 v36, s97, v36
	v_mul_lo_u32 v36, v36, s80
	v_sub_u32_e32 v36, v145, v36
	v_mad_i64_i32 v[36:37], s[2:3], v36, s98, 0
	v_lshl_add_u64 v[36:37], v[36:37], 1, v[32:33]
	global_load_ushort v36, v[36:37], off
.LBB29_536:
	s_or_b64 exec, exec, s[0:1]
	s_waitcnt vmcnt(0)
	ds_write_b16 v34, v36 offset:38400
	s_and_saveexec_b64 s[0:1], vcc
	s_cbranch_execz .LBB29_538
; %bb.537:
	v_mul_hi_u32 v35, s96, v146
	v_add_u32_e32 v35, v146, v35
	v_lshrrev_b32_e32 v35, s97, v35
	v_mul_lo_u32 v35, v35, s80
	v_sub_u32_e32 v35, v146, v35
	v_mad_i64_i32 v[36:37], s[2:3], v35, s98, 0
	v_lshl_add_u64 v[36:37], v[36:37], 1, v[32:33]
	global_load_ushort v35, v[36:37], off
.LBB29_538:
	s_or_b64 exec, exec, s[0:1]
	s_waitcnt vmcnt(0)
	ds_write_b16 v34, v35 offset:39552
	v_mov_b32_e32 v35, 0
	v_mov_b32_e32 v36, 0
	s_and_saveexec_b64 s[0:1], vcc
	s_cbranch_execz .LBB29_540
; %bb.539:
	v_mul_hi_u32 v36, s96, v148
	v_add_u32_e32 v36, v148, v36
	v_lshrrev_b32_e32 v36, s97, v36
	v_mul_lo_u32 v36, v36, s80
	v_sub_u32_e32 v36, v148, v36
	v_mad_i64_i32 v[36:37], s[2:3], v36, s98, 0
	v_lshl_add_u64 v[36:37], v[36:37], 1, v[32:33]
	global_load_ushort v36, v[36:37], off
.LBB29_540:
	s_or_b64 exec, exec, s[0:1]
	s_waitcnt vmcnt(0)
	ds_write_b16 v34, v36 offset:40704
	s_and_saveexec_b64 s[0:1], vcc
	s_cbranch_execz .LBB29_542
; %bb.541:
	v_mul_hi_u32 v35, s96, v149
	v_add_u32_e32 v35, v149, v35
	v_lshrrev_b32_e32 v35, s97, v35
	v_mul_lo_u32 v35, v35, s80
	v_sub_u32_e32 v35, v149, v35
	v_mad_i64_i32 v[36:37], s[2:3], v35, s98, 0
	v_lshl_add_u64 v[32:33], v[36:37], 1, v[32:33]
	global_load_ushort v35, v[32:33], off
.LBB29_542:
	s_or_b64 exec, exec, s[0:1]
	s_waitcnt vmcnt(0)
	ds_write_b16 v34, v35 offset:41856
.LBB29_543:
	s_mul_hi_i32 s3, s8, s94
	s_mul_i32 s2, s8, s94
	s_lshl_b64 s[2:3], s[2:3], 2
	v_lshl_add_u32 v34, v123, 1, v150
	s_add_u32 s2, s41, s2
	v_mul_lo_u32 v38, s94, v34
	s_addc_u32 s3, s43, s3
	v_and_b32_e32 v32, 0x7c, v139
	v_ashrrev_i32_e32 v39, 31, v38
	s_mov_b64 s[0:1], src_private_base
	v_mov_b32_e32 v33, 0
	v_lshlrev_b32_e32 v32, 2, v32
	v_lshl_add_u64 v[36:37], v[38:39], 2, s[2:3]
	v_lshl_add_u64 v[36:37], v[36:37], 0, v[32:33]
	v_mov_b32_e32 v35, s1
	v_cmp_gt_i32_e64 s[6:7], s18, v34
	v_mov_b32_e32 v60, 0
	v_mov_b32_e32 v46, v33
	;; [unrolled: 1-line block ×5, first 2 shown]
	v_cndmask_b32_e64 v37, v35, v37, s[6:7]
	v_cndmask_b32_e64 v36, v60, v36, s[6:7]
	scratch_store_dwordx4 off, v[46:49], off
	flat_load_dwordx4 v[46:49], v[36:37]
	s_lshl_b32 s9, s94, 4
	v_add_u32_e32 v38, s9, v38
	v_ashrrev_i32_e32 v39, 31, v38
	v_mul_u32_u24_e32 v36, 0x210, v34
	v_add_u32_e32 v37, 16, v34
	v_lshl_add_u64 v[56:57], v[38:39], 2, s[2:3]
	v_add3_u32 v36, 0, v36, v32
	v_lshl_add_u64 v[56:57], v[56:57], 0, v[32:33]
	v_cmp_gt_i32_e64 s[4:5], s18, v37
	v_add_u32_e32 v38, s9, v38
	v_ashrrev_i32_e32 v39, 31, v38
	v_cndmask_b32_e64 v57, v35, v57, s[4:5]
	v_cndmask_b32_e64 v56, v60, v56, s[4:5]
	v_add_u32_e32 v37, 32, v34
	v_cmp_gt_i32_e64 s[0:1], s18, v37
	v_add_u32_e32 v37, 48, v34
	v_cmp_gt_i32_e64 s[12:13], s18, v37
	s_and_b64 vcc, exec, s[10:11]
	s_waitcnt vmcnt(0) lgkmcnt(0)
	ds_write_b128 v36, v[46:49]
	flat_load_dwordx4 v[46:49], v[56:57]
	v_lshl_add_u64 v[56:57], v[38:39], 2, s[2:3]
	v_lshl_add_u64 v[56:57], v[56:57], 0, v[32:33]
	v_cndmask_b32_e64 v57, v35, v57, s[0:1]
	v_cndmask_b32_e64 v56, v60, v56, s[0:1]
	v_add_u32_e32 v38, s9, v38
	v_ashrrev_i32_e32 v39, 31, v38
	v_lshl_add_u64 v[38:39], v[38:39], 2, s[2:3]
	v_lshl_add_u64 v[38:39], v[38:39], 0, v[32:33]
	v_cndmask_b32_e64 v39, v35, v39, s[12:13]
	v_cndmask_b32_e64 v38, v60, v38, s[12:13]
	v_and_b32_e32 v33, 16, v240
	v_add_u32_e32 v35, 0, v147
	v_mul_u32_u24_e32 v37, 0x210, v33
	v_add3_u32 v35, v35, v119, v37
	v_add_u32_e32 v37, 0x4000, v35
	s_waitcnt vmcnt(0) lgkmcnt(0)
	ds_write_b128 v36, v[46:49] offset:8448
	flat_load_dwordx4 v[46:49], v[56:57]
	s_waitcnt vmcnt(0) lgkmcnt(0)
	ds_write_b128 v36, v[46:49] offset:16896
	flat_load_dwordx4 v[46:49], v[38:39]
	s_waitcnt vmcnt(0) lgkmcnt(0)
	ds_write_b128 v36, v[46:49] offset:25344
	s_waitcnt lgkmcnt(0)
	s_barrier
	ds_read2_b64 v[46:49], v35 offset1:4
	ds_read2_b64 v[78:81], v37 offset0:64 offset1:68
	s_waitcnt lgkmcnt(1)
	v_mfma_f32_16x16x16_f16 v[74:77], v[46:47], v[28:29], 0
	s_waitcnt lgkmcnt(0)
	v_mfma_f32_16x16x16_f16 v[82:85], v[78:79], v[28:29], 0
	v_mfma_f32_16x16x16_f16 v[46:49], v[48:49], v[30:31], v[74:77]
	;; [unrolled: 1-line block ×3, first 2 shown]
	s_nop 3
	ds_read2_b64 v[74:77], v35 offset0:8 offset1:12
	ds_read2_b64 v[78:81], v37 offset0:72 offset1:76
	s_waitcnt lgkmcnt(1)
	v_mfma_f32_16x16x16_f16 v[46:49], v[74:75], v[24:25], v[46:49]
	s_waitcnt lgkmcnt(0)
	v_mfma_f32_16x16x16_f16 v[28:31], v[78:79], v[24:25], v[28:31]
	v_mfma_f32_16x16x16_f16 v[46:49], v[76:77], v[26:27], v[46:49]
	ds_read2_b64 v[74:77], v37 offset0:80 offset1:84
	v_mfma_f32_16x16x16_f16 v[24:27], v[80:81], v[26:27], v[28:31]
	s_nop 4
	ds_read2_b64 v[28:31], v35 offset0:16 offset1:20
	s_waitcnt lgkmcnt(0)
	v_mfma_f32_16x16x16_f16 v[46:49], v[28:29], v[20:21], v[46:49]
	v_mfma_f32_16x16x16_f16 v[24:27], v[74:75], v[20:21], v[24:27]
	v_mfma_f32_16x16x16_f16 v[28:31], v[30:31], v[22:23], v[46:49]
	v_mfma_f32_16x16x16_f16 v[20:23], v[76:77], v[22:23], v[24:27]
	s_nop 4
	ds_read2_b64 v[46:49], v37 offset0:88 offset1:92
	ds_read2_b64 v[24:27], v35 offset0:24 offset1:28
	s_waitcnt lgkmcnt(0)
	v_mfma_f32_16x16x16_f16 v[28:31], v[24:25], v[16:17], v[28:31]
	v_mfma_f32_16x16x16_f16 v[20:23], v[46:47], v[16:17], v[20:23]
	v_mfma_f32_16x16x16_f16 v[24:27], v[26:27], v[18:19], v[28:31]
	v_mfma_f32_16x16x16_f16 v[16:19], v[48:49], v[18:19], v[20:23]
	s_nop 4
	ds_read2_b64 v[28:31], v37 offset0:96 offset1:100
	ds_read2_b64 v[20:23], v35 offset0:32 offset1:36
	s_waitcnt lgkmcnt(0)
	v_mfma_f32_16x16x16_f16 v[24:27], v[20:21], v[12:13], v[24:27]
	v_mfma_f32_16x16x16_f16 v[16:19], v[28:29], v[12:13], v[16:19]
	v_mfma_f32_16x16x16_f16 v[20:23], v[22:23], v[14:15], v[24:27]
	v_mfma_f32_16x16x16_f16 v[12:15], v[30:31], v[14:15], v[16:19]
	s_nop 4
	ds_read2_b64 v[24:27], v37 offset0:104 offset1:108
	ds_read2_b64 v[16:19], v35 offset0:40 offset1:44
	s_waitcnt lgkmcnt(0)
	v_mfma_f32_16x16x16_f16 v[20:23], v[16:17], v[8:9], v[20:23]
	v_mfma_f32_16x16x16_f16 v[12:15], v[24:25], v[8:9], v[12:15]
	v_mfma_f32_16x16x16_f16 v[16:19], v[18:19], v[10:11], v[20:23]
	v_mfma_f32_16x16x16_f16 v[8:11], v[26:27], v[10:11], v[12:15]
	s_nop 4
	ds_read2_b64 v[20:23], v37 offset0:112 offset1:116
	ds_read2_b64 v[12:15], v35 offset0:48 offset1:52
	s_waitcnt lgkmcnt(0)
	v_mfma_f32_16x16x16_f16 v[16:19], v[12:13], v[4:5], v[16:19]
	v_mfma_f32_16x16x16_f16 v[8:11], v[20:21], v[4:5], v[8:11]
	v_mfma_f32_16x16x16_f16 v[12:15], v[14:15], v[6:7], v[16:19]
	v_mfma_f32_16x16x16_f16 v[4:7], v[22:23], v[6:7], v[8:11]
	ds_read2_b64 v[20:23], v37 offset0:120 offset1:124
	s_nop 4
	ds_read2_b64 v[8:11], v35 offset0:56 offset1:60
	s_waitcnt lgkmcnt(0)
	v_mfma_f32_16x16x16_f16 v[12:15], v[8:9], v[0:1], v[12:15]
	s_barrier
	v_mfma_f32_16x16x16_f16 v[4:7], v[20:21], v[0:1], v[4:7]
	v_and_b32_e32 v21, 0xfc, v137
	v_add_u32_e32 v18, v21, v33
	v_add_u32_e32 v24, 34, v18
	v_mfma_f32_16x16x16_f16 v[8:11], v[10:11], v[2:3], v[12:15]
	v_mfma_f32_16x16x16_f16 v[12:15], v[22:23], v[2:3], v[4:7]
	v_add_u32_e32 v23, 32, v18
	s_cbranch_vccz .LBB29_545
; %bb.544:
	s_movk_i32 s2, 0x90
	v_mad_u32_u24 v2, v142, s2, 0
	v_lshlrev_b32_e32 v0, 1, v18
	s_mov_b32 s2, 0x8400
	v_add_u32_e32 v20, 32, v18
	v_add_u32_e32 v19, 34, v18
	v_add3_u32 v0, v2, v0, s2
	v_lshl_add_u32 v3, v20, 1, v2
	v_lshl_add_u32 v2, v19, 1, v2
	ds_read2_b32 v[0:1], v0 offset1:1
	ds_read_b32 v3, v3 offset:33792
	ds_read_b32 v2, v2 offset:33792
	s_mov_b64 s[2:3], 0
	s_waitcnt lgkmcnt(2)
	v_cvt_f32_f16_e32 v4, v0
	v_cvt_f32_f16_sdwa v5, v0 dst_sel:DWORD dst_unused:UNUSED_PAD src0_sel:WORD_1
	v_cvt_f32_f16_e32 v0, v1
	v_cvt_f32_f16_sdwa v1, v1 dst_sel:DWORD dst_unused:UNUSED_PAD src0_sel:WORD_1
	s_waitcnt lgkmcnt(1)
	v_cvt_f32_f16_e32 v16, v3
	s_waitcnt lgkmcnt(0)
	v_cvt_f32_f16_e32 v6, v2
	v_cvt_f32_f16_sdwa v7, v2 dst_sel:DWORD dst_unused:UNUSED_PAD src0_sel:WORD_1
	v_cvt_f32_f16_sdwa v17, v3 dst_sel:DWORD dst_unused:UNUSED_PAD src0_sel:WORD_1
	v_pk_fma_f32 v[2:3], v[72:73], v[0:1], v[10:11] op_sel_hi:[0,1,1]
	v_pk_fma_f32 v[0:1], v[72:73], v[4:5], v[8:9] op_sel_hi:[0,1,1]
	;; [unrolled: 1-line block ×4, first 2 shown]
	s_branch .LBB29_546
.LBB29_545:
	s_mov_b64 s[2:3], -1
                                        ; implicit-def: $vgpr0_vgpr1_vgpr2_vgpr3
                                        ; implicit-def: $vgpr4_vgpr5_vgpr6_vgpr7
                                        ; implicit-def: $vgpr20
                                        ; implicit-def: $vgpr19
.LBB29_546:
	v_add_u32_e32 v22, 0x2100, v36
	v_add_u32_e32 v17, 0x4200, v36
	s_andn2_b64 vcc, exec, s[2:3]
	v_add_u32_e32 v16, 0x6300, v36
	s_cbranch_vccnz .LBB29_548
; %bb.547:
	v_mov_b64_e32 v[4:5], v[12:13]
	v_mov_b64_e32 v[0:1], v[8:9]
	v_mov_b32_e32 v19, v24
	v_mov_b32_e32 v20, v23
	v_mov_b64_e32 v[6:7], v[14:15]
	v_mov_b64_e32 v[2:3], v[10:11]
.LBB29_548:
	s_mul_hi_i32 s9, s8, s82
	s_mul_i32 s8, s8, s82
	s_lshl_b64 s[8:9], s[8:9], 2
	s_mov_b64 s[2:3], src_private_base
	s_add_u32 s8, s33, s8
	v_mul_lo_u32 v8, s82, v34
	s_addc_u32 s9, s40, s9
	v_ashrrev_i32_e32 v9, 31, v8
	s_lshl_b32 s2, s82, 4
	v_lshl_add_u64 v[10:11], v[8:9], 2, s[8:9]
	v_add_u32_e32 v8, s2, v8
	v_ashrrev_i32_e32 v9, 31, v8
	v_lshl_add_u64 v[12:13], v[8:9], 2, s[8:9]
	v_add_u32_e32 v8, s2, v8
	v_ashrrev_i32_e32 v9, 31, v8
	;; [unrolled: 3-line block ×3, first 2 shown]
	v_mov_b32_e32 v33, 0
	v_lshl_add_u64 v[8:9], v[8:9], 2, s[8:9]
	v_lshl_add_u64 v[10:11], v[10:11], 0, v[32:33]
	v_mov_b32_e32 v25, s3
	v_mov_b32_e32 v37, 0
	v_lshl_add_u64 v[12:13], v[12:13], 0, v[32:33]
	v_lshl_add_u64 v[26:27], v[14:15], 0, v[32:33]
	;; [unrolled: 1-line block ×3, first 2 shown]
	v_mov_b32_e32 v32, v33
	v_mov_b32_e32 v34, v33
	;; [unrolled: 1-line block ×3, first 2 shown]
	v_cndmask_b32_e64 v11, v25, v11, s[6:7]
	v_cndmask_b32_e64 v10, v37, v10, s[6:7]
	scratch_store_dwordx4 off, v[32:35], off
	flat_load_dwordx4 v[8:11], v[10:11]
	v_cndmask_b32_e64 v13, v25, v13, s[4:5]
	v_cndmask_b32_e64 v12, v37, v12, s[4:5]
	v_mbcnt_hi_u32_b32 v49, -1, v138
	v_cmp_gt_u32_e64 s[14:15], s18, v18
	v_or_b32_e32 v28, 1, v18
	v_or_b32_e32 v32, 2, v18
	;; [unrolled: 1-line block ×3, first 2 shown]
	v_add_u32_e32 v38, 33, v18
	v_add_u32_e32 v47, 35, v18
	v_and_b32_e32 v64, 64, v49
	v_add_f32_e32 v29, 0x40051340, v1
	v_cmp_gt_u32_e64 s[10:11], s18, v28
	v_add_f32_e32 v33, 0x40051340, v2
	v_cmp_gt_u32_e64 s[8:9], s18, v32
	;; [unrolled: 2-line block ×3, first 2 shown]
	s_mov_b32 s4, 0
	s_movk_i32 s5, 0x420
	v_mul_u32_u24_e32 v57, 0x210, v21
	v_mov_b32_e32 v15, s4
	v_mov_b32_e32 v14, s4
	;; [unrolled: 1-line block ×5, first 2 shown]
	v_mad_u32_u24 v74, v136, s5, 0
	v_cndmask_b32_e64 v27, v25, v27, s[0:1]
	v_cndmask_b32_e64 v26, v37, v26, s[0:1]
	v_add_f32_e32 v39, 0x40051340, v5
	v_cmp_gt_u32_e64 s[16:17], s18, v38
	v_add_f32_e32 v46, 0x40051340, v6
	v_xor_b32_e32 v65, 32, v49
	v_cmp_gt_u32_e64 s[0:1], s18, v19
	v_xor_b32_e32 v69, 16, v49
	v_add_f32_e32 v48, 0x40051340, v7
	v_or_b32_e32 v60, 3, v137
	v_mul_u32_u24_e32 v60, 0x210, v60
	s_mov_b32 s21, 0x3fb8aa3b
	s_mov_b32 s20, 0xc2ce8ed0
	;; [unrolled: 1-line block ×3, first 2 shown]
	v_mov_b32_e32 v56, 0x7f800000
	s_mov_b32 s3, 0xc1a00000
	s_mov_b32 s2, 0x5040100
	s_waitcnt vmcnt(0) lgkmcnt(0)
	ds_write_b128 v36, v[8:11]
	flat_load_dwordx4 v[8:11], v[12:13]
	v_add_f32_e32 v12, 0x40051340, v0
	v_max_f32_e32 v13, v73, v73
	v_max_f32_e32 v61, v13, v12
	v_cndmask_b32_e64 v18, v73, v61, s[14:15]
	v_add_u32_e32 v61, 64, v64
	v_max_f32_e32 v64, v18, v18
	v_max_f32_e32 v29, v64, v29
	v_cndmask_b32_e64 v18, v18, v29, s[10:11]
	v_max_f32_e32 v28, v18, v18
	v_max_f32_e32 v28, v28, v33
	v_cndmask_b32_e64 v18, v18, v28, s[8:9]
	;; [unrolled: 3-line block ×3, first 2 shown]
	v_add_f32_e32 v36, 0x40051340, v4
	v_max_f32_e32 v28, v18, v18
	v_mov_b32_e32 v13, s4
	v_mov_b32_e32 v12, s4
	v_max_f32_e32 v28, v28, v36
	v_cmp_gt_u32_e64 s[4:5], s18, v20
	v_cmp_lt_i32_e32 vcc, v65, v61
	s_waitcnt vmcnt(0) lgkmcnt(0)
	ds_write_b128 v22, v[8:11]
	v_cndmask_b32_e64 v18, v18, v28, s[4:5]
	flat_load_dwordx4 v[26:29], v[26:27]
	v_max_f32_e32 v20, v18, v18
	v_max_f32_e32 v20, v20, v39
	v_cndmask_b32_e64 v18, v18, v20, s[16:17]
	v_max_f32_e32 v20, v18, v18
	v_max_f32_e32 v20, v20, v46
	v_cndmask_b32_e64 v18, v18, v20, s[0:1]
	v_cndmask_b32_e32 v65, v49, v65, vcc
	v_cmp_lt_i32_e32 vcc, v69, v61
	v_max_f32_e32 v19, v18, v18
	v_max_f32_e32 v19, v19, v48
	v_cndmask_b32_e32 v49, v49, v69, vcc
	v_cmp_gt_u32_e32 vcc, s18, v47
	v_lshlrev_b32_e32 v72, 2, v65
	v_lshlrev_b32_e32 v69, 2, v49
	v_cndmask_b32_e32 v18, v18, v19, vcc
	ds_bpermute_b32 v19, v72, v18
	v_max_f32_e32 v8, v18, v18
	v_add3_u32 v10, v74, v57, v135
	v_add3_u32 v11, v74, v60, v135
	s_waitcnt lgkmcnt(0)
	v_max_f32_e32 v9, v19, v19
	v_max_f32_e32 v18, v8, v9
	ds_bpermute_b32 v19, v69, v18
	v_cndmask_b32_e64 v8, v37, v30, s[12:13]
	v_cndmask_b32_e64 v9, v25, v31, s[12:13]
	s_waitcnt lgkmcnt(0)
	v_max_f32_e32 v19, v19, v19
	v_max_f32_e32 v74, v18, v19
	v_sub_f32_e32 v0, v0, v74
	v_sub_f32_e32 v4, v4, v74
	;; [unrolled: 1-line block ×3, first 2 shown]
	v_mul_f32_e32 v18, 0x3fb8aa3b, v0
	v_mul_f32_e32 v30, 0x3fb8aa3b, v4
	;; [unrolled: 1-line block ×3, first 2 shown]
	v_fma_f32 v35, v0, s21, -v18
	v_rndne_f32_e32 v36, v18
	v_fma_f32 v49, v4, s21, -v30
	v_rndne_f32_e32 v57, v30
	v_rndne_f32_e32 v61, v31
	v_fmac_f32_e32 v35, 0x32a5705f, v0
	v_sub_f32_e32 v18, v18, v36
	v_fmac_f32_e32 v49, 0x32a5705f, v4
	v_sub_f32_e32 v30, v30, v57
	v_fma_f32 v60, v5, s21, -v31
	v_sub_f32_e32 v78, v31, v61
	v_add_f32_e32 v18, v18, v35
	v_add_f32_e32 v35, v30, v49
	v_sub_f32_e32 v1, v1, v74
	v_sub_f32_e32 v2, v2, v74
	v_mul_f32_e32 v19, 0x3fb8aa3b, v1
	v_sub_f32_e32 v3, v3, v74
	v_mul_f32_e32 v22, 0x3fb8aa3b, v2
	v_fma_f32 v37, v1, s21, -v19
	v_rndne_f32_e32 v38, v19
	v_mul_f32_e32 v25, 0x3fb8aa3b, v3
	v_fma_f32 v39, v2, s21, -v22
	v_rndne_f32_e32 v46, v22
	v_fmac_f32_e32 v37, 0x32a5705f, v1
	v_sub_f32_e32 v19, v19, v38
	v_fma_f32 v47, v3, s21, -v25
	v_rndne_f32_e32 v48, v25
	v_cvt_i32_f32_e32 v36, v36
	v_fmac_f32_e32 v39, 0x32a5705f, v2
	v_sub_f32_e32 v22, v22, v46
	v_add_f32_e32 v19, v19, v37
	v_exp_f32_e32 v18, v18
	v_sub_f32_e32 v6, v6, v74
	v_cvt_i32_f32_e32 v38, v38
	v_fmac_f32_e32 v47, 0x32a5705f, v3
	v_sub_f32_e32 v25, v25, v48
	v_add_f32_e32 v22, v22, v39
	v_exp_f32_e32 v19, v19
	v_sub_f32_e32 v7, v7, v74
	v_mul_f32_e32 v32, 0x3fb8aa3b, v6
	v_cvt_i32_f32_e32 v46, v46
	v_add_f32_e32 v25, v25, v47
	v_exp_f32_e32 v22, v22
	v_sub_f32_e32 v20, v73, v74
	s_waitcnt vmcnt(0)
	ds_write_b128 v17, v[26:29]
	flat_load_dwordx4 v[28:31], v[8:9]
	v_mul_f32_e32 v33, 0x3fb8aa3b, v7
	v_fma_f32 v64, v6, s21, -v32
	v_rndne_f32_e32 v65, v32
	v_cvt_i32_f32_e32 v48, v48
	v_fmac_f32_e32 v60, 0x32a5705f, v5
	v_exp_f32_e32 v25, v25
	v_mul_f32_e32 v34, 0x3fb8aa3b, v20
	v_fma_f32 v73, v7, s21, -v33
	v_rndne_f32_e32 v75, v33
	v_cvt_i32_f32_e32 v57, v57
	v_fmac_f32_e32 v64, 0x32a5705f, v6
	v_sub_f32_e32 v32, v32, v65
	v_add_f32_e32 v8, v78, v60
	v_exp_f32_e32 v27, v35
	v_ldexp_f32 v18, v18, v36
	v_cmp_ngt_f32_e64 s[12:13], s20, v0
	v_fma_f32 v76, v20, s21, -v34
	v_rndne_f32_e32 v77, v34
	v_cvt_i32_f32_e32 v61, v61
	v_fmac_f32_e32 v73, 0x32a5705f, v7
	v_sub_f32_e32 v33, v33, v75
	v_add_f32_e32 v9, v32, v64
	v_exp_f32_e32 v8, v8
	v_ldexp_f32 v19, v19, v38
	v_cndmask_b32_e64 v18, 0, v18, s[12:13]
	v_cmp_ngt_f32_e64 s[12:13], s20, v1
	v_cvt_i32_f32_e32 v65, v65
	v_fmac_f32_e32 v76, 0x32a5705f, v20
	v_sub_f32_e32 v34, v34, v77
	v_add_f32_e32 v17, v33, v73
	v_exp_f32_e32 v9, v9
	v_ldexp_f32 v22, v22, v46
	v_cndmask_b32_e64 v19, 0, v19, s[12:13]
	v_cmp_ngt_f32_e64 s[12:13], s20, v2
	v_cvt_i32_f32_e32 v75, v75
	v_add_f32_e32 v26, v34, v76
	v_exp_f32_e32 v17, v17
	v_ldexp_f32 v25, v25, v48
	v_cndmask_b32_e64 v22, 0, v22, s[12:13]
	v_cmp_ngt_f32_e64 s[12:13], s20, v3
	v_cvt_i32_f32_e32 v77, v77
	v_exp_f32_e32 v26, v26
	v_ldexp_f32 v27, v27, v57
	v_cndmask_b32_e64 v25, 0, v25, s[12:13]
	v_cmp_ngt_f32_e64 s[12:13], s20, v4
	v_ldexp_f32 v8, v8, v61
	v_ldexp_f32 v9, v9, v65
	v_cndmask_b32_e64 v27, 0, v27, s[12:13]
	v_cmp_ngt_f32_e64 s[12:13], s20, v5
	v_ldexp_f32 v17, v17, v75
	v_ldexp_f32 v26, v26, v77
	v_cndmask_b32_e64 v8, 0, v8, s[12:13]
	v_cmp_ngt_f32_e64 s[12:13], s20, v6
	s_waitcnt vmcnt(0) lgkmcnt(0)
	ds_write_b128 v16, v[28:31]
	v_cndmask_b32_e64 v9, 0, v9, s[12:13]
	v_cmp_ngt_f32_e64 s[12:13], s20, v7
	s_waitcnt lgkmcnt(0)
	s_barrier
	v_cndmask_b32_e64 v17, 0, v17, s[12:13]
	v_cmp_ngt_f32_e64 s[12:13], s20, v20
	s_nop 1
	v_cndmask_b32_e64 v32, 0, v26, s[12:13]
	v_cmp_nlt_f32_e64 s[12:13], s19, v0
	s_nop 1
	v_cndmask_b32_e64 v0, v56, v18, s[12:13]
	v_cmp_nlt_f32_e64 s[12:13], s19, v1
	v_cndmask_b32_e64 v0, 0, v0, s[14:15]
	s_nop 0
	v_cndmask_b32_e64 v18, v56, v19, s[12:13]
	v_cmp_nlt_f32_e64 s[12:13], s19, v2
	s_nop 1
	v_cndmask_b32_e64 v19, v56, v22, s[12:13]
	v_cmp_nlt_f32_e64 s[12:13], s19, v3
	v_cndmask_b32_e64 v3, v13, v18, s[10:11]
	v_cvt_pk_f16_f32 v46, v0, v3
	v_cndmask_b32_e64 v26, v56, v25, s[12:13]
	v_cmp_nlt_f32_e64 s[12:13], s19, v4
	s_nop 1
	v_cndmask_b32_e64 v27, v56, v27, s[12:13]
	v_cmp_nlt_f32_e64 s[12:13], s19, v5
	v_cndmask_b32_e64 v2, v14, v27, s[4:5]
	s_nop 0
	v_cndmask_b32_e64 v34, v56, v8, s[12:13]
	v_cmp_nlt_f32_e64 s[12:13], s19, v6
	v_cndmask_b32_e64 v6, v12, v19, s[8:9]
	v_cndmask_b32_e64 v1, v21, v34, s[16:17]
	v_cndmask_b32_e64 v35, v56, v9, s[12:13]
	v_cmp_nlt_f32_e64 s[12:13], s19, v7
	v_cndmask_b32_e64 v7, v15, v26, s[6:7]
	v_cvt_pk_f16_f32 v47, v6, v7
	v_cndmask_b32_e64 v73, v56, v17, s[12:13]
	v_cmp_nlt_f32_e64 s[12:13], s19, v20
	v_cndmask_b32_e64 v4, v24, v35, s[0:1]
	v_cndmask_b32_e32 v17, v23, v73, vcc
	v_cndmask_b32_e64 v5, v56, v32, s[12:13]
	v_cmp_le_f32_e64 s[12:13], s3, v20
	v_cvt_pk_f16_f32 v49, v4, v17
	v_cvt_pk_f16_f32 v48, v2, v1
	v_cndmask_b32_e64 v75, 0, v5, s[12:13]
	v_cvt_f16_f32_e32 v5, v75
	v_mul_u32_u24_e32 v36, 0x10001, v5
	v_pk_mul_f16 v3, v45, v36
	v_pk_mul_f16 v5, v41, v36
	;; [unrolled: 1-line block ×3, first 2 shown]
	v_cvt_f32_f16_e32 v6, v3
	v_cvt_f32_f16_sdwa v7, v3 dst_sel:DWORD dst_unused:UNUSED_PAD src0_sel:WORD_1
	v_cvt_f32_f16_e32 v8, v5
	v_cvt_f32_f16_sdwa v9, v5 dst_sel:DWORD dst_unused:UNUSED_PAD src0_sel:WORD_1
	ds_read_u16 v3, v10
	ds_read_u16 v5, v10 offset:32
	ds_read_u16 v16, v10 offset:64
	;; [unrolled: 1-line block ×23, first 2 shown]
	ds_read_u16 v14, v11
	ds_read_u16 v32, v11 offset:32
	ds_read_u16 v41, v11 offset:64
	ds_read_u16 v79, v11 offset:96
	ds_read_u16 v80, v11 offset:128
	ds_read_u16 v81, v11 offset:160
	ds_read_u16 v82, v11 offset:192
	ds_read_u16 v83, v11 offset:224
	ds_read_u16 v22, v10 offset:16896
	ds_read_u16 v33, v10 offset:16928
	ds_read_u16 v84, v10 offset:16960
	ds_read_u16 v85, v10 offset:16992
	ds_read_u16 v86, v10 offset:17024
	ds_read_u16 v87, v10 offset:17056
	ds_read_u16 v88, v10 offset:17088
	ds_read_u16 v89, v10 offset:17120
	ds_read_u16 v15, v10 offset:17952
	ds_read_u16 v90, v10 offset:17984
	ds_read_u16 v91, v10 offset:18016
	ds_read_u16 v92, v10 offset:18048
	ds_read_u16 v93, v10 offset:18080
	ds_read_u16 v94, v10 offset:18112
	ds_read_u16 v95, v10 offset:18144
	ds_read_u16 v96, v10 offset:18176
	s_waitcnt lgkmcnt(14)
	v_perm_b32 v13, v14, v13, s2
	v_perm_b32 v12, v12, v3, s2
	ds_read_u16 v3, v11 offset:16896
	ds_read_u16 v97, v11 offset:16928
	;; [unrolled: 1-line block ×8, first 2 shown]
	v_mfma_f32_16x16x16_f16 v[6:9], v[12:13], v[46:47], v[6:9]
	s_waitcnt lgkmcnt(7)
	v_perm_b32 v15, v3, v15, s2
	v_pk_mul_f16 v40, v40, v36
	v_cvt_f32_f16_e32 v2, v20
	s_nop 3
	v_cvt_f16_f32_e32 v3, v6
	v_cvt_f16_f32_e32 v7, v7
	;; [unrolled: 1-line block ×4, first 2 shown]
	v_cvt_f32_f16_e32 v6, v3
	ds_read_u16 v3, v10 offset:17424
	ds_read_u16 v12, v10 offset:17456
	;; [unrolled: 1-line block ×8, first 2 shown]
	s_waitcnt lgkmcnt(7)
	v_perm_b32 v14, v3, v22, s2
	v_cvt_f32_f16_e32 v7, v7
	v_cvt_f32_f16_e32 v8, v8
	;; [unrolled: 1-line block ×3, first 2 shown]
	v_cvt_f32_f16_sdwa v3, v20 dst_sel:DWORD dst_unused:UNUSED_PAD src0_sel:WORD_1
	v_cvt_f32_f16_e32 v4, v40
	v_mfma_f32_16x16x16_f16 v[22:25], v[14:15], v[48:49], v[6:9]
	v_pk_mul_f16 v133, v133, v36
	s_nop 1
	v_perm_b32 v7, v32, v31, s2
	v_perm_b32 v6, v30, v5, s2
	v_cvt_f32_f16_sdwa v5, v40 dst_sel:DWORD dst_unused:UNUSED_PAD src0_sel:WORD_1
	v_pk_mul_f16 v8, v42, v36
	s_nop 0
	v_mfma_f32_16x16x16_f16 v[2:5], v[6:7], v[46:47], v[2:5]
	v_perm_b32 v7, v97, v90, s2
	s_waitcnt lgkmcnt(6)
	v_perm_b32 v6, v12, v33, s2
	s_nop 4
	v_cvt_f16_f32_e32 v1, v2
	v_cvt_f16_f32_e32 v3, v3
	v_cvt_f16_f32_e32 v4, v4
	v_cvt_f16_f32_e32 v5, v5
	v_cvt_f32_f16_e32 v2, v1
	v_cvt_f32_f16_e32 v3, v3
	v_cvt_f32_f16_e32 v4, v4
	v_cvt_f32_f16_e32 v5, v5
	v_pk_mul_f16 v1, v43, v36
	s_nop 0
	v_mfma_f32_16x16x16_f16 v[30:33], v[6:7], v[48:49], v[2:5]
	v_perm_b32 v7, v41, v39, s2
	v_perm_b32 v6, v38, v16, s2
	s_nop 0
	v_cvt_f32_f16_e32 v2, v1
	v_cvt_f32_f16_sdwa v3, v1 dst_sel:DWORD dst_unused:UNUSED_PAD src0_sel:WORD_1
	v_cvt_f32_f16_e32 v4, v8
	v_cvt_f32_f16_sdwa v5, v8 dst_sel:DWORD dst_unused:UNUSED_PAD src0_sel:WORD_1
	v_pk_mul_f16 v8, v52, v36
	s_nop 0
	v_mfma_f32_16x16x16_f16 v[2:5], v[6:7], v[46:47], v[2:5]
	v_perm_b32 v7, v98, v91, s2
	s_waitcnt lgkmcnt(5)
	v_perm_b32 v6, v13, v84, s2
	s_nop 4
	v_cvt_f16_f32_e32 v1, v2
	v_cvt_f16_f32_e32 v3, v3
	v_cvt_f16_f32_e32 v4, v4
	v_cvt_f16_f32_e32 v5, v5
	v_cvt_f32_f16_e32 v2, v1
	v_cvt_f32_f16_e32 v3, v3
	v_cvt_f32_f16_e32 v4, v4
	v_cvt_f32_f16_e32 v5, v5
	v_pk_mul_f16 v1, v53, v36
	s_nop 0
	v_mfma_f32_16x16x16_f16 v[38:41], v[6:7], v[48:49], v[2:5]
	v_perm_b32 v7, v79, v45, s2
	v_perm_b32 v6, v44, v21, s2
	s_nop 0
	v_cvt_f32_f16_e32 v2, v1
	v_cvt_f32_f16_sdwa v3, v1 dst_sel:DWORD dst_unused:UNUSED_PAD src0_sel:WORD_1
	v_cvt_f32_f16_e32 v4, v8
	v_cvt_f32_f16_sdwa v5, v8 dst_sel:DWORD dst_unused:UNUSED_PAD src0_sel:WORD_1
	v_pk_mul_f16 v8, v50, v36
	s_nop 0
	v_mfma_f32_16x16x16_f16 v[2:5], v[6:7], v[46:47], v[2:5]
	v_perm_b32 v7, v99, v92, s2
	s_waitcnt lgkmcnt(4)
	v_perm_b32 v6, v104, v85, s2
	s_nop 4
	v_cvt_f16_f32_e32 v1, v2
	v_cvt_f16_f32_e32 v3, v3
	v_cvt_f16_f32_e32 v4, v4
	v_cvt_f16_f32_e32 v5, v5
	v_cvt_f32_f16_e32 v2, v1
	v_cvt_f32_f16_e32 v3, v3
	v_cvt_f32_f16_e32 v4, v4
	v_cvt_f32_f16_e32 v5, v5
	v_pk_mul_f16 v1, v51, v36
	s_nop 0
	v_mfma_f32_16x16x16_f16 v[42:45], v[6:7], v[48:49], v[2:5]
	v_perm_b32 v7, v80, v61, s2
	v_perm_b32 v6, v56, v28, s2
	s_nop 0
	v_cvt_f32_f16_e32 v2, v1
	v_cvt_f32_f16_sdwa v3, v1 dst_sel:DWORD dst_unused:UNUSED_PAD src0_sel:WORD_1
	v_cvt_f32_f16_e32 v4, v8
	v_cvt_f32_f16_sdwa v5, v8 dst_sel:DWORD dst_unused:UNUSED_PAD src0_sel:WORD_1
	v_pk_mul_f16 v8, v54, v36
	s_nop 0
	v_mfma_f32_16x16x16_f16 v[2:5], v[6:7], v[46:47], v[2:5]
	v_perm_b32 v7, v100, v93, s2
	s_waitcnt lgkmcnt(3)
	v_perm_b32 v6, v105, v86, s2
	s_nop 4
	v_cvt_f16_f32_e32 v1, v2
	v_cvt_f16_f32_e32 v3, v3
	v_cvt_f16_f32_e32 v4, v4
	v_cvt_f16_f32_e32 v5, v5
	v_cvt_f32_f16_e32 v2, v1
	v_cvt_f32_f16_e32 v3, v3
	v_cvt_f32_f16_e32 v4, v4
	v_cvt_f32_f16_e32 v5, v5
	v_pk_mul_f16 v1, v55, v36
	s_nop 0
	v_mfma_f32_16x16x16_f16 v[50:53], v[6:7], v[48:49], v[2:5]
	v_perm_b32 v7, v81, v76, s2
	v_perm_b32 v6, v57, v29, s2
	s_nop 0
	v_cvt_f32_f16_e32 v2, v1
	v_cvt_f32_f16_sdwa v3, v1 dst_sel:DWORD dst_unused:UNUSED_PAD src0_sel:WORD_1
	v_cvt_f32_f16_e32 v4, v8
	v_cvt_f32_f16_sdwa v5, v8 dst_sel:DWORD dst_unused:UNUSED_PAD src0_sel:WORD_1
	v_pk_mul_f16 v8, v58, v36
	s_nop 0
	v_mfma_f32_16x16x16_f16 v[2:5], v[6:7], v[46:47], v[2:5]
	v_perm_b32 v7, v101, v94, s2
	s_waitcnt lgkmcnt(2)
	v_perm_b32 v6, v106, v87, s2
	s_nop 4
	v_cvt_f16_f32_e32 v1, v2
	v_cvt_f16_f32_e32 v3, v3
	v_cvt_f16_f32_e32 v4, v4
	v_cvt_f16_f32_e32 v5, v5
	v_cvt_f32_f16_e32 v2, v1
	v_cvt_f32_f16_e32 v3, v3
	v_cvt_f32_f16_e32 v4, v4
	v_cvt_f32_f16_e32 v5, v5
	v_pk_mul_f16 v1, v59, v36
	s_nop 0
	v_mfma_f32_16x16x16_f16 v[54:57], v[6:7], v[48:49], v[2:5]
	v_perm_b32 v7, v82, v77, s2
	v_perm_b32 v6, v60, v37, s2
	s_nop 0
	v_cvt_f32_f16_e32 v2, v1
	v_cvt_f32_f16_sdwa v3, v1 dst_sel:DWORD dst_unused:UNUSED_PAD src0_sel:WORD_1
	v_cvt_f32_f16_e32 v4, v8
	v_cvt_f32_f16_sdwa v5, v8 dst_sel:DWORD dst_unused:UNUSED_PAD src0_sel:WORD_1
	v_pk_mul_f16 v8, v62, v36
	s_nop 0
	v_mfma_f32_16x16x16_f16 v[2:5], v[6:7], v[46:47], v[2:5]
	v_perm_b32 v7, v102, v95, s2
	s_waitcnt lgkmcnt(1)
	v_perm_b32 v6, v107, v88, s2
	s_nop 4
	v_cvt_f16_f32_e32 v1, v2
	v_cvt_f16_f32_e32 v3, v3
	v_cvt_f16_f32_e32 v4, v4
	v_cvt_f16_f32_e32 v5, v5
	v_cvt_f32_f16_e32 v2, v1
	v_cvt_f32_f16_e32 v3, v3
	v_cvt_f32_f16_e32 v4, v4
	v_cvt_f32_f16_e32 v5, v5
	v_pk_mul_f16 v1, v63, v36
	s_nop 0
	v_mfma_f32_16x16x16_f16 v[58:61], v[6:7], v[48:49], v[2:5]
	v_perm_b32 v7, v83, v78, s2
	v_perm_b32 v6, v65, v64, s2
	s_nop 0
	v_cvt_f32_f16_e32 v2, v1
	v_cvt_f32_f16_sdwa v3, v1 dst_sel:DWORD dst_unused:UNUSED_PAD src0_sel:WORD_1
	v_cvt_f32_f16_e32 v4, v8
	v_cvt_f32_f16_sdwa v5, v8 dst_sel:DWORD dst_unused:UNUSED_PAD src0_sel:WORD_1
	v_pk_mul_f16 v8, v66, v36
	s_nop 0
	v_mfma_f32_16x16x16_f16 v[2:5], v[6:7], v[46:47], v[2:5]
	v_perm_b32 v7, v103, v96, s2
	s_waitcnt lgkmcnt(0)
	v_perm_b32 v6, v108, v89, s2
	s_nop 4
	v_cvt_f16_f32_e32 v1, v2
	v_cvt_f16_f32_e32 v3, v3
	;; [unrolled: 1-line block ×4, first 2 shown]
	v_cvt_f32_f16_e32 v2, v1
	v_cvt_f32_f16_e32 v3, v3
	;; [unrolled: 1-line block ×4, first 2 shown]
	v_pk_mul_f16 v1, v67, v36
	s_nop 0
	v_mfma_f32_16x16x16_f16 v[62:65], v[6:7], v[48:49], v[2:5]
	s_nop 2
	v_cvt_f32_f16_e32 v2, v1
	v_cvt_f32_f16_sdwa v3, v1 dst_sel:DWORD dst_unused:UNUSED_PAD src0_sel:WORD_1
	ds_read_u16 v1, v10 offset:1312
	ds_read_u16 v9, v10 offset:1344
	;; [unrolled: 1-line block ×16, first 2 shown]
	s_waitcnt lgkmcnt(7)
	v_perm_b32 v7, v5, v1, s2
	ds_read_u16 v1, v10 offset:256
	ds_read_u16 v15, v10 offset:288
	;; [unrolled: 1-line block ×16, first 2 shown]
	s_waitcnt lgkmcnt(7)
	v_perm_b32 v6, v5, v1, s2
	v_cvt_f32_f16_e32 v4, v8
	v_cvt_f32_f16_sdwa v5, v8 dst_sel:DWORD dst_unused:UNUSED_PAD src0_sel:WORD_1
	v_cvt_f32_f16_e32 v8, v133
	s_nop 0
	v_mfma_f32_16x16x16_f16 v[2:5], v[6:7], v[46:47], v[2:5]
	s_nop 7
	v_cvt_f16_f32_e32 v1, v2
	v_cvt_f16_f32_e32 v3, v3
	v_cvt_f16_f32_e32 v4, v4
	v_cvt_f16_f32_e32 v5, v5
	v_cvt_f32_f16_e32 v2, v1
	ds_read_u16 v1, v10 offset:18208
	ds_read_u16 v90, v10 offset:18240
	;; [unrolled: 1-line block ×16, first 2 shown]
	s_waitcnt lgkmcnt(7)
	v_perm_b32 v7, v6, v1, s2
	ds_read_u16 v1, v10 offset:17152
	ds_read_u16 v104, v10 offset:17184
	;; [unrolled: 1-line block ×16, first 2 shown]
	s_waitcnt lgkmcnt(7)
	v_perm_b32 v6, v6, v1, s2
	v_cvt_f32_f16_e32 v3, v3
	v_cvt_f32_f16_e32 v4, v4
	;; [unrolled: 1-line block ×3, first 2 shown]
	v_pk_mul_f16 v1, v134, v36
	v_perm_b32 v11, v12, v9, s2
	v_perm_b32 v10, v21, v15, s2
	v_mfma_f32_16x16x16_f16 v[2:5], v[6:7], v[48:49], v[2:5]
	v_cvt_f32_f16_e32 v6, v1
	v_cvt_f32_f16_sdwa v7, v1 dst_sel:DWORD dst_unused:UNUSED_PAD src0_sel:WORD_1
	v_cvt_f32_f16_sdwa v9, v133 dst_sel:DWORD dst_unused:UNUSED_PAD src0_sel:WORD_1
	v_pk_mul_f16 v21, v131, v36
	v_perm_b32 v15, v14, v13, s2
	v_mfma_f32_16x16x16_f16 v[6:9], v[10:11], v[46:47], v[6:9]
	v_perm_b32 v11, v97, v90, s2
	s_waitcnt lgkmcnt(6)
	v_perm_b32 v10, v111, v104, s2
	v_perm_b32 v14, v77, v16, s2
	v_cvt_f32_f16_e32 v12, v21
	s_nop 2
	v_cvt_f16_f32_e32 v1, v6
	v_cvt_f16_f32_e32 v7, v7
	v_cvt_f16_f32_e32 v8, v8
	v_cvt_f16_f32_e32 v9, v9
	v_cvt_f32_f16_e32 v6, v1
	v_cvt_f32_f16_e32 v7, v7
	;; [unrolled: 1-line block ×4, first 2 shown]
	v_pk_mul_f16 v1, v132, v36
	v_cvt_f32_f16_sdwa v13, v21 dst_sel:DWORD dst_unused:UNUSED_PAD src0_sel:WORD_1
	v_mfma_f32_16x16x16_f16 v[6:9], v[10:11], v[48:49], v[6:9]
	v_cvt_f32_f16_e32 v10, v1
	v_cvt_f32_f16_sdwa v11, v1 dst_sel:DWORD dst_unused:UNUSED_PAD src0_sel:WORD_1
	v_pk_mul_f16 v77, v129, v36
	v_perm_b32 v21, v20, v17, s2
	v_mfma_f32_16x16x16_f16 v[10:13], v[14:15], v[46:47], v[10:13]
	v_perm_b32 v15, v98, v91, s2
	s_waitcnt lgkmcnt(5)
	v_perm_b32 v14, v112, v105, s2
	v_perm_b32 v20, v78, v76, s2
	v_cvt_f32_f16_e32 v16, v77
	s_nop 2
	v_cvt_f16_f32_e32 v1, v10
	v_cvt_f16_f32_e32 v11, v11
	;; [unrolled: 1-line block ×4, first 2 shown]
	v_cvt_f32_f16_e32 v10, v1
	v_cvt_f32_f16_e32 v11, v11
	;; [unrolled: 1-line block ×4, first 2 shown]
	v_pk_mul_f16 v1, v130, v36
	v_cvt_f32_f16_sdwa v17, v77 dst_sel:DWORD dst_unused:UNUSED_PAD src0_sel:WORD_1
	v_mfma_f32_16x16x16_f16 v[10:13], v[14:15], v[48:49], v[10:13]
	v_cvt_f32_f16_e32 v14, v1
	v_cvt_f32_f16_sdwa v15, v1 dst_sel:DWORD dst_unused:UNUSED_PAD src0_sel:WORD_1
	v_pk_mul_f16 v90, v127, v36
	s_waitcnt lgkmcnt(0)
	v_mfma_f32_16x16x16_f16 v[14:17], v[20:21], v[46:47], v[14:17]
	v_perm_b32 v21, v99, v92, s2
	v_perm_b32 v20, v113, v106, s2
	v_cvt_f32_f16_e32 v78, v90
	s_barrier
	s_nop 3
	v_cvt_f16_f32_e32 v1, v14
	v_cvt_f16_f32_e32 v15, v15
	;; [unrolled: 1-line block ×4, first 2 shown]
	v_cvt_f32_f16_e32 v14, v1
	v_cvt_f32_f16_e32 v15, v15
	;; [unrolled: 1-line block ×4, first 2 shown]
	v_pk_mul_f16 v1, v128, v36
	s_nop 0
	v_mfma_f32_16x16x16_f16 v[14:17], v[20:21], v[48:49], v[14:17]
	v_perm_b32 v21, v67, v28, s2
	v_perm_b32 v20, v86, v79, s2
	v_cvt_f32_f16_e32 v76, v1
	v_cvt_f32_f16_sdwa v77, v1 dst_sel:DWORD dst_unused:UNUSED_PAD src0_sel:WORD_1
	v_cvt_f32_f16_sdwa v79, v90 dst_sel:DWORD dst_unused:UNUSED_PAD src0_sel:WORD_1
	v_add_f32_e32 v1, v18, v0
	v_cndmask_b32_e64 v28, v0, v1, s[10:11]
	v_add_f32_e32 v67, v28, v19
	v_mfma_f32_16x16x16_f16 v[18:21], v[20:21], v[46:47], v[76:79]
	v_cndmask_b32_e64 v28, v28, v67, s[8:9]
	v_pk_mul_f16 v67, v126, v36
	v_add_f32_e32 v26, v28, v26
	v_pk_mul_f16 v79, v125, v36
	v_cvt_f32_f16_e32 v76, v67
	s_nop 2
	v_cvt_f16_f32_e32 v0, v18
	v_cvt_f16_f32_e32 v1, v19
	;; [unrolled: 1-line block ×4, first 2 shown]
	v_cvt_f32_f16_e32 v18, v0
	v_cvt_f32_f16_e32 v19, v1
	v_perm_b32 v1, v100, v93, s2
	v_perm_b32 v0, v114, v107, s2
	v_cvt_f32_f16_e32 v20, v20
	v_cvt_f32_f16_e32 v21, v21
	v_cvt_f32_f16_sdwa v77, v67 dst_sel:DWORD dst_unused:UNUSED_PAD src0_sel:WORD_1
	v_cvt_f32_f16_e32 v78, v79
	v_mfma_f32_16x16x16_f16 v[18:21], v[0:1], v[48:49], v[18:21]
	v_perm_b32 v1, v80, v29, s2
	v_perm_b32 v0, v87, v83, s2
	v_cvt_f32_f16_sdwa v79, v79 dst_sel:DWORD dst_unused:UNUSED_PAD src0_sel:WORD_1
	v_cndmask_b32_e64 v67, v28, v26, s[6:7]
	v_add_f32_e32 v80, v27, v67
	v_mfma_f32_16x16x16_f16 v[26:29], v[0:1], v[46:47], v[76:79]
	v_cndmask_b32_e64 v67, v67, v80, s[4:5]
	v_add_f32_e32 v34, v34, v67
	s_nop 0
	v_pk_mul_f16 v77, v124, v36
	v_pk_mul_f16 v79, v122, v36
	s_nop 2
	v_cvt_f16_f32_e32 v0, v26
	v_cvt_f16_f32_e32 v1, v27
	;; [unrolled: 1-line block ×4, first 2 shown]
	v_cvt_f32_f16_e32 v26, v0
	v_cvt_f32_f16_e32 v27, v1
	v_perm_b32 v1, v101, v94, s2
	v_perm_b32 v0, v115, v108, s2
	v_cvt_f32_f16_e32 v28, v28
	v_cvt_f32_f16_e32 v29, v29
	;; [unrolled: 1-line block ×3, first 2 shown]
	v_cvt_f32_f16_sdwa v77, v77 dst_sel:DWORD dst_unused:UNUSED_PAD src0_sel:WORD_1
	v_mfma_f32_16x16x16_f16 v[26:29], v[0:1], v[48:49], v[26:29]
	v_perm_b32 v1, v81, v37, s2
	v_perm_b32 v0, v88, v84, s2
	v_cvt_f32_f16_e32 v78, v79
	v_cvt_f32_f16_sdwa v79, v79 dst_sel:DWORD dst_unused:UNUSED_PAD src0_sel:WORD_1
	v_cndmask_b32_e64 v34, v67, v34, s[16:17]
	v_add_f32_e32 v35, v35, v34
	v_mfma_f32_16x16x16_f16 v[76:79], v[0:1], v[46:47], v[76:79]
	v_pk_mul_f16 v80, v121, v36
	v_pk_mul_f16 v81, v120, v36
	s_nop 5
	v_cvt_f16_f32_e32 v0, v76
	v_cvt_f16_f32_e32 v1, v77
	;; [unrolled: 1-line block ×4, first 2 shown]
	v_cvt_f32_f16_e32 v76, v0
	v_cvt_f32_f16_e32 v77, v1
	v_perm_b32 v1, v102, v95, s2
	v_perm_b32 v0, v116, v109, s2
	v_cvt_f32_f16_e32 v78, v37
	v_cvt_f32_f16_e32 v79, v67
	v_cndmask_b32_e64 v67, v34, v35, s[0:1]
	v_cmp_gt_u32_e64 s[0:1], 16, v70
	v_mfma_f32_16x16x16_f16 v[34:37], v[0:1], v[48:49], v[76:79]
	v_perm_b32 v1, v82, v66, s2
	v_perm_b32 v0, v89, v85, s2
	s_nop 0
	v_cvt_f32_f16_e32 v76, v80
	v_cvt_f32_f16_sdwa v77, v80 dst_sel:DWORD dst_unused:UNUSED_PAD src0_sel:WORD_1
	v_cvt_f32_f16_e32 v78, v81
	v_cvt_f32_f16_sdwa v79, v81 dst_sel:DWORD dst_unused:UNUSED_PAD src0_sel:WORD_1
	v_add_f32_e32 v66, v73, v67
	v_cndmask_b32_e32 v66, v67, v66, vcc
	v_mfma_f32_16x16x16_f16 v[76:79], v[0:1], v[46:47], v[76:79]
	v_fmac_f32_e32 v66, v68, v75
	ds_bpermute_b32 v67, v72, v66
	s_nop 5
	v_cvt_f16_f32_e32 v0, v76
	v_cvt_f16_f32_e32 v1, v77
	;; [unrolled: 1-line block ×4, first 2 shown]
	v_cvt_f32_f16_e32 v76, v0
	v_cvt_f32_f16_e32 v77, v1
	v_perm_b32 v1, v103, v96, s2
	v_perm_b32 v0, v117, v110, s2
	v_cvt_f32_f16_e32 v78, v46
	v_cvt_f32_f16_e32 v79, v47
	s_nop 1
	v_mfma_f32_16x16x16_f16 v[46:49], v[0:1], v[48:49], v[76:79]
	s_waitcnt lgkmcnt(0)
	v_add_f32_e32 v0, v66, v67
	ds_bpermute_b32 v1, v69, v0
	s_and_saveexec_b64 s[2:3], s[0:1]
	s_cbranch_execz .LBB29_550
; %bb.549:
	s_waitcnt lgkmcnt(0)
	v_add_f32_e32 v0, v0, v1
	v_or_b32_e32 v1, v240, v70
	s_movk_i32 s4, 0x110
	v_mad_u32_u24 v1, v1, s4, 0
	ds_write2_b32 v1, v74, v0 offset0:64 offset1:65
.LBB29_550:
	s_or_b64 exec, exec, s[2:3]
	v_and_b32_e32 v0, 1, v123
	v_cmp_eq_u32_e32 vcc, 0, v0
	v_cmp_eq_u32_e64 s[4:5], 1, v0
	s_waitcnt lgkmcnt(0)
	s_barrier
	s_and_saveexec_b64 s[2:3], s[4:5]
	s_xor_b64 s[2:3], exec, s[2:3]
	s_cbranch_execz .LBB29_552
; %bb.551:
	s_barrier
                                        ; implicit-def: $vgpr241
                                        ; implicit-def: $vgpr69
.LBB29_552:
	s_andn2_saveexec_b64 s[2:3], s[2:3]
	s_cbranch_execz .LBB29_558
; %bb.553:
	v_and_or_b32 v1, v70, 31, v240
	s_movk_i32 s4, 0x110
	v_mad_u32_u24 v0, v1, s4, 0
	ds_read_b64 v[72:73], v0 offset:256
	s_mov_b32 s4, 0x3fb8aa3b
	s_mov_b32 s6, 0x42b17218
	s_waitcnt lgkmcnt(0)
	s_barrier
	ds_bpermute_b32 v0, v69, v72
	v_max_f32_e32 v66, v72, v72
	s_waitcnt lgkmcnt(0)
	v_max_f32_e32 v0, v0, v0
	v_max_f32_e32 v0, v66, v0
	v_sub_f32_e32 v66, v72, v0
	v_mul_f32_e32 v67, 0x3fb8aa3b, v66
	v_fma_f32 v68, v66, s4, -v67
	v_rndne_f32_e32 v72, v67
	v_fmamk_f32 v68, v66, 0x32a5705f, v68
	v_sub_f32_e32 v67, v67, v72
	v_add_f32_e32 v67, v67, v68
	v_cvt_i32_f32_e32 v72, v72
	v_exp_f32_e32 v67, v67
	s_mov_b32 s4, 0xc2ce8ed0
	v_cmp_ngt_f32_e64 s[4:5], s4, v66
	v_mov_b32_e32 v68, 0x7f800000
	v_ldexp_f32 v67, v67, v72
	v_cndmask_b32_e64 v67, 0, v67, s[4:5]
	v_cmp_nlt_f32_e64 s[4:5], s6, v66
	s_nop 1
	v_cndmask_b32_e64 v66, v68, v67, s[4:5]
	v_mul_f32_e32 v67, v73, v66
	ds_bpermute_b32 v67, v69, v67
	v_cmp_gt_u32_e64 s[4:5], 32, v70
	s_waitcnt lgkmcnt(0)
	v_fmac_f32_e32 v67, v73, v66
	s_and_saveexec_b64 s[6:7], s[4:5]
; %bb.554:
	v_mul_u32_u24_e32 v1, 0x110, v1
	v_add_u32_e32 v1, 0, v1
	ds_write_b64 v1, v[66:67] offset:256
; %bb.555:
	s_or_b64 exec, exec, s[6:7]
	s_and_saveexec_b64 s[4:5], s[0:1]
	s_cbranch_execz .LBB29_557
; %bb.556:
	s_add_i32 s0, s49, s54
	s_lshl_b32 s0, s0, 6
	s_mov_b32 s1, 0
	s_lshl_b64 s[0:1], s[0:1], 3
	s_add_u32 s0, s78, s0
	v_or_b32_e32 v1, v241, v70
	s_addc_u32 s1, s79, s1
	v_lshlrev_b32_e32 v66, 3, v1
	v_mov_b32_e32 v1, v67
	global_store_dwordx2 v66, v[0:1], s[0:1]
.LBB29_557:
	s_or_b64 exec, exec, s[4:5]
.LBB29_558:
	s_or_b64 exec, exec, s[2:3]
	s_mov_b32 s3, 0
	s_lshl_b32 s2, s54, 13
	v_or_b32_e32 v0, v240, v118
	s_lshl_b64 s[0:1], s[2:3], 3
	v_mul_u32_u24_e32 v0, 0x110, v0
	s_add_u32 s5, s78, s0
	v_cvt_pk_f16_f32 v24, v24, v25
	v_cvt_pk_f16_f32 v22, v22, v23
	s_movk_i32 s6, 0x110
	v_add3_u32 v1, 0, v0, v119
	s_addc_u32 s4, s79, s1
	v_lshrrev_b32_e32 v0, 1, v123
	v_cvt_pk_f16_f32 v23, v32, v33
	v_cvt_pk_f16_f32 v25, v30, v31
	v_cvt_pk_f16_f32 v30, v40, v41
	v_cvt_pk_f16_f32 v31, v38, v39
	v_cvt_pk_f16_f32 v32, v44, v45
	v_cvt_pk_f16_f32 v33, v42, v43
	v_cvt_pk_f16_f32 v38, v52, v53
	v_cvt_pk_f16_f32 v39, v50, v51
	v_cvt_pk_f16_f32 v40, v56, v57
	v_cvt_pk_f16_f32 v41, v54, v55
	v_cvt_pk_f16_f32 v42, v60, v61
	v_cvt_pk_f16_f32 v43, v58, v59
	v_cvt_pk_f16_f32 v44, v64, v65
	v_cvt_pk_f16_f32 v45, v62, v63
	ds_write2_b32 v1, v22, v24 offset1:1
	ds_write2_b32 v1, v25, v23 offset0:8 offset1:9
	ds_write2_b32 v1, v31, v30 offset0:16 offset1:17
	;; [unrolled: 1-line block ×7, first 2 shown]
	s_waitcnt lgkmcnt(0)
	s_barrier
	s_and_saveexec_b64 s[0:1], vcc
	s_cbranch_execz .LBB29_560
; %bb.559:
	v_bfe_u32 v32, v123, 1, 4
	s_movk_i32 s7, 0x3e0
	v_and_or_b32 v24, v123, s7, v32
	v_mad_u32_u24 v22, v24, s6, v71
	ds_read2st64_b32 v[22:23], v22 offset1:17
	v_readlane_b32 s8, v255, 6
	v_readlane_b32 s9, v255, 7
	s_load_dword s2, s[8:9], 0x10
	v_mad_u32_u24 v24, v24, s6, 0
	ds_read2st64_b32 v[24:25], v24 offset0:1 offset1:18
	s_waitcnt lgkmcnt(0)
	v_cvt_f32_f16_e32 v30, v22
	v_cvt_f32_f16_sdwa v31, v22 dst_sel:DWORD dst_unused:UNUSED_PAD src0_sel:WORD_1
	v_cvt_f32_f16_e32 v22, v23
	v_cvt_f32_f16_sdwa v23, v23 dst_sel:DWORD dst_unused:UNUSED_PAD src0_sel:WORD_1
	s_lshr_b32 s2, s2, 16
	s_cmp_lg_u32 s2, 0
	v_pk_fma_f32 v[30:31], v[24:25], v[30:31], 0 op_sel_hi:[0,1,0]
	v_mov_b32_e32 v24, v25
	s_cselect_b64 s[8:9], -1, 0
	v_pk_fma_f32 v[22:23], v[24:25], v[22:23], v[30:31] op_sel_hi:[0,1,1]
	v_add_u32_e32 v30, 4, v0
	s_cmp_lg_u64 s[8:9], 0
	v_lshlrev_b32_e32 v24, 1, v30
	v_and_b32_e32 v25, 15, v30
	s_movk_i32 s7, 0x7e0
	s_addc_u32 s2, s49, 0
	v_and_or_b32 v31, v24, s7, v25
	s_lshl_b32 s2, s2, 7
	v_mad_u32_u24 v24, v31, s6, v71
	s_lshl_b64 s[2:3], s[2:3], 3
	ds_read2st64_b32 v[24:25], v24 offset1:17
	s_add_u32 s2, s5, s2
	v_lshlrev_b32_e32 v33, 6, v123
	s_addc_u32 s3, s4, s3
	v_add_lshl_u32 v33, v33, v70, 3
	global_store_dwordx2 v33, v[22:23], s[2:3]
	v_mad_u32_u24 v22, v31, s6, 0
	ds_read2st64_b32 v[22:23], v22 offset0:1 offset1:18
	v_lshlrev_b32_e32 v33, 7, v30
	s_waitcnt lgkmcnt(1)
	v_cvt_f32_f16_e32 v30, v24
	v_cvt_f32_f16_sdwa v31, v24 dst_sel:DWORD dst_unused:UNUSED_PAD src0_sel:WORD_1
	v_cvt_f32_f16_e32 v24, v25
	v_cvt_f32_f16_sdwa v25, v25 dst_sel:DWORD dst_unused:UNUSED_PAD src0_sel:WORD_1
	v_add_lshl_u32 v33, v33, v70, 3
	s_waitcnt lgkmcnt(0)
	v_pk_fma_f32 v[30:31], v[22:23], v[30:31], 0 op_sel_hi:[0,1,0]
	v_mov_b32_e32 v22, v23
	v_pk_fma_f32 v[22:23], v[22:23], v[24:25], v[30:31] op_sel_hi:[0,1,1]
	v_add_u32_e32 v30, 8, v0
	v_lshlrev_b32_e32 v24, 1, v30
	v_and_b32_e32 v25, 15, v30
	v_and_or_b32 v31, v24, s7, v25
	v_mad_u32_u24 v24, v31, s6, v71
	ds_read2st64_b32 v[24:25], v24 offset1:17
	global_store_dwordx2 v33, v[22:23], s[2:3]
	v_mad_u32_u24 v22, v31, s6, 0
	ds_read2st64_b32 v[22:23], v22 offset0:1 offset1:18
	v_lshlrev_b32_e32 v33, 7, v30
	s_waitcnt lgkmcnt(1)
	v_cvt_f32_f16_e32 v30, v24
	v_cvt_f32_f16_sdwa v31, v24 dst_sel:DWORD dst_unused:UNUSED_PAD src0_sel:WORD_1
	v_cvt_f32_f16_e32 v24, v25
	v_cvt_f32_f16_sdwa v25, v25 dst_sel:DWORD dst_unused:UNUSED_PAD src0_sel:WORD_1
	v_add_lshl_u32 v33, v33, v70, 3
	s_waitcnt lgkmcnt(0)
	v_pk_fma_f32 v[30:31], v[22:23], v[30:31], 0 op_sel_hi:[0,1,0]
	v_mov_b32_e32 v22, v23
	v_pk_fma_f32 v[22:23], v[22:23], v[24:25], v[30:31] op_sel_hi:[0,1,1]
	v_add_u32_e32 v30, 12, v0
	v_lshlrev_b32_e32 v24, 1, v30
	v_and_b32_e32 v25, 15, v30
	v_and_or_b32 v31, v24, s7, v25
	v_mad_u32_u24 v24, v31, s6, v71
	ds_read2st64_b32 v[24:25], v24 offset1:17
	global_store_dwordx2 v33, v[22:23], s[2:3]
	v_mad_u32_u24 v22, v31, s6, 0
	ds_read2st64_b32 v[22:23], v22 offset0:1 offset1:18
	v_lshlrev_b32_e32 v33, 7, v30
	s_waitcnt lgkmcnt(1)
	v_cvt_f32_f16_e32 v30, v24
	v_cvt_f32_f16_sdwa v31, v24 dst_sel:DWORD dst_unused:UNUSED_PAD src0_sel:WORD_1
	v_cvt_f32_f16_e32 v24, v25
	v_cvt_f32_f16_sdwa v25, v25 dst_sel:DWORD dst_unused:UNUSED_PAD src0_sel:WORD_1
	v_add_lshl_u32 v33, v33, v70, 3
	s_waitcnt lgkmcnt(0)
	v_pk_fma_f32 v[30:31], v[22:23], v[30:31], 0 op_sel_hi:[0,1,0]
	v_mov_b32_e32 v22, v23
	v_pk_fma_f32 v[22:23], v[22:23], v[24:25], v[30:31] op_sel_hi:[0,1,1]
	v_add_u32_e32 v30, 16, v0
	v_lshlrev_b32_e32 v24, 1, v30
	v_and_or_b32 v31, v24, s7, v32
	v_mad_u32_u24 v24, v31, s6, v71
	ds_read2st64_b32 v[24:25], v24 offset1:17
	global_store_dwordx2 v33, v[22:23], s[2:3]
	v_mad_u32_u24 v22, v31, s6, 0
	ds_read2st64_b32 v[22:23], v22 offset0:1 offset1:18
	v_lshlrev_b32_e32 v33, 7, v30
	s_waitcnt lgkmcnt(1)
	v_cvt_f32_f16_e32 v30, v24
	v_cvt_f32_f16_sdwa v31, v24 dst_sel:DWORD dst_unused:UNUSED_PAD src0_sel:WORD_1
	v_cvt_f32_f16_e32 v24, v25
	v_cvt_f32_f16_sdwa v25, v25 dst_sel:DWORD dst_unused:UNUSED_PAD src0_sel:WORD_1
	v_add_lshl_u32 v33, v33, v70, 3
	s_waitcnt lgkmcnt(0)
	v_pk_fma_f32 v[30:31], v[22:23], v[30:31], 0 op_sel_hi:[0,1,0]
	v_mov_b32_e32 v22, v23
	v_pk_fma_f32 v[22:23], v[22:23], v[24:25], v[30:31] op_sel_hi:[0,1,1]
	v_add_u32_e32 v30, 20, v0
	v_lshlrev_b32_e32 v24, 1, v30
	v_and_b32_e32 v25, 15, v30
	v_and_or_b32 v31, v24, s7, v25
	v_mad_u32_u24 v24, v31, s6, v71
	ds_read2st64_b32 v[24:25], v24 offset1:17
	global_store_dwordx2 v33, v[22:23], s[2:3]
	v_mad_u32_u24 v22, v31, s6, 0
	ds_read2st64_b32 v[22:23], v22 offset0:1 offset1:18
	v_lshlrev_b32_e32 v33, 7, v30
	s_waitcnt lgkmcnt(1)
	v_cvt_f32_f16_e32 v30, v24
	v_cvt_f32_f16_sdwa v31, v24 dst_sel:DWORD dst_unused:UNUSED_PAD src0_sel:WORD_1
	v_cvt_f32_f16_e32 v24, v25
	v_cvt_f32_f16_sdwa v25, v25 dst_sel:DWORD dst_unused:UNUSED_PAD src0_sel:WORD_1
	v_add_lshl_u32 v33, v33, v70, 3
	s_waitcnt lgkmcnt(0)
	v_pk_fma_f32 v[30:31], v[22:23], v[30:31], 0 op_sel_hi:[0,1,0]
	v_mov_b32_e32 v22, v23
	v_pk_fma_f32 v[22:23], v[22:23], v[24:25], v[30:31] op_sel_hi:[0,1,1]
	v_add_u32_e32 v30, 24, v0
	v_lshlrev_b32_e32 v24, 1, v30
	v_and_b32_e32 v25, 15, v30
	;; [unrolled: 20-line block ×3, first 2 shown]
	v_and_or_b32 v31, v24, s7, v25
	v_mad_u32_u24 v24, v31, s6, v71
	ds_read2st64_b32 v[24:25], v24 offset1:17
	global_store_dwordx2 v33, v[22:23], s[2:3]
	v_mad_u32_u24 v22, v31, s6, 0
	ds_read2st64_b32 v[22:23], v22 offset0:1 offset1:18
	v_lshlrev_b32_e32 v33, 7, v30
	s_waitcnt lgkmcnt(1)
	v_cvt_f32_f16_e32 v30, v24
	v_cvt_f32_f16_sdwa v31, v24 dst_sel:DWORD dst_unused:UNUSED_PAD src0_sel:WORD_1
	v_cvt_f32_f16_e32 v24, v25
	v_cvt_f32_f16_sdwa v25, v25 dst_sel:DWORD dst_unused:UNUSED_PAD src0_sel:WORD_1
	v_add_lshl_u32 v33, v33, v70, 3
	s_waitcnt lgkmcnt(0)
	v_pk_fma_f32 v[30:31], v[22:23], v[30:31], 0 op_sel_hi:[0,1,0]
	v_mov_b32_e32 v22, v23
	v_pk_fma_f32 v[22:23], v[22:23], v[24:25], v[30:31] op_sel_hi:[0,1,1]
	v_add_u32_e32 v30, 32, v0
	v_lshlrev_b32_e32 v24, 1, v30
	v_and_or_b32 v31, v24, s7, v32
	v_mad_u32_u24 v24, v31, s6, v71
	ds_read2st64_b32 v[24:25], v24 offset1:17
	global_store_dwordx2 v33, v[22:23], s[2:3]
	v_mad_u32_u24 v22, v31, s6, 0
	ds_read2st64_b32 v[22:23], v22 offset0:1 offset1:18
	v_lshlrev_b32_e32 v33, 7, v30
	s_waitcnt lgkmcnt(1)
	v_cvt_f32_f16_e32 v30, v24
	v_cvt_f32_f16_sdwa v31, v24 dst_sel:DWORD dst_unused:UNUSED_PAD src0_sel:WORD_1
	v_cvt_f32_f16_e32 v24, v25
	v_cvt_f32_f16_sdwa v25, v25 dst_sel:DWORD dst_unused:UNUSED_PAD src0_sel:WORD_1
	v_add_lshl_u32 v33, v33, v70, 3
	s_waitcnt lgkmcnt(0)
	v_pk_fma_f32 v[30:31], v[22:23], v[30:31], 0 op_sel_hi:[0,1,0]
	v_mov_b32_e32 v22, v23
	v_pk_fma_f32 v[22:23], v[22:23], v[24:25], v[30:31] op_sel_hi:[0,1,1]
	v_add_u32_e32 v30, 36, v0
	v_lshlrev_b32_e32 v24, 1, v30
	v_and_b32_e32 v25, 15, v30
	v_and_or_b32 v31, v24, s7, v25
	v_mad_u32_u24 v24, v31, s6, v71
	ds_read2st64_b32 v[24:25], v24 offset1:17
	global_store_dwordx2 v33, v[22:23], s[2:3]
	v_mad_u32_u24 v22, v31, s6, 0
	ds_read2st64_b32 v[22:23], v22 offset0:1 offset1:18
	v_lshlrev_b32_e32 v33, 7, v30
	s_waitcnt lgkmcnt(1)
	v_cvt_f32_f16_e32 v30, v24
	v_cvt_f32_f16_sdwa v31, v24 dst_sel:DWORD dst_unused:UNUSED_PAD src0_sel:WORD_1
	v_cvt_f32_f16_e32 v24, v25
	v_cvt_f32_f16_sdwa v25, v25 dst_sel:DWORD dst_unused:UNUSED_PAD src0_sel:WORD_1
	v_add_lshl_u32 v33, v33, v70, 3
	s_waitcnt lgkmcnt(0)
	v_pk_fma_f32 v[30:31], v[22:23], v[30:31], 0 op_sel_hi:[0,1,0]
	v_mov_b32_e32 v22, v23
	v_pk_fma_f32 v[22:23], v[22:23], v[24:25], v[30:31] op_sel_hi:[0,1,1]
	v_add_u32_e32 v30, 40, v0
	v_lshlrev_b32_e32 v24, 1, v30
	v_and_b32_e32 v25, 15, v30
	;; [unrolled: 20-line block ×3, first 2 shown]
	v_and_or_b32 v31, v24, s7, v25
	v_mad_u32_u24 v24, v31, s6, v71
	ds_read2st64_b32 v[24:25], v24 offset1:17
	global_store_dwordx2 v33, v[22:23], s[2:3]
	v_mad_u32_u24 v22, v31, s6, 0
	ds_read2st64_b32 v[22:23], v22 offset0:1 offset1:18
	v_lshlrev_b32_e32 v33, 7, v30
	s_waitcnt lgkmcnt(1)
	v_cvt_f32_f16_e32 v30, v24
	v_cvt_f32_f16_sdwa v31, v24 dst_sel:DWORD dst_unused:UNUSED_PAD src0_sel:WORD_1
	v_cvt_f32_f16_e32 v24, v25
	v_cvt_f32_f16_sdwa v25, v25 dst_sel:DWORD dst_unused:UNUSED_PAD src0_sel:WORD_1
	v_add_lshl_u32 v33, v33, v70, 3
	s_waitcnt lgkmcnt(0)
	v_pk_fma_f32 v[30:31], v[22:23], v[30:31], 0 op_sel_hi:[0,1,0]
	v_mov_b32_e32 v22, v23
	v_pk_fma_f32 v[22:23], v[22:23], v[24:25], v[30:31] op_sel_hi:[0,1,1]
	v_add_u32_e32 v30, 48, v0
	v_lshlrev_b32_e32 v24, 1, v30
	v_and_or_b32 v31, v24, s7, v32
	v_mad_u32_u24 v24, v31, s6, v71
	ds_read2st64_b32 v[24:25], v24 offset1:17
	global_store_dwordx2 v33, v[22:23], s[2:3]
	v_mad_u32_u24 v22, v31, s6, 0
	ds_read2st64_b32 v[22:23], v22 offset0:1 offset1:18
	v_lshlrev_b32_e32 v32, 7, v30
	s_waitcnt lgkmcnt(1)
	v_cvt_f32_f16_e32 v30, v24
	v_cvt_f32_f16_sdwa v31, v24 dst_sel:DWORD dst_unused:UNUSED_PAD src0_sel:WORD_1
	v_cvt_f32_f16_e32 v24, v25
	v_cvt_f32_f16_sdwa v25, v25 dst_sel:DWORD dst_unused:UNUSED_PAD src0_sel:WORD_1
	v_add_lshl_u32 v32, v32, v70, 3
	s_waitcnt lgkmcnt(0)
	v_pk_fma_f32 v[30:31], v[22:23], v[30:31], 0 op_sel_hi:[0,1,0]
	v_mov_b32_e32 v22, v23
	v_pk_fma_f32 v[22:23], v[22:23], v[24:25], v[30:31] op_sel_hi:[0,1,1]
	v_add_u32_e32 v30, 52, v0
	v_lshlrev_b32_e32 v24, 1, v30
	v_and_b32_e32 v25, 15, v30
	v_and_or_b32 v31, v24, s7, v25
	v_mad_u32_u24 v24, v31, s6, v71
	ds_read2st64_b32 v[24:25], v24 offset1:17
	global_store_dwordx2 v32, v[22:23], s[2:3]
	v_mad_u32_u24 v22, v31, s6, 0
	ds_read2st64_b32 v[22:23], v22 offset0:1 offset1:18
	v_lshlrev_b32_e32 v32, 7, v30
	s_waitcnt lgkmcnt(1)
	v_cvt_f32_f16_e32 v30, v24
	v_cvt_f32_f16_sdwa v31, v24 dst_sel:DWORD dst_unused:UNUSED_PAD src0_sel:WORD_1
	v_cvt_f32_f16_e32 v24, v25
	v_cvt_f32_f16_sdwa v25, v25 dst_sel:DWORD dst_unused:UNUSED_PAD src0_sel:WORD_1
	v_add_lshl_u32 v32, v32, v70, 3
	s_waitcnt lgkmcnt(0)
	v_pk_fma_f32 v[30:31], v[22:23], v[30:31], 0 op_sel_hi:[0,1,0]
	v_mov_b32_e32 v22, v23
	v_pk_fma_f32 v[22:23], v[22:23], v[24:25], v[30:31] op_sel_hi:[0,1,1]
	v_add_u32_e32 v30, 56, v0
	v_lshlrev_b32_e32 v24, 1, v30
	v_and_b32_e32 v25, 15, v30
	;; [unrolled: 20-line block ×3, first 2 shown]
	v_and_or_b32 v31, v24, s7, v25
	v_mad_u32_u24 v24, v31, s6, v71
	ds_read2st64_b32 v[24:25], v24 offset1:17
	global_store_dwordx2 v32, v[22:23], s[2:3]
	v_mad_u32_u24 v22, v31, s6, 0
	ds_read2st64_b32 v[22:23], v22 offset0:1 offset1:18
	v_lshlrev_b32_e32 v32, 7, v30
	s_waitcnt lgkmcnt(1)
	v_cvt_f32_f16_e32 v30, v24
	v_cvt_f32_f16_sdwa v31, v24 dst_sel:DWORD dst_unused:UNUSED_PAD src0_sel:WORD_1
	v_cvt_f32_f16_e32 v24, v25
	v_cvt_f32_f16_sdwa v25, v25 dst_sel:DWORD dst_unused:UNUSED_PAD src0_sel:WORD_1
	v_add_lshl_u32 v32, v32, v70, 3
	s_waitcnt lgkmcnt(0)
	v_pk_fma_f32 v[30:31], v[22:23], v[30:31], 0 op_sel_hi:[0,1,0]
	v_mov_b32_e32 v22, v23
	v_pk_fma_f32 v[22:23], v[22:23], v[24:25], v[30:31] op_sel_hi:[0,1,1]
	global_store_dwordx2 v32, v[22:23], s[2:3]
.LBB29_560:
	s_or_b64 exec, exec, s[0:1]
	v_cvt_pk_f16_f32 v4, v4, v5
	v_cvt_pk_f16_f32 v2, v2, v3
	;; [unrolled: 1-line block ×16, first 2 shown]
	s_barrier
	ds_write2_b32 v1, v2, v4 offset1:1
	ds_write2_b32 v1, v5, v3 offset0:8 offset1:9
	ds_write2_b32 v1, v7, v6 offset0:16 offset1:17
	;; [unrolled: 1-line block ×7, first 2 shown]
	s_waitcnt lgkmcnt(0)
	s_barrier
	s_and_saveexec_b64 s[0:1], vcc
	s_cbranch_execz .LBB29_562
; %bb.561:
	v_readlane_b32 s2, v255, 6
	v_readlane_b32 s3, v255, 7
	s_load_dword s2, s[2:3], 0x10
	v_bfe_u32 v1, v123, 1, 4
	s_movk_i32 s6, 0x3e0
	v_and_or_b32 v4, v123, s6, v1
	s_mov_b32 s3, 0
	s_waitcnt lgkmcnt(0)
	s_lshr_b32 s2, s2, 16
	s_cmp_lg_u32 s2, 0
	s_cselect_b64 s[6:7], -1, 0
	s_cmp_lg_u64 s[6:7], 0
	s_addc_u32 s2, s49, 0
	s_lshl_b32 s2, s2, 7
	s_lshl_b64 s[2:3], s[2:3], 3
	s_add_u32 s2, s5, s2
	s_movk_i32 s5, 0x110
	v_mad_u32_u24 v2, v4, s5, v71
	ds_read2st64_b32 v[2:3], v2 offset1:17
	v_mad_u32_u24 v4, v4, s5, 0
	ds_read2st64_b32 v[4:5], v4 offset0:1 offset1:18
	s_addc_u32 s3, s4, s3
	s_movk_i32 s4, 0x7e0
	s_waitcnt lgkmcnt(1)
	v_cvt_f32_f16_e32 v6, v2
	v_cvt_f32_f16_sdwa v7, v2 dst_sel:DWORD dst_unused:UNUSED_PAD src0_sel:WORD_1
	v_cvt_f32_f16_e32 v2, v3
	v_cvt_f32_f16_sdwa v3, v3 dst_sel:DWORD dst_unused:UNUSED_PAD src0_sel:WORD_1
	v_lshlrev_b32_e32 v8, 6, v123
	s_waitcnt lgkmcnt(0)
	v_pk_fma_f32 v[6:7], v[4:5], v[6:7], 0 op_sel_hi:[0,1,0]
	v_mov_b32_e32 v4, v5
	v_pk_fma_f32 v[2:3], v[4:5], v[2:3], v[6:7] op_sel_hi:[0,1,1]
	v_add_u32_e32 v6, 4, v0
	v_lshlrev_b32_e32 v4, 1, v6
	v_and_b32_e32 v5, 15, v6
	v_and_or_b32 v7, v4, s4, v5
	v_mad_u32_u24 v4, v7, s5, v71
	ds_read2st64_b32 v[4:5], v4 offset1:17
	v_add_lshl_u32 v8, v70, v8, 3
	global_store_dwordx2 v8, v[2:3], s[2:3] offset:512
	v_mad_u32_u24 v2, v7, s5, 0
	ds_read2st64_b32 v[2:3], v2 offset0:1 offset1:18
	v_lshlrev_b32_e32 v8, 7, v6
	s_waitcnt lgkmcnt(1)
	v_cvt_f32_f16_e32 v6, v4
	v_cvt_f32_f16_sdwa v7, v4 dst_sel:DWORD dst_unused:UNUSED_PAD src0_sel:WORD_1
	v_cvt_f32_f16_e32 v4, v5
	v_cvt_f32_f16_sdwa v5, v5 dst_sel:DWORD dst_unused:UNUSED_PAD src0_sel:WORD_1
	v_add_lshl_u32 v8, v70, v8, 3
	s_waitcnt lgkmcnt(0)
	v_pk_fma_f32 v[6:7], v[2:3], v[6:7], 0 op_sel_hi:[0,1,0]
	v_mov_b32_e32 v2, v3
	v_pk_fma_f32 v[2:3], v[2:3], v[4:5], v[6:7] op_sel_hi:[0,1,1]
	v_add_u32_e32 v6, 8, v0
	v_lshlrev_b32_e32 v4, 1, v6
	v_and_b32_e32 v5, 15, v6
	v_and_or_b32 v7, v4, s4, v5
	v_mad_u32_u24 v4, v7, s5, v71
	ds_read2st64_b32 v[4:5], v4 offset1:17
	global_store_dwordx2 v8, v[2:3], s[2:3] offset:512
	v_mad_u32_u24 v2, v7, s5, 0
	ds_read2st64_b32 v[2:3], v2 offset0:1 offset1:18
	v_lshlrev_b32_e32 v8, 7, v6
	s_waitcnt lgkmcnt(1)
	v_cvt_f32_f16_e32 v6, v4
	v_cvt_f32_f16_sdwa v7, v4 dst_sel:DWORD dst_unused:UNUSED_PAD src0_sel:WORD_1
	v_cvt_f32_f16_e32 v4, v5
	v_cvt_f32_f16_sdwa v5, v5 dst_sel:DWORD dst_unused:UNUSED_PAD src0_sel:WORD_1
	v_add_lshl_u32 v8, v70, v8, 3
	s_waitcnt lgkmcnt(0)
	v_pk_fma_f32 v[6:7], v[2:3], v[6:7], 0 op_sel_hi:[0,1,0]
	v_mov_b32_e32 v2, v3
	v_pk_fma_f32 v[2:3], v[2:3], v[4:5], v[6:7] op_sel_hi:[0,1,1]
	v_add_u32_e32 v6, 12, v0
	v_lshlrev_b32_e32 v4, 1, v6
	v_and_b32_e32 v5, 15, v6
	v_and_or_b32 v7, v4, s4, v5
	v_mad_u32_u24 v4, v7, s5, v71
	ds_read2st64_b32 v[4:5], v4 offset1:17
	global_store_dwordx2 v8, v[2:3], s[2:3] offset:512
	v_mad_u32_u24 v2, v7, s5, 0
	ds_read2st64_b32 v[2:3], v2 offset0:1 offset1:18
	v_lshlrev_b32_e32 v8, 7, v6
	s_waitcnt lgkmcnt(1)
	v_cvt_f32_f16_e32 v6, v4
	v_cvt_f32_f16_sdwa v7, v4 dst_sel:DWORD dst_unused:UNUSED_PAD src0_sel:WORD_1
	v_cvt_f32_f16_e32 v4, v5
	v_cvt_f32_f16_sdwa v5, v5 dst_sel:DWORD dst_unused:UNUSED_PAD src0_sel:WORD_1
	v_add_lshl_u32 v8, v70, v8, 3
	s_waitcnt lgkmcnt(0)
	v_pk_fma_f32 v[6:7], v[2:3], v[6:7], 0 op_sel_hi:[0,1,0]
	v_mov_b32_e32 v2, v3
	v_pk_fma_f32 v[2:3], v[2:3], v[4:5], v[6:7] op_sel_hi:[0,1,1]
	v_add_u32_e32 v6, 16, v0
	v_lshlrev_b32_e32 v4, 1, v6
	v_and_or_b32 v7, v4, s4, v1
	v_mad_u32_u24 v4, v7, s5, v71
	ds_read2st64_b32 v[4:5], v4 offset1:17
	global_store_dwordx2 v8, v[2:3], s[2:3] offset:512
	v_mad_u32_u24 v2, v7, s5, 0
	ds_read2st64_b32 v[2:3], v2 offset0:1 offset1:18
	v_lshlrev_b32_e32 v8, 7, v6
	s_waitcnt lgkmcnt(1)
	v_cvt_f32_f16_e32 v6, v4
	v_cvt_f32_f16_sdwa v7, v4 dst_sel:DWORD dst_unused:UNUSED_PAD src0_sel:WORD_1
	v_cvt_f32_f16_e32 v4, v5
	v_cvt_f32_f16_sdwa v5, v5 dst_sel:DWORD dst_unused:UNUSED_PAD src0_sel:WORD_1
	v_add_lshl_u32 v8, v70, v8, 3
	s_waitcnt lgkmcnt(0)
	v_pk_fma_f32 v[6:7], v[2:3], v[6:7], 0 op_sel_hi:[0,1,0]
	v_mov_b32_e32 v2, v3
	v_pk_fma_f32 v[2:3], v[2:3], v[4:5], v[6:7] op_sel_hi:[0,1,1]
	v_add_u32_e32 v6, 20, v0
	v_lshlrev_b32_e32 v4, 1, v6
	v_and_b32_e32 v5, 15, v6
	v_and_or_b32 v7, v4, s4, v5
	v_mad_u32_u24 v4, v7, s5, v71
	ds_read2st64_b32 v[4:5], v4 offset1:17
	global_store_dwordx2 v8, v[2:3], s[2:3] offset:512
	v_mad_u32_u24 v2, v7, s5, 0
	ds_read2st64_b32 v[2:3], v2 offset0:1 offset1:18
	v_lshlrev_b32_e32 v8, 7, v6
	s_waitcnt lgkmcnt(1)
	v_cvt_f32_f16_e32 v6, v4
	v_cvt_f32_f16_sdwa v7, v4 dst_sel:DWORD dst_unused:UNUSED_PAD src0_sel:WORD_1
	v_cvt_f32_f16_e32 v4, v5
	v_cvt_f32_f16_sdwa v5, v5 dst_sel:DWORD dst_unused:UNUSED_PAD src0_sel:WORD_1
	v_add_lshl_u32 v8, v70, v8, 3
	s_waitcnt lgkmcnt(0)
	v_pk_fma_f32 v[6:7], v[2:3], v[6:7], 0 op_sel_hi:[0,1,0]
	v_mov_b32_e32 v2, v3
	v_pk_fma_f32 v[2:3], v[2:3], v[4:5], v[6:7] op_sel_hi:[0,1,1]
	v_add_u32_e32 v6, 24, v0
	v_lshlrev_b32_e32 v4, 1, v6
	v_and_b32_e32 v5, 15, v6
	;; [unrolled: 20-line block ×3, first 2 shown]
	v_and_or_b32 v7, v4, s4, v5
	v_mad_u32_u24 v4, v7, s5, v71
	ds_read2st64_b32 v[4:5], v4 offset1:17
	global_store_dwordx2 v8, v[2:3], s[2:3] offset:512
	v_mad_u32_u24 v2, v7, s5, 0
	ds_read2st64_b32 v[2:3], v2 offset0:1 offset1:18
	v_lshlrev_b32_e32 v8, 7, v6
	s_waitcnt lgkmcnt(1)
	v_cvt_f32_f16_e32 v6, v4
	v_cvt_f32_f16_sdwa v7, v4 dst_sel:DWORD dst_unused:UNUSED_PAD src0_sel:WORD_1
	v_cvt_f32_f16_e32 v4, v5
	v_cvt_f32_f16_sdwa v5, v5 dst_sel:DWORD dst_unused:UNUSED_PAD src0_sel:WORD_1
	v_add_lshl_u32 v8, v70, v8, 3
	s_waitcnt lgkmcnt(0)
	v_pk_fma_f32 v[6:7], v[2:3], v[6:7], 0 op_sel_hi:[0,1,0]
	v_mov_b32_e32 v2, v3
	v_pk_fma_f32 v[2:3], v[2:3], v[4:5], v[6:7] op_sel_hi:[0,1,1]
	v_add_u32_e32 v6, 32, v0
	v_lshlrev_b32_e32 v4, 1, v6
	v_and_or_b32 v7, v4, s4, v1
	v_mad_u32_u24 v4, v7, s5, v71
	ds_read2st64_b32 v[4:5], v4 offset1:17
	global_store_dwordx2 v8, v[2:3], s[2:3] offset:512
	v_mad_u32_u24 v2, v7, s5, 0
	ds_read2st64_b32 v[2:3], v2 offset0:1 offset1:18
	v_lshlrev_b32_e32 v8, 7, v6
	s_waitcnt lgkmcnt(1)
	v_cvt_f32_f16_e32 v6, v4
	v_cvt_f32_f16_sdwa v7, v4 dst_sel:DWORD dst_unused:UNUSED_PAD src0_sel:WORD_1
	v_cvt_f32_f16_e32 v4, v5
	v_cvt_f32_f16_sdwa v5, v5 dst_sel:DWORD dst_unused:UNUSED_PAD src0_sel:WORD_1
	v_add_lshl_u32 v8, v70, v8, 3
	s_waitcnt lgkmcnt(0)
	v_pk_fma_f32 v[6:7], v[2:3], v[6:7], 0 op_sel_hi:[0,1,0]
	v_mov_b32_e32 v2, v3
	v_pk_fma_f32 v[2:3], v[2:3], v[4:5], v[6:7] op_sel_hi:[0,1,1]
	v_add_u32_e32 v6, 36, v0
	v_lshlrev_b32_e32 v4, 1, v6
	v_and_b32_e32 v5, 15, v6
	v_and_or_b32 v7, v4, s4, v5
	v_mad_u32_u24 v4, v7, s5, v71
	ds_read2st64_b32 v[4:5], v4 offset1:17
	global_store_dwordx2 v8, v[2:3], s[2:3] offset:512
	v_mad_u32_u24 v2, v7, s5, 0
	ds_read2st64_b32 v[2:3], v2 offset0:1 offset1:18
	v_lshlrev_b32_e32 v8, 7, v6
	s_waitcnt lgkmcnt(1)
	v_cvt_f32_f16_e32 v6, v4
	v_cvt_f32_f16_sdwa v7, v4 dst_sel:DWORD dst_unused:UNUSED_PAD src0_sel:WORD_1
	v_cvt_f32_f16_e32 v4, v5
	v_cvt_f32_f16_sdwa v5, v5 dst_sel:DWORD dst_unused:UNUSED_PAD src0_sel:WORD_1
	v_add_lshl_u32 v8, v70, v8, 3
	s_waitcnt lgkmcnt(0)
	v_pk_fma_f32 v[6:7], v[2:3], v[6:7], 0 op_sel_hi:[0,1,0]
	v_mov_b32_e32 v2, v3
	v_pk_fma_f32 v[2:3], v[2:3], v[4:5], v[6:7] op_sel_hi:[0,1,1]
	v_add_u32_e32 v6, 40, v0
	v_lshlrev_b32_e32 v4, 1, v6
	v_and_b32_e32 v5, 15, v6
	;; [unrolled: 20-line block ×3, first 2 shown]
	v_and_or_b32 v7, v4, s4, v5
	v_mad_u32_u24 v4, v7, s5, v71
	ds_read2st64_b32 v[4:5], v4 offset1:17
	global_store_dwordx2 v8, v[2:3], s[2:3] offset:512
	v_mad_u32_u24 v2, v7, s5, 0
	ds_read2st64_b32 v[2:3], v2 offset0:1 offset1:18
	v_lshlrev_b32_e32 v8, 7, v6
	s_waitcnt lgkmcnt(1)
	v_cvt_f32_f16_e32 v6, v4
	v_cvt_f32_f16_sdwa v7, v4 dst_sel:DWORD dst_unused:UNUSED_PAD src0_sel:WORD_1
	v_cvt_f32_f16_e32 v4, v5
	v_cvt_f32_f16_sdwa v5, v5 dst_sel:DWORD dst_unused:UNUSED_PAD src0_sel:WORD_1
	v_add_lshl_u32 v8, v70, v8, 3
	s_waitcnt lgkmcnt(0)
	v_pk_fma_f32 v[6:7], v[2:3], v[6:7], 0 op_sel_hi:[0,1,0]
	v_mov_b32_e32 v2, v3
	v_pk_fma_f32 v[2:3], v[2:3], v[4:5], v[6:7] op_sel_hi:[0,1,1]
	v_add_u32_e32 v6, 48, v0
	v_lshlrev_b32_e32 v4, 1, v6
	v_and_or_b32 v1, v4, s4, v1
	v_mad_u32_u24 v4, v1, s5, v71
	ds_read2st64_b32 v[4:5], v4 offset1:17
	v_mad_u32_u24 v1, v1, s5, 0
	global_store_dwordx2 v8, v[2:3], s[2:3] offset:512
	ds_read2st64_b32 v[2:3], v1 offset0:1 offset1:18
	v_lshlrev_b32_e32 v8, 7, v6
	s_waitcnt lgkmcnt(1)
	v_cvt_f32_f16_e32 v6, v4
	v_cvt_f32_f16_sdwa v7, v4 dst_sel:DWORD dst_unused:UNUSED_PAD src0_sel:WORD_1
	v_cvt_f32_f16_e32 v4, v5
	v_cvt_f32_f16_sdwa v5, v5 dst_sel:DWORD dst_unused:UNUSED_PAD src0_sel:WORD_1
	v_add_lshl_u32 v1, v70, v8, 3
	s_waitcnt lgkmcnt(0)
	v_pk_fma_f32 v[6:7], v[2:3], v[6:7], 0 op_sel_hi:[0,1,0]
	v_mov_b32_e32 v2, v3
	v_pk_fma_f32 v[2:3], v[2:3], v[4:5], v[6:7] op_sel_hi:[0,1,1]
	v_add_u32_e32 v6, 52, v0
	v_lshlrev_b32_e32 v4, 1, v6
	v_and_b32_e32 v5, 15, v6
	v_and_or_b32 v7, v4, s4, v5
	v_mad_u32_u24 v4, v7, s5, v71
	ds_read2st64_b32 v[4:5], v4 offset1:17
	global_store_dwordx2 v1, v[2:3], s[2:3] offset:512
	v_mad_u32_u24 v1, v7, s5, 0
	ds_read2st64_b32 v[2:3], v1 offset0:1 offset1:18
	v_lshlrev_b32_e32 v8, 7, v6
	s_waitcnt lgkmcnt(1)
	v_cvt_f32_f16_e32 v6, v4
	v_cvt_f32_f16_sdwa v7, v4 dst_sel:DWORD dst_unused:UNUSED_PAD src0_sel:WORD_1
	v_cvt_f32_f16_e32 v4, v5
	v_cvt_f32_f16_sdwa v5, v5 dst_sel:DWORD dst_unused:UNUSED_PAD src0_sel:WORD_1
	v_add_lshl_u32 v1, v70, v8, 3
	s_waitcnt lgkmcnt(0)
	v_pk_fma_f32 v[6:7], v[2:3], v[6:7], 0 op_sel_hi:[0,1,0]
	v_mov_b32_e32 v2, v3
	v_pk_fma_f32 v[2:3], v[2:3], v[4:5], v[6:7] op_sel_hi:[0,1,1]
	v_add_u32_e32 v6, 56, v0
	v_lshlrev_b32_e32 v4, 1, v6
	v_and_b32_e32 v5, 15, v6
	v_and_or_b32 v7, v4, s4, v5
	v_mad_u32_u24 v4, v7, s5, v71
	ds_read2st64_b32 v[4:5], v4 offset1:17
	global_store_dwordx2 v1, v[2:3], s[2:3] offset:512
	v_mad_u32_u24 v1, v7, s5, 0
	;; [unrolled: 20-line block ×3, first 2 shown]
	ds_read2st64_b32 v[2:3], v2 offset0:1 offset1:18
	v_lshlrev_b32_e32 v6, 7, v4
	s_waitcnt lgkmcnt(1)
	v_cvt_f32_f16_e32 v4, v0
	v_cvt_f32_f16_sdwa v5, v0 dst_sel:DWORD dst_unused:UNUSED_PAD src0_sel:WORD_1
	v_cvt_f32_f16_e32 v0, v1
	v_cvt_f32_f16_sdwa v1, v1 dst_sel:DWORD dst_unused:UNUSED_PAD src0_sel:WORD_1
	v_add_lshl_u32 v6, v70, v6, 3
	s_waitcnt lgkmcnt(0)
	v_pk_fma_f32 v[4:5], v[2:3], v[4:5], 0 op_sel_hi:[0,1,0]
	v_mov_b32_e32 v2, v3
	v_pk_fma_f32 v[0:1], v[2:3], v[0:1], v[4:5] op_sel_hi:[0,1,1]
	global_store_dwordx2 v6, v[0:1], s[2:3] offset:512
.LBB29_562:
	s_or_b64 exec, exec, s[0:1]
	s_barrier
	s_endpgm
	.section	.rodata,"a",@progbits
	.p2align	6, 0x0
	.amdhsa_kernel _ZL18flash_attn_ext_f16ILi256ELi256ELi64ELi1ELb0ELb0EEvPKcS1_S1_S1_S1_PKiPfP15HIP_vector_typeIfLj2EEffffjfiS5_IjLj3EEiiiiiiiiiiiliiliiiiil
		.amdhsa_group_segment_fixed_size 0
		.amdhsa_private_segment_fixed_size 144
		.amdhsa_kernarg_size 464
		.amdhsa_user_sgpr_count 2
		.amdhsa_user_sgpr_dispatch_ptr 0
		.amdhsa_user_sgpr_queue_ptr 0
		.amdhsa_user_sgpr_kernarg_segment_ptr 1
		.amdhsa_user_sgpr_dispatch_id 0
		.amdhsa_user_sgpr_kernarg_preload_length 0
		.amdhsa_user_sgpr_kernarg_preload_offset 0
		.amdhsa_user_sgpr_private_segment_size 0
		.amdhsa_uses_dynamic_stack 0
		.amdhsa_enable_private_segment 1
		.amdhsa_system_sgpr_workgroup_id_x 1
		.amdhsa_system_sgpr_workgroup_id_y 0
		.amdhsa_system_sgpr_workgroup_id_z 0
		.amdhsa_system_sgpr_workgroup_info 0
		.amdhsa_system_vgpr_workitem_id 1
		.amdhsa_next_free_vgpr 256
		.amdhsa_next_free_sgpr 100
		.amdhsa_accum_offset 256
		.amdhsa_reserve_vcc 1
		.amdhsa_float_round_mode_32 0
		.amdhsa_float_round_mode_16_64 0
		.amdhsa_float_denorm_mode_32 3
		.amdhsa_float_denorm_mode_16_64 3
		.amdhsa_dx10_clamp 1
		.amdhsa_ieee_mode 1
		.amdhsa_fp16_overflow 0
		.amdhsa_tg_split 0
		.amdhsa_exception_fp_ieee_invalid_op 0
		.amdhsa_exception_fp_denorm_src 0
		.amdhsa_exception_fp_ieee_div_zero 0
		.amdhsa_exception_fp_ieee_overflow 0
		.amdhsa_exception_fp_ieee_underflow 0
		.amdhsa_exception_fp_ieee_inexact 0
		.amdhsa_exception_int_div_zero 0
	.end_amdhsa_kernel
	.section	.text._ZL18flash_attn_ext_f16ILi256ELi256ELi64ELi1ELb0ELb0EEvPKcS1_S1_S1_S1_PKiPfP15HIP_vector_typeIfLj2EEffffjfiS5_IjLj3EEiiiiiiiiiiiliiliiiiil,"axG",@progbits,_ZL18flash_attn_ext_f16ILi256ELi256ELi64ELi1ELb0ELb0EEvPKcS1_S1_S1_S1_PKiPfP15HIP_vector_typeIfLj2EEffffjfiS5_IjLj3EEiiiiiiiiiiiliiliiiiil,comdat
.Lfunc_end29:
	.size	_ZL18flash_attn_ext_f16ILi256ELi256ELi64ELi1ELb0ELb0EEvPKcS1_S1_S1_S1_PKiPfP15HIP_vector_typeIfLj2EEffffjfiS5_IjLj3EEiiiiiiiiiiiliiliiiiil, .Lfunc_end29-_ZL18flash_attn_ext_f16ILi256ELi256ELi64ELi1ELb0ELb0EEvPKcS1_S1_S1_S1_PKiPfP15HIP_vector_typeIfLj2EEffffjfiS5_IjLj3EEiiiiiiiiiiiliiliiiiil
                                        ; -- End function
	.set _ZL18flash_attn_ext_f16ILi256ELi256ELi64ELi1ELb0ELb0EEvPKcS1_S1_S1_S1_PKiPfP15HIP_vector_typeIfLj2EEffffjfiS5_IjLj3EEiiiiiiiiiiiliiliiiiil.num_vgpr, 256
	.set _ZL18flash_attn_ext_f16ILi256ELi256ELi64ELi1ELb0ELb0EEvPKcS1_S1_S1_S1_PKiPfP15HIP_vector_typeIfLj2EEffffjfiS5_IjLj3EEiiiiiiiiiiiliiliiiiil.num_agpr, 0
	.set _ZL18flash_attn_ext_f16ILi256ELi256ELi64ELi1ELb0ELb0EEvPKcS1_S1_S1_S1_PKiPfP15HIP_vector_typeIfLj2EEffffjfiS5_IjLj3EEiiiiiiiiiiiliiliiiiil.numbered_sgpr, 100
	.set _ZL18flash_attn_ext_f16ILi256ELi256ELi64ELi1ELb0ELb0EEvPKcS1_S1_S1_S1_PKiPfP15HIP_vector_typeIfLj2EEffffjfiS5_IjLj3EEiiiiiiiiiiiliiliiiiil.num_named_barrier, 0
	.set _ZL18flash_attn_ext_f16ILi256ELi256ELi64ELi1ELb0ELb0EEvPKcS1_S1_S1_S1_PKiPfP15HIP_vector_typeIfLj2EEffffjfiS5_IjLj3EEiiiiiiiiiiiliiliiiiil.private_seg_size, 144
	.set _ZL18flash_attn_ext_f16ILi256ELi256ELi64ELi1ELb0ELb0EEvPKcS1_S1_S1_S1_PKiPfP15HIP_vector_typeIfLj2EEffffjfiS5_IjLj3EEiiiiiiiiiiiliiliiiiil.uses_vcc, 1
	.set _ZL18flash_attn_ext_f16ILi256ELi256ELi64ELi1ELb0ELb0EEvPKcS1_S1_S1_S1_PKiPfP15HIP_vector_typeIfLj2EEffffjfiS5_IjLj3EEiiiiiiiiiiiliiliiiiil.uses_flat_scratch, 0
	.set _ZL18flash_attn_ext_f16ILi256ELi256ELi64ELi1ELb0ELb0EEvPKcS1_S1_S1_S1_PKiPfP15HIP_vector_typeIfLj2EEffffjfiS5_IjLj3EEiiiiiiiiiiiliiliiiiil.has_dyn_sized_stack, 0
	.set _ZL18flash_attn_ext_f16ILi256ELi256ELi64ELi1ELb0ELb0EEvPKcS1_S1_S1_S1_PKiPfP15HIP_vector_typeIfLj2EEffffjfiS5_IjLj3EEiiiiiiiiiiiliiliiiiil.has_recursion, 0
	.set _ZL18flash_attn_ext_f16ILi256ELi256ELi64ELi1ELb0ELb0EEvPKcS1_S1_S1_S1_PKiPfP15HIP_vector_typeIfLj2EEffffjfiS5_IjLj3EEiiiiiiiiiiiliiliiiiil.has_indirect_call, 0
	.section	.AMDGPU.csdata,"",@progbits
; Kernel info:
; codeLenInByte = 78544
; TotalNumSgprs: 106
; NumVgprs: 256
; NumAgprs: 0
; TotalNumVgprs: 256
; ScratchSize: 144
; MemoryBound: 0
; FloatMode: 240
; IeeeMode: 1
; LDSByteSize: 0 bytes/workgroup (compile time only)
; SGPRBlocks: 13
; VGPRBlocks: 31
; NumSGPRsForWavesPerEU: 106
; NumVGPRsForWavesPerEU: 256
; AccumOffset: 256
; Occupancy: 2
; WaveLimiterHint : 1
; COMPUTE_PGM_RSRC2:SCRATCH_EN: 1
; COMPUTE_PGM_RSRC2:USER_SGPR: 2
; COMPUTE_PGM_RSRC2:TRAP_HANDLER: 0
; COMPUTE_PGM_RSRC2:TGID_X_EN: 1
; COMPUTE_PGM_RSRC2:TGID_Y_EN: 0
; COMPUTE_PGM_RSRC2:TGID_Z_EN: 0
; COMPUTE_PGM_RSRC2:TIDIG_COMP_CNT: 1
; COMPUTE_PGM_RSRC3_GFX90A:ACCUM_OFFSET: 63
; COMPUTE_PGM_RSRC3_GFX90A:TG_SPLIT: 0
	.section	.text._ZL18flash_attn_ext_f16ILi256ELi256ELi64ELi1ELb1ELb0EEvPKcS1_S1_S1_S1_PKiPfP15HIP_vector_typeIfLj2EEffffjfiS5_IjLj3EEiiiiiiiiiiiliiliiiiil,"axG",@progbits,_ZL18flash_attn_ext_f16ILi256ELi256ELi64ELi1ELb1ELb0EEvPKcS1_S1_S1_S1_PKiPfP15HIP_vector_typeIfLj2EEffffjfiS5_IjLj3EEiiiiiiiiiiiliiliiiiil,comdat
	.globl	_ZL18flash_attn_ext_f16ILi256ELi256ELi64ELi1ELb1ELb0EEvPKcS1_S1_S1_S1_PKiPfP15HIP_vector_typeIfLj2EEffffjfiS5_IjLj3EEiiiiiiiiiiiliiliiiiil ; -- Begin function _ZL18flash_attn_ext_f16ILi256ELi256ELi64ELi1ELb1ELb0EEvPKcS1_S1_S1_S1_PKiPfP15HIP_vector_typeIfLj2EEffffjfiS5_IjLj3EEiiiiiiiiiiiliiliiiiil
	.p2align	8
	.type	_ZL18flash_attn_ext_f16ILi256ELi256ELi64ELi1ELb1ELb0EEvPKcS1_S1_S1_S1_PKiPfP15HIP_vector_typeIfLj2EEffffjfiS5_IjLj3EEiiiiiiiiiiiliiliiiiil,@function
_ZL18flash_attn_ext_f16ILi256ELi256ELi64ELi1ELb1ELb0EEvPKcS1_S1_S1_S1_PKiPfP15HIP_vector_typeIfLj2EEffffjfiS5_IjLj3EEiiiiiiiiiiiliiliiiiil: ; @_ZL18flash_attn_ext_f16ILi256ELi256ELi64ELi1ELb1ELb0EEvPKcS1_S1_S1_S1_PKiPfP15HIP_vector_typeIfLj2EEffffjfiS5_IjLj3EEiiiiiiiiiiiliiliiiiil
; %bb.0:
	s_load_dwordx2 s[10:11], s[0:1], 0x80
	s_load_dwordx4 s[80:83], s[0:1], 0x64
	s_mov_b32 s49, s2
                                        ; implicit-def: $vgpr255 : SGPR spill to VGPR lane
	s_mov_b32 s4, 0
	s_waitcnt lgkmcnt(0)
	s_abs_i32 s2, s11
	v_cvt_f32_u32_e32 v1, s2
	s_sub_i32 s6, 0, s2
	s_abs_i32 s5, s81
	s_xor_b32 s3, s81, s11
	v_rcp_iflag_f32_e32 v1, v1
	s_ashr_i32 s3, s3, 31
	v_mul_f32_e32 v1, 0x4f7ffffe, v1
	v_cvt_u32_f32_e32 v1, v1
	s_nop 0
	v_readfirstlane_b32 s7, v1
	s_mul_i32 s6, s6, s7
	s_mul_hi_u32 s6, s7, s6
	s_add_i32 s7, s7, s6
	s_mul_hi_u32 s6, s5, s7
	s_mul_i32 s7, s6, s2
	s_sub_i32 s5, s5, s7
	s_add_i32 s8, s6, 1
	s_sub_i32 s7, s5, s2
	s_cmp_ge_u32 s5, s2
	s_cselect_b32 s6, s8, s6
	s_cselect_b32 s5, s7, s5
	s_add_i32 s7, s6, 1
	s_cmp_ge_u32 s5, s2
	s_cselect_b32 s2, s7, s6
	s_add_i32 s5, s10, 63
	s_xor_b32 s2, s2, s3
	s_ashr_i32 s6, s5, 31
	s_sub_i32 s3, s2, s3
	s_lshr_b32 s2, s6, 26
	s_add_i32 s5, s5, s2
	s_add_i32 s2, s80, 63
	s_lshr_b32 s2, s2, 6
	s_ashr_i32 s5, s5, 6
	v_writelane_b32 v255, s2, 0
	v_writelane_b32 v255, s5, 1
	s_mul_i32 s94, s2, s5
	v_writelane_b32 v255, s3, 2
	s_mul_i32 s3, s94, s3
	s_mov_b32 s2, s10
	v_writelane_b32 v255, s2, 3
	s_nop 1
	v_writelane_b32 v255, s3, 4
	s_mul_i32 s2, s3, s11
	s_mul_i32 s10, s2, s82
	v_writelane_b32 v255, s3, 5
	s_ashr_i32 s8, s10, 31
	v_writelane_b32 v255, s2, 6
	s_mul_i32 s2, s8, s49
	s_mul_hi_u32 s3, s10, s49
	s_add_i32 s5, s3, s2
	s_load_dword s2, s[0:1], 0xd0
	s_add_u32 s54, s0, 0xd0
	s_addc_u32 s55, s1, 0
	s_cmp_lg_u64 s[4:5], 0
	s_mul_i32 s4, s10, s49
	s_waitcnt lgkmcnt(0)
	v_writelane_b32 v255, s2, 7
	s_cbranch_scc0 .LBB30_2
; %bb.1:
	s_load_dword s2, s[0:1], 0xd0
	s_waitcnt lgkmcnt(0)
	s_add_u32 s2, s2, 0
	s_addc_u32 s3, 0, 0
	s_xor_b64 s[6:7], s[2:3], 0
	v_cvt_f32_u32_e32 v1, s6
	v_cvt_f32_u32_e32 v2, s7
	s_sub_u32 s9, 0, s6
	s_subb_u32 s11, 0, s7
	s_mov_b64 s[2:3], 0
	v_fmamk_f32 v1, v2, 0x4f800000, v1
	v_rcp_f32_e32 v1, v1
	s_nop 0
	v_mul_f32_e32 v1, 0x5f7ffffc, v1
	v_mul_f32_e32 v2, 0x2f800000, v1
	v_trunc_f32_e32 v2, v2
	v_fmamk_f32 v1, v2, 0xcf800000, v1
	v_cvt_u32_f32_e32 v2, v2
	v_cvt_u32_f32_e32 v1, v1
	v_readfirstlane_b32 s14, v2
	v_readfirstlane_b32 s12, v1
	s_mul_i32 s13, s9, s14
	s_mul_hi_u32 s16, s9, s12
	s_mul_i32 s15, s11, s12
	s_add_i32 s13, s16, s13
	s_add_i32 s13, s13, s15
	s_mul_i32 s17, s9, s12
	s_mul_i32 s16, s12, s13
	s_mul_hi_u32 s18, s12, s17
	s_mul_hi_u32 s15, s12, s13
	s_add_u32 s16, s18, s16
	s_addc_u32 s15, 0, s15
	s_mul_hi_u32 s19, s14, s17
	s_mul_i32 s17, s14, s17
	s_add_u32 s16, s16, s17
	s_mul_hi_u32 s18, s14, s13
	s_addc_u32 s15, s15, s19
	s_addc_u32 s16, s18, 0
	s_mul_i32 s13, s14, s13
	s_add_u32 s13, s15, s13
	s_addc_u32 s15, 0, s16
	s_add_u32 s16, s12, s13
	s_cselect_b64 s[12:13], -1, 0
	s_cmp_lg_u64 s[12:13], 0
	s_addc_u32 s14, s14, s15
	s_mul_i32 s12, s9, s14
	s_mul_hi_u32 s13, s9, s16
	s_add_i32 s12, s13, s12
	s_mul_i32 s11, s11, s16
	s_add_i32 s12, s12, s11
	s_mul_i32 s9, s9, s16
	s_mul_hi_u32 s13, s14, s9
	s_mul_i32 s15, s14, s9
	s_mul_i32 s18, s16, s12
	s_mul_hi_u32 s9, s16, s9
	s_mul_hi_u32 s17, s16, s12
	s_add_u32 s9, s9, s18
	s_addc_u32 s17, 0, s17
	s_add_u32 s9, s9, s15
	s_mul_hi_u32 s11, s14, s12
	s_addc_u32 s9, s17, s13
	s_addc_u32 s11, s11, 0
	s_mul_i32 s12, s14, s12
	s_add_u32 s9, s9, s12
	s_addc_u32 s11, 0, s11
	s_add_u32 s9, s16, s9
	s_cselect_b64 s[12:13], -1, 0
	s_cmp_lg_u64 s[12:13], 0
	s_addc_u32 s11, s14, s11
	s_ashr_i32 s12, s5, 31
	s_add_u32 s14, s4, s12
	s_mov_b32 s13, s12
	s_addc_u32 s15, s5, s12
	s_xor_b64 s[14:15], s[14:15], s[12:13]
	s_mul_i32 s16, s14, s11
	s_mul_hi_u32 s17, s14, s9
	s_mul_hi_u32 s5, s14, s11
	s_add_u32 s16, s17, s16
	s_addc_u32 s5, 0, s5
	s_mul_hi_u32 s18, s15, s9
	s_mul_i32 s9, s15, s9
	s_add_u32 s9, s16, s9
	s_mul_hi_u32 s17, s15, s11
	s_addc_u32 s5, s5, s18
	s_addc_u32 s9, s17, 0
	s_mul_i32 s11, s15, s11
	s_add_u32 s5, s5, s11
	s_addc_u32 s9, 0, s9
	s_mul_i32 s11, s6, s9
	s_mul_hi_u32 s16, s6, s5
	s_add_i32 s11, s16, s11
	s_mul_i32 s16, s7, s5
	s_add_i32 s11, s11, s16
	s_sub_i32 s18, s15, s11
	s_mul_i32 s16, s6, s5
	s_sub_u32 s14, s14, s16
	s_cselect_b64 s[16:17], -1, 0
	s_cmp_lg_u64 s[16:17], 0
	s_subb_u32 s20, s18, s7
	s_sub_u32 s21, s14, s6
	s_cselect_b64 s[18:19], -1, 0
	s_cmp_lg_u64 s[18:19], 0
	s_subb_u32 s18, s20, 0
	s_cmp_ge_u32 s18, s7
	s_cselect_b32 s19, -1, 0
	s_cmp_ge_u32 s21, s6
	s_cselect_b32 s20, -1, 0
	s_cmp_eq_u32 s18, s7
	s_cselect_b32 s18, s20, s19
	s_add_u32 s19, s5, 1
	s_addc_u32 s20, s9, 0
	s_add_u32 s21, s5, 2
	s_addc_u32 s22, s9, 0
	s_cmp_lg_u32 s18, 0
	s_cselect_b32 s18, s21, s19
	s_cselect_b32 s19, s22, s20
	s_cmp_lg_u64 s[16:17], 0
	s_subb_u32 s11, s15, s11
	s_cmp_ge_u32 s11, s7
	s_cselect_b32 s15, -1, 0
	s_cmp_ge_u32 s14, s6
	s_cselect_b32 s6, -1, 0
	s_cmp_eq_u32 s11, s7
	s_cselect_b32 s6, s6, s15
	s_cmp_lg_u32 s6, 0
	s_cselect_b32 s7, s19, s9
	s_cselect_b32 s6, s18, s5
	s_xor_b64 s[12:13], s[12:13], 0
	s_xor_b64 s[6:7], s[6:7], s[12:13]
	s_sub_u32 s6, s6, s12
	s_branch .LBB30_3
.LBB30_2:
	s_mov_b64 s[2:3], -1
                                        ; implicit-def: $sgpr6_sgpr7
.LBB30_3:
	s_load_dwordx2 s[12:13], s[0:1], 0x74
	s_load_dword s5, s[0:1], 0xd0
	s_andn2_b64 vcc, exec, s[2:3]
	s_waitcnt lgkmcnt(0)
	v_writelane_b32 v255, s12, 8
	v_cvt_f32_u32_e32 v1, s5
	s_nop 0
	v_writelane_b32 v255, s13, 9
	s_cbranch_vccnz .LBB30_5
; %bb.4:
	v_rcp_iflag_f32_e32 v2, v1
	s_load_dword s6, s[0:1], 0xd0
	v_mul_f32_e32 v2, 0x4f7ffffe, v2
	v_cvt_u32_f32_e32 v2, v2
	s_waitcnt lgkmcnt(0)
	s_sub_i32 s2, 0, s6
	v_readfirstlane_b32 s3, v2
	s_mul_i32 s2, s2, s3
	s_mul_hi_u32 s2, s3, s2
	s_add_i32 s3, s3, s2
	s_mul_hi_u32 s2, s4, s3
	s_mul_i32 s5, s2, s6
	s_sub_i32 s4, s4, s5
	s_add_i32 s3, s2, 1
	s_sub_i32 s5, s4, s6
	s_cmp_ge_u32 s4, s6
	s_cselect_b32 s2, s3, s2
	s_cselect_b32 s4, s5, s4
	s_add_i32 s3, s2, 1
	s_cmp_ge_u32 s4, s6
	s_cselect_b32 s6, s3, s2
.LBB30_5:
	s_add_i32 s2, s49, 1
	s_mul_i32 s3, s8, s2
	s_mul_hi_u32 s4, s10, s2
	s_add_i32 s9, s4, s3
	s_mov_b32 s8, 0
	s_cmp_lg_u64 s[8:9], 0
	s_mul_i32 s7, s10, s2
	s_cbranch_scc0 .LBB30_691
; %bb.6:
	s_load_dword s2, s[0:1], 0xd0
	s_waitcnt lgkmcnt(0)
	s_add_u32 s2, s2, 0
	s_addc_u32 s3, 0, 0
	s_xor_b64 s[4:5], s[2:3], 0
	v_cvt_f32_u32_e32 v2, s4
	v_cvt_f32_u32_e32 v3, s5
	s_sub_u32 s8, 0, s4
	s_subb_u32 s12, 0, s5
	v_fmamk_f32 v2, v3, 0x4f800000, v2
	v_rcp_f32_e32 v2, v2
	s_nop 0
	v_mul_f32_e32 v2, 0x5f7ffffc, v2
	v_mul_f32_e32 v3, 0x2f800000, v2
	v_trunc_f32_e32 v3, v3
	v_fmamk_f32 v2, v3, 0xcf800000, v2
	v_cvt_u32_f32_e32 v3, v3
	v_cvt_u32_f32_e32 v2, v2
	v_readfirstlane_b32 s13, v3
	v_readfirstlane_b32 s10, v2
	s_mul_i32 s11, s8, s13
	s_mul_hi_u32 s15, s8, s10
	s_mul_i32 s14, s12, s10
	s_add_i32 s11, s15, s11
	s_add_i32 s11, s11, s14
	s_mul_i32 s16, s8, s10
	s_mul_i32 s15, s10, s11
	s_mul_hi_u32 s17, s10, s16
	s_mul_hi_u32 s14, s10, s11
	s_add_u32 s15, s17, s15
	s_addc_u32 s14, 0, s14
	s_mul_hi_u32 s18, s13, s16
	s_mul_i32 s16, s13, s16
	s_add_u32 s15, s15, s16
	s_mul_hi_u32 s17, s13, s11
	s_addc_u32 s14, s14, s18
	s_addc_u32 s15, s17, 0
	s_mul_i32 s11, s13, s11
	s_add_u32 s11, s14, s11
	s_addc_u32 s14, 0, s15
	s_add_u32 s15, s10, s11
	s_cselect_b64 s[10:11], -1, 0
	s_cmp_lg_u64 s[10:11], 0
	s_addc_u32 s13, s13, s14
	s_mul_i32 s10, s8, s13
	s_mul_hi_u32 s11, s8, s15
	s_add_i32 s10, s11, s10
	s_mul_i32 s12, s12, s15
	s_add_i32 s10, s10, s12
	s_mul_i32 s8, s8, s15
	s_mul_hi_u32 s12, s13, s8
	s_mul_i32 s14, s13, s8
	s_mul_i32 s17, s15, s10
	s_mul_hi_u32 s8, s15, s8
	s_mul_hi_u32 s16, s15, s10
	s_add_u32 s8, s8, s17
	s_addc_u32 s16, 0, s16
	s_add_u32 s8, s8, s14
	s_mul_hi_u32 s11, s13, s10
	s_addc_u32 s8, s16, s12
	s_addc_u32 s11, s11, 0
	s_mul_i32 s10, s13, s10
	s_add_u32 s8, s8, s10
	s_addc_u32 s12, 0, s11
	s_add_u32 s14, s15, s8
	s_cselect_b64 s[10:11], -1, 0
	s_cmp_lg_u64 s[10:11], 0
	s_addc_u32 s12, s13, s12
	s_ashr_i32 s10, s9, 31
	s_add_u32 s8, s7, s10
	s_mov_b32 s11, s10
	s_addc_u32 s9, s9, s10
	s_xor_b64 s[8:9], s[8:9], s[10:11]
	s_mul_i32 s15, s8, s12
	s_mul_hi_u32 s16, s8, s14
	s_mul_hi_u32 s13, s8, s12
	s_add_u32 s15, s16, s15
	s_addc_u32 s13, 0, s13
	s_mul_hi_u32 s17, s9, s14
	s_mul_i32 s14, s9, s14
	s_add_u32 s14, s15, s14
	s_mul_hi_u32 s16, s9, s12
	s_addc_u32 s13, s13, s17
	s_addc_u32 s14, s16, 0
	s_mul_i32 s12, s9, s12
	s_add_u32 s16, s13, s12
	s_addc_u32 s17, 0, s14
	s_mul_i32 s12, s4, s17
	s_mul_hi_u32 s13, s4, s16
	s_add_i32 s12, s13, s12
	s_mul_i32 s13, s5, s16
	s_add_i32 s18, s12, s13
	s_sub_i32 s14, s9, s18
	s_mul_i32 s12, s4, s16
	s_sub_u32 s8, s8, s12
	s_cselect_b64 s[12:13], -1, 0
	s_cmp_lg_u64 s[12:13], 0
	s_subb_u32 s19, s14, s5
	s_sub_u32 s20, s8, s4
	s_cselect_b64 s[14:15], -1, 0
	s_cmp_lg_u64 s[14:15], 0
	s_subb_u32 s14, s19, 0
	s_cmp_ge_u32 s14, s5
	s_cselect_b32 s15, -1, 0
	s_cmp_ge_u32 s20, s4
	s_cselect_b32 s19, -1, 0
	s_cmp_eq_u32 s14, s5
	s_cselect_b32 s14, s19, s15
	s_add_u32 s15, s16, 1
	s_addc_u32 s19, s17, 0
	s_add_u32 s20, s16, 2
	s_addc_u32 s21, s17, 0
	s_cmp_lg_u32 s14, 0
	s_cselect_b32 s14, s20, s15
	s_cselect_b32 s15, s21, s19
	s_cmp_lg_u64 s[12:13], 0
	s_subb_u32 s9, s9, s18
	s_cmp_ge_u32 s9, s5
	s_cselect_b32 s12, -1, 0
	s_cmp_ge_u32 s8, s4
	s_cselect_b32 s4, -1, 0
	s_cmp_eq_u32 s9, s5
	s_cselect_b32 s4, s4, s12
	s_cmp_lg_u32 s4, 0
	s_cselect_b32 s5, s15, s17
	s_cselect_b32 s4, s14, s16
	s_xor_b64 s[8:9], s[10:11], 0
	s_xor_b64 s[4:5], s[4:5], s[8:9]
	s_sub_u32 s4, s4, s8
	v_writelane_b32 v255, s4, 10
	s_nop 1
	v_writelane_b32 v255, s5, 11
	s_load_dwordx2 s[98:99], s[0:1], 0x5c
	s_cbranch_execnz .LBB30_8
.LBB30_7:
	v_rcp_iflag_f32_e32 v1, v1
	s_load_dword s8, s[0:1], 0xd0
	v_mul_f32_e32 v1, 0x4f7ffffe, v1
	v_cvt_u32_f32_e32 v1, v1
	s_waitcnt lgkmcnt(0)
	s_sub_i32 s2, 0, s8
	v_readfirstlane_b32 s3, v1
	s_mul_i32 s2, s2, s3
	s_mul_hi_u32 s2, s3, s2
	s_add_i32 s3, s3, s2
	s_mul_hi_u32 s2, s7, s3
	s_mul_i32 s4, s2, s8
	s_sub_i32 s4, s7, s4
	s_add_i32 s3, s2, 1
	s_sub_i32 s5, s4, s8
	s_cmp_ge_u32 s4, s8
	s_cselect_b32 s2, s3, s2
	s_cselect_b32 s4, s5, s4
	s_add_i32 s3, s2, 1
	s_cmp_ge_u32 s4, s8
	s_cselect_b32 s2, s3, s2
	v_writelane_b32 v255, s2, 10
	s_nop 1
	v_writelane_b32 v255, s3, 11
.LBB30_8:
	s_load_dwordx16 s[64:79], s[0:1], 0x0
	s_load_dwordx4 s[12:15], s[0:1], 0x40
	s_load_dwordx2 s[92:93], s[0:1], 0x50
	s_load_dwordx2 s[2:3], s[0:1], 0x8c
	s_load_dwordx4 s[8:11], s[0:1], 0x98
	s_load_dwordx2 s[4:5], s[0:1], 0xa8
	s_load_dwordx2 s[16:17], s[0:1], 0xb8
	s_nop 0
	s_load_dwordx2 s[0:1], s[0:1], 0xc8
	s_ashr_i32 s42, s83, 3
	s_waitcnt lgkmcnt(0)
	s_ashr_i32 s96, s2, 2
	s_ashr_i32 s82, s10, 2
	v_writelane_b32 v255, s4, 12
	s_ashr_i32 s62, s17, 1
	v_cvt_f16_f32_e32 v23, s12
	v_writelane_b32 v255, s5, 13
	v_writelane_b32 v255, s0, 14
	v_bfe_u32 v123, v0, 10, 10
	s_mov_b32 s95, 0
	v_writelane_b32 v255, s1, 15
	s_mov_b32 s1, s3
	v_readlane_b32 s7, v255, 1
	s_abs_i32 s33, s7
	v_cvt_f32_u32_e32 v1, s33
	v_writelane_b32 v255, s0, 16
	s_mov_b32 s3, s11
	v_lshlrev_b32_e32 v241, 3, v123
	v_rcp_iflag_f32_e32 v1, v1
	v_writelane_b32 v255, s1, 17
	s_mov_b64 s[0:1], s[8:9]
	v_writelane_b32 v255, s0, 18
	v_mul_f32_e32 v1, 0x4f7ffffe, v1
	v_cvt_u32_f32_e32 v1, v1
	v_writelane_b32 v255, s1, 19
	v_writelane_b32 v255, s2, 20
	;; [unrolled: 1-line block ×3, first 2 shown]
	s_sub_i32 s2, 0, s33
	v_readfirstlane_b32 s3, v1
	s_mul_i32 s2, s2, s3
	s_ashr_i32 s1, s7, 31
	s_mul_hi_u32 s2, s3, s2
	v_writelane_b32 v255, s1, 22
	s_abs_i32 s1, s6
	s_add_i32 s2, s3, s2
	s_mov_b32 s85, s2
	s_mul_hi_u32 s2, s1, s2
	s_mul_i32 s2, s2, s33
	s_sub_i32 s1, s1, s2
	s_ashr_i32 s0, s6, 31
	s_sub_i32 s2, s1, s33
	s_cmp_ge_u32 s1, s33
	s_cselect_b32 s1, s2, s1
	s_sub_i32 s2, s1, s33
	s_cmp_ge_u32 s1, s33
	s_cselect_b32 s1, s2, s1
	s_xor_b32 s1, s1, s0
	s_sub_i32 s40, s1, s0
	v_readlane_b32 s0, v255, 10
	s_mov_b32 s8, s0
	s_sub_i32 s0, s0, s6
	s_add_i32 s2, s0, s40
	s_min_i32 s87, s7, s2
	s_cmp_gt_i32 s8, s6
	v_readlane_b32 s1, v255, 11
	s_cselect_b64 s[4:5], -1, 0
	s_cmp_le_i32 s8, s6
	s_cselect_b64 s[0:1], -1, 0
	s_cmp_gt_i32 s7, s2
	s_cselect_b64 s[2:3], -1, 0
	s_or_b64 s[0:1], s[2:3], s[0:1]
	s_and_b64 vcc, exec, s[0:1]
	v_add_u32_e32 v196, 8, v123
	v_add_u32_e32 v195, 16, v123
	;; [unrolled: 1-line block ×7, first 2 shown]
	v_lshlrev_b32_e32 v240, 4, v123
	s_cbranch_vccz .LBB30_11
; %bb.9:
	s_andn2_b64 vcc, exec, s[4:5]
	s_cbranch_vccz .LBB30_608
.LBB30_10:
	s_endpgm
.LBB30_11:
	v_writelane_b32 v255, s54, 23
	s_cmp_lg_u64 s[70:71], 0
	s_cselect_b64 s[0:1], -1, 0
	v_writelane_b32 v255, s55, 24
	v_writelane_b32 v255, s0, 25
	s_cmp_eq_u64 s[72:73], 0
	s_mov_b64 s[2:3], s[14:15]
	v_writelane_b32 v255, s1, 26
	s_mul_i32 s0, s80, s81
	v_writelane_b32 v255, s0, 27
	s_cselect_b64 s[0:1], -1, 0
	v_writelane_b32 v255, s0, 28
	v_and_b32_e32 v94, 0x3ff, v0
	v_lshlrev_b32_e32 v1, 2, v94
	v_writelane_b32 v255, s1, 29
	s_mov_b32 s1, s13
	v_writelane_b32 v255, s0, 30
	v_bfe_u32 v8, v0, 5, 5
	v_and_b32_e32 v3, 15, v0
	v_writelane_b32 v255, s1, 31
	v_writelane_b32 v255, s2, 32
	v_lshrrev_b32_e32 v5, 1, v0
	v_lshl_add_u32 v200, v123, 1, v8
	v_and_b32_e32 v98, 0x7c, v1
	v_writelane_b32 v255, s3, 33
	v_cmp_nle_f32_e64 s[0:1], s13, 0
	v_add_u32_e32 v198, 0, v1
	v_mul_u32_u24_e32 v4, 0x210, v3
	v_and_b32_e32 v5, 0xf8, v5
	v_and_b32_e32 v7, 8, v241
	v_mul_u32_u24_e32 v8, 0x210, v200
	v_lshlrev_b32_e32 v1, 2, v98
	v_writelane_b32 v255, s0, 34
	s_cmp_lg_u64 s[74:75], 0
	v_and_b32_e32 v2, 0xff0, v241
	s_movk_i32 s24, 0x210
	v_add3_u32 v4, 0, v4, v5
	v_and_b32_e32 v6, 16, v240
	v_mul_u32_u24_e32 v7, 0x420, v7
	v_add3_u32 v201, 0, v8, v1
	v_bfe_u32 v1, v0, 2, 8
	v_lshlrev_b32_e32 v8, 1, v3
	v_writelane_b32 v255, s1, 35
	s_cselect_b64 s[0:1], -1, 0
	v_mad_u32_u24 v199, v2, s24, v4
	v_mad_u32_u24 v202, v6, s24, v4
	v_and_b32_e32 v4, 0x7c, v1
	v_add3_u32 v7, 0, v7, v8
	v_or_b32_e32 v1, 3, v1
	v_writelane_b32 v255, s0, 36
	v_mad_u32_u24 v205, v1, s24, v7
	v_bfe_u32 v1, v0, 10, 1
	v_writelane_b32 v255, s1, 37
	v_cmp_eq_u32_e64 s[4:5], 0, v1
	v_and_b32_e32 v1, 0x400, v0
	v_or_b32_e32 v2, v2, v3
	v_writelane_b32 v255, s4, 38
	s_movk_i32 s8, 0x1e0
	v_add_u32_e32 v203, v4, v6
	v_writelane_b32 v255, s5, 39
	v_cmp_ne_u32_e64 s[4:5], 0, v1
	v_or_b32_e32 v1, v241, v94
	v_lshlrev_b32_e32 v96, 3, v1
	v_or_b32_e32 v1, v240, v3
	v_mul_u32_u24_e32 v1, 0x110, v1
	v_add3_u32 v206, 0, v1, v5
	v_lshrrev_b32_e32 v1, 10, v0
	v_bfe_u32 v207, v1, 1, 9
	v_writelane_b32 v255, s4, 40
	v_bfe_u32 v3, v123, 1, 4
	v_add_u32_e32 v208, 4, v207
	v_add_u32_e32 v10, 20, v207
	;; [unrolled: 1-line block ×3, first 2 shown]
	v_add_u16_e32 v6, v4, v6
	v_mad_u32_u24 v204, v4, s24, v7
	v_writelane_b32 v255, s5, 41
	v_and_or_b32 v1, v1, s8, v3
	v_lshlrev_b32_e32 v4, 1, v208
	v_and_b32_e32 v5, 15, v208
	s_movk_i32 s8, 0x3e0
	v_add_u32_e32 v7, 8, v207
	v_lshlrev_b32_e32 v9, 1, v10
	v_and_b32_e32 v10, 15, v10
	v_add_u32_e32 v11, 24, v207
	v_lshlrev_b32_e32 v13, 1, v14
	v_and_b32_e32 v14, 15, v14
	v_add_u32_e32 v15, 40, v207
	v_writelane_b32 v255, s49, 42
	v_and_or_b32 v4, v4, s8, v5
	v_lshlrev_b32_e32 v5, 1, v7
	v_and_b32_e32 v7, 15, v7
	v_add_u32_e32 v8, 12, v207
	v_and_or_b32 v9, v9, s8, v10
	v_lshlrev_b32_e32 v10, 1, v11
	v_and_b32_e32 v11, 15, v11
	v_add_u32_e32 v12, 28, v207
	;; [unrolled: 4-line block ×3, first 2 shown]
	v_writelane_b32 v255, s94, 43
	s_lshl_b32 s94, s49, 6
	v_and_or_b32 v5, v5, s8, v7
	v_lshlrev_b32_e32 v7, 1, v8
	v_and_b32_e32 v8, 15, v8
	v_and_or_b32 v10, v10, s8, v11
	v_lshlrev_b32_e32 v11, 1, v12
	v_and_b32_e32 v12, 15, v12
	;; [unrolled: 3-line block ×3, first 2 shown]
	s_ashr_i32 s63, s62, 31
	s_ashr_i32 s97, s96, 31
	;; [unrolled: 1-line block ×3, first 2 shown]
	s_lshl_b32 s3, s96, 4
	s_lshl_b32 s14, s82, 4
	s_lshl_b64 s[4:5], s[94:95], 3
	v_and_or_b32 v7, v7, s8, v8
	v_add_u32_e32 v8, 16, v207
	v_and_or_b32 v11, v11, s8, v12
	v_add_u32_e32 v12, 32, v207
	;; [unrolled: 2-line block ×3, first 2 shown]
	s_add_u32 s4, s78, s4
	v_lshlrev_b32_e32 v8, 1, v8
	v_lshlrev_b32_e32 v12, 1, v12
	;; [unrolled: 1-line block ×3, first 2 shown]
	v_add_u32_e32 v17, 52, v207
	v_readlane_b32 s27, v255, 6
	s_addc_u32 s5, s79, s5
	v_and_or_b32 v8, v8, s8, v3
	v_and_or_b32 v12, v12, s8, v3
	v_and_or_b32 v3, v16, s8, v3
	v_lshlrev_b32_e32 v16, 1, v17
	v_and_b32_e32 v17, 15, v17
	s_abs_i32 s9, s27
	v_and_or_b32 v16, v16, s8, v17
	v_cvt_f32_u32_e32 v17, s9
	v_readlane_b32 s26, v255, 5
	s_abs_i32 s10, s26
	v_add_u32_e32 v19, 56, v207
	v_rcp_iflag_f32_e32 v17, v17
	v_cvt_f32_u32_e32 v21, s10
	v_lshlrev_b32_e32 v18, 1, v19
	v_and_b32_e32 v19, 15, v19
	v_add_u32_e32 v20, 60, v207
	v_mul_f32_e32 v17, 0x4f7ffffe, v17
	v_readlane_b32 s94, v255, 43
	v_and_or_b32 v18, v18, s8, v19
	v_lshlrev_b32_e32 v19, 1, v20
	v_and_b32_e32 v20, 15, v20
	v_cvt_u32_f32_e32 v17, v17
	v_and_or_b32 v19, v19, s8, v20
	v_writelane_b32 v255, s9, 44
	s_sub_i32 s8, 0, s9
	s_abs_i32 s9, s94
	v_rcp_iflag_f32_e32 v21, v21
	v_cvt_f32_u32_e32 v22, s9
	v_mul_lo_u32 v20, s8, v17
	v_mul_hi_u32 v20, v17, v20
	v_mul_f32_e32 v21, 0x4f7ffffe, v21
	v_add_u32_e32 v223, v17, v20
	v_rcp_iflag_f32_e32 v17, v22
	v_cvt_u32_f32_e32 v21, v21
	s_abs_i32 s28, s16
	v_cvt_f32_u32_e32 v22, s28
	s_sub_i32 s8, 0, s10
	v_mul_f32_e32 v17, 0x4f7ffffe, v17
	v_mul_lo_u32 v20, s8, v21
	v_cvt_u32_f32_e32 v17, v17
	v_writelane_b32 v255, s10, 45
	v_mul_hi_u32 v20, v21, v20
	s_mov_b32 s8, s16
	v_writelane_b32 v255, s8, 46
	v_add_u32_e32 v224, v21, v20
	v_rcp_iflag_f32_e32 v20, v22
	v_writelane_b32 v255, s9, 47
	s_sub_i32 s8, 0, s9
	v_mul_lo_u32 v21, s8, v17
	v_mul_hi_u32 v21, v17, v21
	v_mul_u32_u24_e32 v233, 0x110, v1
	v_mul_u32_u24_e32 v1, 0x110, v7
	s_movk_i32 s2, 0x90
	v_add_u32_e32 v225, v17, v21
	v_mul_f32_e32 v17, 0x4f7ffffe, v20
	scratch_store_dword off, v1, off offset:80 ; 4-byte Folded Spill
	v_mul_u32_u24_e32 v1, 0x110, v8
	v_writelane_b32 v255, s9, 48
	v_cvt_u32_f32_e32 v17, v17
	v_mad_u32_u24 v2, v2, s2, 0
	s_lshl_b32 s2, s81, 7
	scratch_store_dword off, v1, off offset:84 ; 4-byte Folded Spill
	v_mul_u32_u24_e32 v1, 0x110, v9
	v_writelane_b32 v255, s2, 49
	scratch_store_dword off, v1, off offset:92 ; 4-byte Folded Spill
	v_mul_u32_u24_e32 v1, 0x110, v10
	s_ashr_i32 s2, s27, 31
	scratch_store_dword off, v1, off offset:96 ; 4-byte Folded Spill
	v_mul_u32_u24_e32 v1, 0x110, v11
	v_writelane_b32 v255, s2, 50
	s_ashr_i32 s2, s26, 31
	scratch_store_dword off, v1, off offset:100 ; 4-byte Folded Spill
	v_mul_u32_u24_e32 v1, 0x110, v12
	v_writelane_b32 v255, s2, 51
	s_ashr_i32 s2, s94, 31
	v_readfirstlane_b32 s25, v17
	v_lshrrev_b16_e32 v6, 1, v6
	v_add_u32_e32 v227, 32, v203
	v_add_u32_e32 v229, 34, v203
	scratch_store_dword off, v1, off offset:104 ; 4-byte Folded Spill
	v_mul_u32_u24_e32 v1, 0x110, v13
	v_writelane_b32 v255, s2, 52
	s_sub_i32 s2, 0, s28
	v_lshl_add_u32 v226, v6, 2, v2
	v_lshl_add_u32 v228, v227, 1, v2
	;; [unrolled: 1-line block ×3, first 2 shown]
	v_add_u32_e32 v2, v240, v94
	scratch_store_dword off, v1, off offset:108 ; 4-byte Folded Spill
	v_mul_u32_u24_e32 v1, 0x110, v14
	s_mul_i32 s2, s2, s25
	v_mov_b32_e32 v97, 0
	v_mul_lo_u32 v108, s82, v200
	v_mul_u32_u24_e32 v231, 0x110, v2
	v_and_b32_e32 v2, 31, v0
	scratch_store_dword off, v1, off offset:112 ; 4-byte Folded Spill
	v_mul_u32_u24_e32 v1, 0x110, v15
	s_mul_hi_u32 s2, s25, s2
	v_ashrrev_i32_e32 v109, 31, v108
	v_add_u32_e32 v110, s14, v108
	v_add_u32_e32 v6, v240, v2
	scratch_store_dword off, v1, off offset:116 ; 4-byte Folded Spill
	v_mul_u32_u24_e32 v1, 0x110, v3
	v_writelane_b32 v255, s28, 53
	s_add_i32 s2, s25, s2
	v_lshlrev_b32_e32 v118, 4, v2
	v_lshl_add_u64 v[2:3], s[4:5], 0, v[96:97]
	v_ashrrev_i32_e32 v111, 31, v110
	v_add_u32_e32 v112, s14, v110
	v_writelane_b32 v255, s2, 54
	scratch_store_dwordx2 off, v[2:3], off offset:72 ; 8-byte Folded Spill
	v_lshl_add_u64 v[2:3], v[108:109], 2, s[68:69]
	v_cmp_gt_u32_e64 s[4:5], 16, v94
	v_mul_lo_u32 v100, s96, v200
	v_ashrrev_i32_e32 v113, 31, v112
	v_add_u32_e32 v114, s14, v112
	scratch_store_dword off, v1, off offset:120 ; 4-byte Folded Spill
	v_mul_u32_u24_e32 v1, 0x110, v16
	scratch_store_dwordx2 off, v[2:3], off offset:16 ; 8-byte Folded Spill
	v_lshl_add_u64 v[2:3], v[110:111], 2, s[68:69]
	v_writelane_b32 v255, s4, 55
	v_add_u32_e32 v102, s3, v100
	v_ashrrev_i32_e32 v115, 31, v114
	scratch_store_dword off, v1, off offset:124 ; 4-byte Folded Spill
	v_mul_u32_u24_e32 v1, 0x110, v18
	scratch_store_dwordx2 off, v[2:3], off offset:24 ; 8-byte Folded Spill
	v_lshl_add_u64 v[2:3], v[112:113], 2, s[68:69]
	v_writelane_b32 v255, s5, 56
	v_cmp_gt_u32_e64 s[4:5], 32, v94
	v_ashrrev_i32_e32 v101, 31, v100
	v_add_u32_e32 v104, s3, v102
	scratch_store_dword off, v1, off offset:128 ; 4-byte Folded Spill
	v_mul_u32_u24_e32 v1, 0x110, v19
	scratch_store_dwordx2 off, v[2:3], off offset:32 ; 8-byte Folded Spill
	v_lshl_add_u64 v[2:3], v[114:115], 2, s[68:69]
	v_writelane_b32 v255, s4, 57
	v_ashrrev_i32_e32 v103, 31, v102
	v_add_u32_e32 v106, s3, v104
	scratch_store_dword off, v1, off offset:132 ; 4-byte Folded Spill
                                        ; implicit-def: $vgpr1
                                        ; implicit-def: $vgpr1
	;; [unrolled: 1-line block ×4, first 2 shown]
	scratch_store_dwordx2 off, v[2:3], off offset:40 ; 8-byte Folded Spill
	v_lshl_add_u64 v[2:3], v[100:101], 2, s[66:67]
	v_writelane_b32 v255, s5, 58
	s_lshl_b64 s[4:5], s[62:63], 1
	s_mov_b64 s[30:31], src_private_base
	s_mov_b32 s7, 0x10001
	v_ashrrev_i32_e32 v105, 31, v104
	v_ashrrev_i32_e32 v107, 31, v106
	v_lshlrev_b32_e32 v116, 1, v94
	v_mbcnt_lo_u32_b32 v1, -1, 0
	v_mad_u32_u24 v244, v123, s24, v198
	scratch_store_dwordx2 off, v[2:3], off offset:48 ; 8-byte Folded Spill
	v_lshl_add_u64 v[2:3], v[102:103], 2, s[66:67]
	v_writelane_b32 v255, s4, 59
	v_cmp_lt_u32_e64 s[0:1], 63, v94
	v_cmp_gt_u32_e64 s[52:53], 64, v200
	v_cmp_gt_u32_e64 s[8:9], 48, v200
	;; [unrolled: 1-line block ×9, first 2 shown]
	v_mul_u32_u24_e32 v232, 0x110, v6
	v_mul_u32_u24_e32 v234, 0x110, v4
	;; [unrolled: 1-line block ×3, first 2 shown]
	v_mov_b32_e32 v117, v97
	v_mov_b32_e32 v119, v97
	s_mov_b32 s81, 0x42b17218
	s_mov_b32 s3, 0x3fb8aa3b
	;; [unrolled: 1-line block ×3, first 2 shown]
	s_brev_b32 s86, -2
	s_mov_b32 s2, 0x3f200000
	v_mbcnt_hi_u32_b32 v249, -1, v1
	v_mov_b32_e32 v130, v97
	v_mov_b32_e32 v131, v97
	;; [unrolled: 1-line block ×4, first 2 shown]
	v_mul_lo_u32 v250, v23, s7
	s_mov_b32 s7, 0xc1a00000
	v_sub_u32_e32 v251, v198, v116
	v_mul_u32_u24_e32 v252, 0x90, v123
	v_add_u32_e32 v253, 16, v200
	v_add_u32_e32 v254, 0x2100, v201
	;; [unrolled: 1-line block ×6, first 2 shown]
	v_mul_u32_u24_e32 v245, 0x210, v123
	s_mov_b32 s84, 0x5040100
	v_add_u32_e32 v243, 0x1080, v244
	v_add_u32_e32 v215, 0x2100, v244
	;; [unrolled: 1-line block ×7, first 2 shown]
	v_or_b32_e32 v220, 1, v203
	v_or_b32_e32 v218, 2, v203
	;; [unrolled: 1-line block ×3, first 2 shown]
	v_add_u32_e32 v216, 33, v203
	v_add_u32_e32 v239, 35, v203
	v_mov_b32_e32 v214, 0x3ca908c9
	v_mov_b32_e32 v213, 0x7f800000
	;; [unrolled: 1-line block ×4, first 2 shown]
	v_cmp_gt_u32_e64 s[24:25], 31, v203
	v_add_u32_e32 v122, 64, v94
	scratch_store_dwordx2 off, v[2:3], off offset:56 ; 8-byte Folded Spill
	v_lshl_add_u64 v[2:3], v[104:105], 2, s[66:67]
	v_lshl_add_u64 v[138:139], v[106:107], 2, s[66:67]
	v_cmp_gt_u32_e64 s[26:27], 30, v203
	v_cmp_gt_u32_e64 s[28:29], 29, v203
	v_writelane_b32 v255, s5, 60
	s_lshl_b64 s[34:35], s[82:83], 8
	s_lshl_b64 s[90:91], s[96:97], 8
	s_mov_b64 s[88:89], 0x80
	s_mov_b32 s63, s42
	scratch_store_dword off, v23, off offset:88 ; 4-byte Folded Spill
	scratch_store_dwordx2 off, v[2:3], off offset:64 ; 8-byte Folded Spill
	s_branch .LBB30_14
.LBB30_12:                              ;   in Loop: Header=BB30_14 Depth=1
	s_or_b64 exec, exec, s[36:37]
	s_barrier
.LBB30_13:                              ;   in Loop: Header=BB30_14 Depth=1
	v_readlane_b32 s37, v255, 1
	s_add_i32 s4, s6, s37
	s_abs_i32 s6, s4
	s_mul_hi_u32 s36, s6, s85
	s_mul_i32 s36, s36, s33
	s_sub_i32 s6, s6, s36
	s_ashr_i32 s5, s4, 31
	s_sub_i32 s36, s6, s33
	s_cmp_ge_u32 s6, s33
	s_cselect_b32 s6, s36, s6
	s_sub_i32 s36, s6, s33
	s_cmp_ge_u32 s6, s33
	s_cselect_b32 s6, s36, s6
	s_xor_b32 s6, s6, s5
	s_sub_i32 s5, s5, s6
	s_add_i32 s6, s4, s5
	v_readlane_b32 s4, v255, 10
	s_sub_i32 s36, s4, s6
	s_min_i32 s87, s37, s36
	v_readlane_b32 s5, v255, 11
	s_cmp_gt_i32 s4, s6
	s_cselect_b64 s[4:5], -1, 0
	s_cmp_le_i32 s37, s36
	s_cselect_b64 s[36:37], -1, 0
	s_and_b64 s[36:37], s[36:37], s[4:5]
	s_mov_b32 s40, 0
	s_and_b64 vcc, exec, s[36:37]
	s_cbranch_vccz .LBB30_607
.LBB30_14:                              ; =>This Loop Header: Depth=1
                                        ;     Child Loop BB30_354 Depth 2
                                        ;     Child Loop BB30_61 Depth 2
	s_ashr_i32 s4, s6, 31
	v_readlane_b32 s5, v255, 50
	s_xor_b32 s4, s4, s5
	s_abs_i32 s5, s6
	v_mul_hi_u32 v1, s5, v223
	v_readlane_b32 s36, v255, 44
	v_add_u32_e32 v3, 1, v1
	s_nop 0
	v_mul_lo_u32 v2, v1, s36
	v_sub_u32_e32 v2, s5, v2
	v_subrev_u32_e32 v4, s36, v2
	v_cmp_le_u32_e32 vcc, s36, v2
	s_nop 1
	v_cndmask_b32_e32 v1, v1, v3, vcc
	v_cndmask_b32_e32 v2, v2, v4, vcc
	v_add_u32_e32 v3, 1, v1
	v_cmp_le_u32_e32 vcc, s36, v2
	s_nop 1
	v_cndmask_b32_e32 v1, v1, v3, vcc
	v_xor_b32_e32 v1, s4, v1
	v_subrev_u32_e32 v1, s4, v1
	v_readlane_b32 s4, v255, 25
	v_readlane_b32 s5, v255, 26
	s_andn2_b64 vcc, exec, s[4:5]
	v_ashrrev_i32_e32 v4, 31, v1
	s_cbranch_vccnz .LBB30_16
; %bb.15:                               ;   in Loop: Header=BB30_14 Depth=1
	v_sub_u32_e32 v2, 0, v1
	v_max_i32_e32 v2, v1, v2
	v_readlane_b32 s4, v255, 54
	s_nop 1
	v_mul_hi_u32 v3, v2, s4
	v_readlane_b32 s4, v255, 53
	s_nop 1
	v_mul_lo_u32 v3, v3, s4
	v_sub_u32_e32 v2, v2, v3
	v_subrev_u32_e32 v3, s4, v2
	v_cmp_le_u32_e32 vcc, s4, v2
	s_nop 1
	v_cndmask_b32_e32 v2, v2, v3, vcc
	v_subrev_u32_e32 v3, s4, v2
	v_cmp_le_u32_e32 vcc, s4, v2
	v_readlane_b32 s4, v255, 14
	v_readlane_b32 s5, v255, 15
	v_cndmask_b32_e32 v2, v2, v3, vcc
	v_xor_b32_e32 v2, v2, v4
	v_sub_u32_e32 v2, v2, v4
	v_ashrrev_i32_e32 v3, 31, v2
	v_mul_lo_u32 v3, s4, v3
	v_mul_hi_u32 v5, s4, v2
	v_add_u32_e32 v3, v5, v3
	v_mul_lo_u32 v5, s5, v2
	v_add_u32_e32 v3, v3, v5
	v_mul_lo_u32 v2, s4, v2
	v_lshl_add_u64 v[148:149], s[70:71], 0, v[2:3]
	s_branch .LBB30_17
.LBB30_16:                              ;   in Loop: Header=BB30_14 Depth=1
	v_mov_b64_e32 v[148:149], 0
.LBB30_17:                              ;   in Loop: Header=BB30_14 Depth=1
	v_readlane_b32 s4, v255, 6
	v_mov_b32_e32 v146, 1.0
	s_nop 0
	v_mul_lo_u32 v2, v1, s4
	v_sub_u32_e32 v2, s6, v2
	v_sub_u32_e32 v5, 0, v2
	v_ashrrev_i32_e32 v3, 31, v2
	v_readlane_b32 s4, v255, 51
	v_max_i32_e32 v5, v2, v5
	v_mul_hi_u32 v6, v5, v224
	v_xor_b32_e32 v3, s4, v3
	v_readlane_b32 s4, v255, 45
	s_nop 1
	v_mul_lo_u32 v7, v6, s4
	v_sub_u32_e32 v5, v5, v7
	v_add_u32_e32 v7, 1, v6
	v_subrev_u32_e32 v8, s4, v5
	v_cmp_le_u32_e32 vcc, s4, v5
	s_nop 1
	v_cndmask_b32_e32 v6, v6, v7, vcc
	v_cndmask_b32_e32 v5, v5, v8, vcc
	v_add_u32_e32 v7, 1, v6
	v_cmp_le_u32_e32 vcc, s4, v5
	v_readlane_b32 s4, v255, 5
	s_nop 0
	v_cndmask_b32_e32 v5, v6, v7, vcc
	v_xor_b32_e32 v5, v5, v3
	v_sub_u32_e32 v5, v5, v3
	v_mul_lo_u32 v3, v5, s4
	v_sub_u32_e32 v3, v2, v3
	v_sub_u32_e32 v6, 0, v3
	v_ashrrev_i32_e32 v2, 31, v3
	v_readlane_b32 s4, v255, 52
	v_max_i32_e32 v6, v3, v6
	v_mul_hi_u32 v7, v6, v225
	v_xor_b32_e32 v2, s4, v2
	v_readlane_b32 s4, v255, 48
	s_nop 1
	v_mul_lo_u32 v8, v7, s4
	v_sub_u32_e32 v6, v6, v8
	v_add_u32_e32 v8, 1, v7
	v_subrev_u32_e32 v9, s4, v6
	v_cmp_le_u32_e32 vcc, s4, v6
	s_nop 1
	v_cndmask_b32_e32 v7, v7, v8, vcc
	v_cndmask_b32_e32 v6, v6, v9, vcc
	v_add_u32_e32 v8, 1, v7
	v_cmp_le_u32_e32 vcc, s4, v6
	v_readlane_b32 s4, v255, 2
	s_nop 0
	v_cndmask_b32_e32 v6, v7, v8, vcc
	v_xor_b32_e32 v6, v6, v2
	v_sub_u32_e32 v6, v6, v2
	v_mul_lo_u32 v2, v5, s4
	v_readlane_b32 s4, v255, 34
	v_readlane_b32 s5, v255, 35
	v_add_u32_e32 v2, v2, v6
	s_andn2_b64 vcc, exec, s[4:5]
	s_cbranch_vccnz .LBB30_19
; %bb.18:                               ;   in Loop: Header=BB30_14 Depth=1
	v_readlane_b32 s36, v255, 30
	v_readlane_b32 s38, v255, 32
	;; [unrolled: 1-line block ×3, first 2 shown]
	v_subrev_co_u32_e32 v9, vcc, s92, v2
	s_nop 0
	v_mov_b32_e32 v7, s39
	v_mov_b32_e32 v8, s38
	v_lshlrev_b32_e32 v9, 1, v9
	v_cndmask_b32_e32 v7, v7, v8, vcc
	v_add_u32_e32 v8, 1, v2
	v_or_b32_e32 v9, 1, v9
	v_cndmask_b32_e32 v8, v9, v8, vcc
	v_cvt_f32_i32_e32 v8, v8
	v_cmp_neq_f32_e32 vcc, 1.0, v7
	s_mov_b32 s4, 0x3f2aaaab
	s_movk_i32 s5, 0x204
	v_cndmask_b32_e32 v24, 1.0, v8, vcc
	v_cmp_neq_f32_e32 vcc, 0, v24
	v_readlane_b32 s37, v255, 31
	v_cmp_gt_f32_e64 s[38:39], 0, v24
	v_cndmask_b32_e32 v7, 1.0, v7, vcc
	v_frexp_mant_f32_e64 v8, |v7|
	v_cmp_gt_f32_e32 vcc, s4, v8
	s_mov_b32 s4, 0x3f317218
	s_nop 0
	v_cndmask_b32_e64 v9, 1.0, 2.0, vcc
	v_mul_f32_e32 v8, v8, v9
	v_add_f32_e32 v11, 1.0, v8
	v_rcp_f32_e32 v16, v11
	v_add_f32_e32 v9, -1.0, v11
	v_sub_f32_e32 v13, v8, v9
	v_add_f32_e32 v9, -1.0, v8
	v_mul_f32_e32 v17, v9, v16
	v_mul_f32_e32 v10, v11, v17
	v_fma_f32 v12, v17, v11, -v10
	v_fmac_f32_e32 v12, v17, v13
	v_add_f32_e32 v8, v10, v12
	v_sub_f32_e32 v11, v9, v8
	v_pk_add_f32 v[14:15], v[8:9], v[10:11] neg_lo:[0,1] neg_hi:[0,1]
	v_mov_b32_e32 v13, v8
	v_pk_add_f32 v[8:9], v[14:15], v[12:13] neg_lo:[0,1] neg_hi:[0,1]
	v_mov_b32_e32 v12, 0x3e91f4c4
	v_add_f32_e32 v8, v8, v9
	v_add_f32_e32 v8, v11, v8
	v_mul_f32_e32 v9, v16, v8
	v_add_f32_e32 v8, v17, v9
	v_sub_f32_e32 v10, v8, v17
	v_sub_f32_e32 v18, v9, v10
	v_mul_f32_e32 v9, v8, v8
	v_fma_f32 v11, v8, v8, -v9
	v_add_f32_e32 v10, v18, v18
	v_fmac_f32_e32 v11, v8, v10
	v_add_f32_e32 v10, v9, v11
	v_fmamk_f32 v12, v10, 0x3e76c4e1, v12
	v_fmaak_f32 v12, v10, v12, 0x3ecccdef
	v_sub_f32_e32 v9, v10, v9
	v_sub_f32_e32 v19, v11, v9
	v_mul_f32_e32 v9, v10, v12
	v_fma_f32 v11, v10, v12, -v9
	v_fmac_f32_e32 v11, v19, v12
	v_add_f32_e32 v12, v9, v11
	v_add_f32_e32 v13, 0x3f2aaaaa, v12
	v_sub_f32_e32 v9, v12, v9
	v_sub_f32_e32 v9, v11, v9
	v_add_f32_e32 v11, 0xbf2aaaaa, v13
	v_add_f32_e32 v9, 0x31739010, v9
	v_sub_f32_e32 v11, v12, v11
	v_pk_mul_f32 v[14:15], v[8:9], v[10:11]
	v_pk_add_f32 v[16:17], v[8:9], v[10:11]
	v_fma_f32 v12, v10, v8, -v14
	v_fmac_f32_e32 v12, v10, v18
	v_mov_b32_e32 v15, v17
	v_fmac_f32_e32 v12, v19, v8
	v_pk_add_f32 v[10:11], v[14:15], v[12:13]
	v_ldexp_f32 v20, v18, 1
	v_sub_f32_e32 v9, v10, v14
	v_sub_f32_e32 v9, v12, v9
	;; [unrolled: 1-line block ×3, first 2 shown]
	v_add_f32_e32 v16, v17, v12
	v_pk_mul_f32 v[12:13], v[10:11], v[10:11] op_sel:[0,1] op_sel_hi:[1,0]
	v_cvt_f64_f32_e64 v[14:15], |v7|
	v_frexp_exp_i32_f64_e32 v13, v[14:15]
	v_subbrev_co_u32_e32 v13, vcc, 0, v13, vcc
	v_cvt_f32_i32_e32 v13, v13
	v_fma_f32 v14, v10, v11, -v12
	v_fmac_f32_e32 v14, v10, v16
	v_fmac_f32_e32 v14, v9, v11
	v_mul_f32_e32 v10, 0x3f317218, v13
	v_fma_f32 v16, v13, s4, -v10
	v_fmac_f32_e32 v16, 0xb102e308, v13
	v_ldexp_f32 v17, v8, 1
	v_add_f32_e32 v11, v12, v14
	v_pk_add_f32 v[8:9], v[10:11], v[16:17]
	v_mov_b32_e32 v18, v11
	v_mov_b32_e32 v19, v9
	;; [unrolled: 1-line block ×3, first 2 shown]
	v_pk_add_f32 v[12:13], v[18:19], v[12:13] neg_lo:[0,1] neg_hi:[0,1]
	v_mov_b32_e32 v15, v11
	v_pk_add_f32 v[12:13], v[14:15], v[12:13] neg_lo:[0,1] neg_hi:[0,1]
	v_mov_b32_e32 v17, v8
	v_add_f32_e32 v11, v20, v12
	v_add_f32_e32 v11, v11, v13
	v_pk_add_f32 v[12:13], v[8:9], v[10:11] neg_lo:[0,1] neg_hi:[0,1]
	v_pk_add_f32 v[14:15], v[8:9], v[10:11]
	v_mov_b32_e32 v22, v9
	v_mov_b32_e32 v13, v15
	v_pk_add_f32 v[18:19], v[16:17], v[12:13] neg_lo:[0,1] neg_hi:[0,1]
	v_pk_add_f32 v[12:13], v[16:17], v[12:13]
	v_mov_b32_e32 v10, v11
	v_pk_add_f32 v[16:17], v[12:13], v[8:9] op_sel:[1,0] op_sel_hi:[0,1] neg_lo:[0,1] neg_hi:[0,1]
	v_pk_add_f32 v[20:21], v[14:15], v[16:17] op_sel_hi:[1,0] neg_lo:[0,1] neg_hi:[0,1]
	v_mov_b32_e32 v14, v15
	v_mov_b32_e32 v15, v13
	;; [unrolled: 1-line block ×3, first 2 shown]
	v_pk_add_f32 v[14:15], v[14:15], v[22:23] neg_lo:[0,1] neg_hi:[0,1]
	v_mov_b32_e32 v11, v8
	v_pk_add_f32 v[8:9], v[10:11], v[14:15] neg_lo:[0,1] neg_hi:[0,1]
	v_mov_b32_e32 v20, v18
	v_pk_add_f32 v[10:11], v[20:21], v[8:9]
	v_mov_b32_e32 v19, v13
	v_pk_add_f32 v[14:15], v[10:11], v[10:11] op_sel:[0,1] op_sel_hi:[1,0]
	s_mov_b32 s4, 0x7f800000
	v_pk_add_f32 v[12:13], v[12:13], v[14:15] op_sel:[1,0] op_sel_hi:[0,1]
	v_mov_b32_e32 v11, v12
	v_pk_add_f32 v[16:17], v[10:11], v[18:19] neg_lo:[0,1] neg_hi:[0,1]
	v_mov_b32_e32 v9, v14
	v_sub_f32_e32 v10, v10, v16
	v_pk_add_f32 v[8:9], v[8:9], v[16:17] neg_lo:[0,1] neg_hi:[0,1]
	v_sub_f32_e32 v10, v18, v10
	v_add_f32_e32 v8, v8, v10
	v_add_f32_e32 v8, v8, v9
	;; [unrolled: 1-line block ×3, first 2 shown]
	v_sub_f32_e32 v10, v9, v12
	v_sub_f32_e32 v8, v8, v10
	v_mul_f32_e32 v10, v24, v9
	v_fma_f32 v9, v24, v9, -v10
	v_fmac_f32_e32 v9, v24, v8
	v_add_f32_e32 v8, v10, v9
	v_cmp_class_f32_e64 vcc, v10, s5
	v_sub_f32_e32 v11, v8, v10
	v_sub_f32_e32 v9, v9, v11
	v_cndmask_b32_e32 v8, v8, v10, vcc
	v_mov_b32_e32 v10, 0x37000000
	v_cmp_eq_f32_e32 vcc, s81, v8
	s_nop 1
	v_cndmask_b32_e32 v10, 0, v10, vcc
	v_sub_f32_e32 v11, v8, v10
	v_mul_f32_e32 v12, 0x3fb8aa3b, v11
	v_fma_f32 v13, v11, s3, -v12
	v_rndne_f32_e32 v14, v12
	v_fmac_f32_e32 v13, 0x32a5705f, v11
	v_sub_f32_e32 v12, v12, v14
	v_add_f32_e32 v12, v12, v13
	v_exp_f32_e32 v12, v12
	v_cvt_i32_f32_e32 v13, v14
	v_cmp_neq_f32_e64 vcc, |v8|, s4
	s_nop 1
	v_cndmask_b32_e32 v8, 0, v9, vcc
	v_ldexp_f32 v9, v12, v13
	v_cmp_ngt_f32_e32 vcc, s30, v11
	v_add_f32_e32 v8, v10, v8
	s_nop 0
	v_cndmask_b32_e32 v9, 0, v9, vcc
	v_cmp_nlt_f32_e32 vcc, s81, v11
	s_nop 1
	v_cndmask_b32_e32 v9, v213, v9, vcc
	v_fma_f32 v8, v9, v8, v9
	v_cmp_class_f32_e64 vcc, v9, s5
	v_cmp_class_f32_e64 s[4:5], v7, s5
	s_nop 0
	v_cndmask_b32_e32 v8, v8, v9, vcc
	v_trunc_f32_e32 v9, v24
	v_cmp_eq_f32_e32 vcc, v9, v24
	v_mul_f32_e32 v9, 0.5, v24
	v_trunc_f32_e32 v10, v9
	v_cmp_neq_f32_e64 s[36:37], v10, v9
	s_and_b64 s[36:37], vcc, s[36:37]
	s_nop 0
	v_cndmask_b32_e64 v9, 1.0, v7, s[36:37]
	v_bfi_b32 v8, s86, v8, v9
	v_cndmask_b32_e32 v9, v212, v8, vcc
	v_cmp_gt_f32_e32 vcc, 0, v7
	v_cndmask_b32_e64 v10, 0, v7, s[36:37]
	s_nop 0
	v_cndmask_b32_e32 v8, v8, v9, vcc
	v_cmp_eq_f32_e32 vcc, 0, v7
	s_xor_b64 s[38:39], s[38:39], vcc
	v_cndmask_b32_e64 v9, v213, 0, s[38:39]
	v_bfi_b32 v9, s86, v9, v10
	s_or_b64 vcc, vcc, s[4:5]
	v_cndmask_b32_e32 v8, v8, v9, vcc
	v_cmp_o_f32_e32 vcc, v7, v7
	s_nop 1
	v_cndmask_b32_e32 v146, v212, v8, vcc
.LBB30_19:                              ;   in Loop: Header=BB30_14 Depth=1
	v_mul_lo_u32 v6, v6, s94
	v_sub_u32_e32 v3, v3, v6
	v_sub_u32_e32 v7, 0, v3
	v_ashrrev_i32_e32 v6, 31, v3
	v_max_i32_e32 v3, v3, v7
	v_mul_hi_u32 v7, v3, s85
	v_mul_lo_u32 v8, v7, s33
	v_sub_u32_e32 v3, v3, v8
	v_add_u32_e32 v8, 1, v7
	v_subrev_u32_e32 v9, s33, v3
	v_cmp_le_u32_e32 vcc, s33, v3
	v_readlane_b32 s4, v255, 22
	s_nop 0
	v_cndmask_b32_e32 v7, v7, v8, vcc
	v_cndmask_b32_e32 v3, v3, v9, vcc
	v_add_u32_e32 v8, 1, v7
	v_cmp_le_u32_e32 vcc, s33, v3
	v_xor_b32_e32 v6, s4, v6
	v_readlane_b32 s4, v255, 36
	v_cndmask_b32_e32 v3, v7, v8, vcc
	v_xor_b32_e32 v3, v3, v6
	v_readlane_b32 s5, v255, 37
	s_andn2_b64 vcc, exec, s[4:5]
	v_sub_u32_e32 v6, v3, v6
	s_cbranch_vccnz .LBB30_21
; %bb.20:                               ;   in Loop: Header=BB30_14 Depth=1
	v_readlane_b32 s4, v255, 0
	s_nop 1
	v_mul_lo_u32 v3, v1, s4
	v_add_u32_e32 v8, v6, v3
	v_ashrrev_i32_e32 v9, 31, v8
	v_lshlrev_b64 v[8:9], 2, v[8:9]
	v_lshl_add_u64 v[8:9], s[74:75], 0, v[8:9]
	global_load_dword v3, v[8:9], off
	s_waitcnt vmcnt(0)
	v_readfirstlane_b32 s4, v3
	s_ashr_i32 s5, s4, 31
	s_lshr_b32 s5, s5, 26
	s_add_i32 s4, s4, s5
	s_ashr_i32 s4, s4, 6
	s_min_i32 s87, s87, s4
.LBB30_21:                              ;   in Loop: Header=BB30_14 Depth=1
	v_readlane_b32 s4, v255, 27
	v_readlane_b32 s36, v255, 18
	;; [unrolled: 1-line block ×3, first 2 shown]
	v_mul_lo_u32 v3, s4, v1
	v_add_u32_e32 v3, v2, v3
	v_readlane_b32 s4, v255, 12
	v_lshlrev_b32_e32 v96, 7, v3
	v_readlane_b32 s5, v255, 13
	v_mul_lo_u32 v3, s4, v4
	v_mul_hi_u32 v7, s4, v1
	v_add_u32_e32 v3, v7, v3
	v_mul_lo_u32 v7, s5, v1
	v_lshlrev_b64 v[8:9], 3, v[96:97]
	v_add_u32_e32 v153, v3, v7
	v_mul_lo_u32 v152, s4, v1
	v_mul_lo_u32 v154, v5, s39
	v_lshl_add_u64 v[140:141], s[76:77], 0, v[8:9]
	v_lshl_add_u64 v[8:9], s[68:69], 0, v[152:153]
	v_ashrrev_i32_e32 v155, 31, v154
	v_ashrrev_i32_e32 v3, 31, v2
	v_lshl_add_u64 v[144:145], v[8:9], 0, v[154:155]
	v_lshlrev_b64 v[8:9], 2, v[2:3]
	v_readlane_b32 s4, v255, 28
	v_lshl_add_u64 v[8:9], s[72:73], 0, v[8:9]
	v_readlane_b32 s5, v255, 29
	v_readlane_b32 s37, v255, 19
	v_mul_lo_u32 v156, s36, v1
	v_cndmask_b32_e64 v143, v9, 0, s[4:5]
	v_cndmask_b32_e64 v142, v8, 0, s[4:5]
	v_readlane_b32 s4, v255, 8
	v_readlane_b32 s5, v255, 9
	v_lshlrev_b32_e32 v238, 6, v6
	v_mul_lo_u32 v2, v2, s4
	v_mul_lo_u32 v8, v1, s5
	v_ashrrev_i32_e32 v9, 31, v8
	v_lshl_add_u64 v[8:9], s[64:65], 0, v[8:9]
	v_ashrrev_i32_e32 v3, 31, v2
	v_lshl_add_u64 v[160:161], v[8:9], 0, v[2:3]
	v_mul_lo_u32 v2, s36, v4
	v_mul_hi_u32 v3, s36, v1
	v_readlane_b32 s4, v255, 16
	v_add_u32_e32 v2, v3, v2
	v_mul_lo_u32 v3, s37, v1
	v_readlane_b32 s5, v255, 17
	v_add_u32_e32 v157, v2, v3
	v_lshl_add_u64 v[2:3], s[66:67], 0, v[156:157]
	v_mul_lo_u32 v158, v5, s5
	v_ashrrev_i32_e32 v159, 31, v158
	v_lshl_add_u64 v[150:151], v[2:3], 0, v[158:159]
	s_cmp_lg_u32 s40, 0
	v_add_u32_e32 v237, v123, v238
	v_readlane_b32 s38, v255, 20
	s_cbranch_scc0 .LBB30_99
; %bb.22:                               ;   in Loop: Header=BB30_14 Depth=1
	v_cmp_le_i32_e32 vcc, s80, v237
	s_and_saveexec_b64 s[4:5], vcc
	s_xor_b64 s[4:5], exec, s[4:5]
; %bb.23:                               ;   in Loop: Header=BB30_14 Depth=1
	v_add_u32_e32 v1, v198, v245
	ds_write2st64_b32 v1, v97, v97 offset1:1
; %bb.24:                               ;   in Loop: Header=BB30_14 Depth=1
	s_andn2_saveexec_b64 s[4:5], s[4:5]
	s_cbranch_execz .LBB30_26
; %bb.25:                               ;   in Loop: Header=BB30_14 Depth=1
	v_mad_u64_u32 v[2:3], s[36:37], v237, s42, v[94:95]
	v_ashrrev_i32_e32 v3, 31, v2
	v_lshl_add_u64 v[2:3], v[2:3], 3, v[160:161]
	global_load_dwordx2 v[4:5], v[2:3], off
	s_waitcnt vmcnt(0)
	v_cvt_pk_f16_f32 v1, v4, v5
	global_load_dwordx2 v[2:3], v[2:3], off offset:512
	v_pk_mul_f16 v1, v1, v250
	s_waitcnt vmcnt(0)
	v_cvt_pk_f16_f32 v2, v2, v3
	v_pk_mul_f16 v2, v2, v250
	ds_write2st64_b32 v244, v1, v2 offset1:1
.LBB30_26:                              ;   in Loop: Header=BB30_14 Depth=1
	s_or_b64 exec, exec, s[4:5]
	v_add_u32_e32 v186, v196, v238
	v_cmp_le_i32_e32 vcc, s80, v186
	s_and_saveexec_b64 s[4:5], vcc
	s_xor_b64 s[4:5], exec, s[4:5]
; %bb.27:                               ;   in Loop: Header=BB30_14 Depth=1
	v_add_u32_e32 v1, v198, v245
	v_add_u32_e32 v1, 0x80, v1
	ds_write2st64_b32 v1, v97, v97 offset0:16 offset1:17
; %bb.28:                               ;   in Loop: Header=BB30_14 Depth=1
	s_andn2_saveexec_b64 s[4:5], s[4:5]
	s_cbranch_execz .LBB30_30
; %bb.29:                               ;   in Loop: Header=BB30_14 Depth=1
	v_mad_u64_u32 v[2:3], s[36:37], v186, s42, v[94:95]
	v_ashrrev_i32_e32 v3, 31, v2
	v_lshl_add_u64 v[2:3], v[2:3], 3, v[160:161]
	global_load_dwordx2 v[4:5], v[2:3], off
	s_waitcnt vmcnt(0)
	v_cvt_pk_f16_f32 v1, v4, v5
	global_load_dwordx2 v[2:3], v[2:3], off offset:512
	v_pk_mul_f16 v1, v1, v250
	s_waitcnt vmcnt(0)
	v_cvt_pk_f16_f32 v2, v2, v3
	v_pk_mul_f16 v2, v2, v250
	ds_write2st64_b32 v243, v1, v2 offset1:1
.LBB30_30:                              ;   in Loop: Header=BB30_14 Depth=1
	s_or_b64 exec, exec, s[4:5]
	v_add_u32_e32 v187, v195, v238
	v_cmp_le_i32_e32 vcc, s80, v187
	s_and_saveexec_b64 s[4:5], vcc
	s_xor_b64 s[4:5], exec, s[4:5]
; %bb.31:                               ;   in Loop: Header=BB30_14 Depth=1
	v_add_u32_e32 v1, v198, v245
	ds_write2st64_b32 v1, v97, v97 offset0:33 offset1:34
; %bb.32:                               ;   in Loop: Header=BB30_14 Depth=1
	s_andn2_saveexec_b64 s[4:5], s[4:5]
	s_cbranch_execz .LBB30_34
; %bb.33:                               ;   in Loop: Header=BB30_14 Depth=1
	v_mad_u64_u32 v[2:3], s[36:37], v187, s42, v[94:95]
	v_ashrrev_i32_e32 v3, 31, v2
	v_lshl_add_u64 v[2:3], v[2:3], 3, v[160:161]
	global_load_dwordx2 v[4:5], v[2:3], off
	s_waitcnt vmcnt(0)
	v_cvt_pk_f16_f32 v1, v4, v5
	global_load_dwordx2 v[2:3], v[2:3], off offset:512
	v_pk_mul_f16 v1, v1, v250
	s_waitcnt vmcnt(0)
	v_cvt_pk_f16_f32 v2, v2, v3
	v_pk_mul_f16 v2, v2, v250
	ds_write2st64_b32 v215, v1, v2 offset1:1
.LBB30_34:                              ;   in Loop: Header=BB30_14 Depth=1
	s_or_b64 exec, exec, s[4:5]
	v_add_u32_e32 v189, v194, v238
	v_cmp_le_i32_e32 vcc, s80, v189
	s_and_saveexec_b64 s[4:5], vcc
	s_xor_b64 s[4:5], exec, s[4:5]
; %bb.35:                               ;   in Loop: Header=BB30_14 Depth=1
	v_add_u32_e32 v1, v198, v245
	v_add_u32_e32 v1, 0x80, v1
	ds_write2st64_b32 v1, v97, v97 offset0:49 offset1:50
; %bb.36:                               ;   in Loop: Header=BB30_14 Depth=1
	s_andn2_saveexec_b64 s[4:5], s[4:5]
	s_cbranch_execz .LBB30_38
; %bb.37:                               ;   in Loop: Header=BB30_14 Depth=1
	v_mad_u64_u32 v[2:3], s[36:37], v189, s42, v[94:95]
	v_ashrrev_i32_e32 v3, 31, v2
	v_lshl_add_u64 v[2:3], v[2:3], 3, v[160:161]
	global_load_dwordx2 v[4:5], v[2:3], off
	s_waitcnt vmcnt(0)
	v_cvt_pk_f16_f32 v1, v4, v5
	global_load_dwordx2 v[2:3], v[2:3], off offset:512
	v_pk_mul_f16 v1, v1, v250
	s_waitcnt vmcnt(0)
	v_cvt_pk_f16_f32 v2, v2, v3
	v_pk_mul_f16 v2, v2, v250
	ds_write2st64_b32 v242, v1, v2 offset1:1
.LBB30_38:                              ;   in Loop: Header=BB30_14 Depth=1
	s_or_b64 exec, exec, s[4:5]
	v_add_u32_e32 v188, v193, v238
	v_cmp_le_i32_e32 vcc, s80, v188
	s_and_saveexec_b64 s[4:5], vcc
	s_xor_b64 s[4:5], exec, s[4:5]
; %bb.39:                               ;   in Loop: Header=BB30_14 Depth=1
	v_add_u32_e32 v1, v198, v245
	ds_write2st64_b32 v1, v97, v97 offset0:66 offset1:67
	;; [unrolled: 51-line block ×3, first 2 shown]
; %bb.48:                               ;   in Loop: Header=BB30_14 Depth=1
	s_andn2_saveexec_b64 s[4:5], s[4:5]
	s_cbranch_execz .LBB30_50
; %bb.49:                               ;   in Loop: Header=BB30_14 Depth=1
	v_mad_u64_u32 v[2:3], s[36:37], v197, s42, v[94:95]
	v_ashrrev_i32_e32 v3, 31, v2
	v_lshl_add_u64 v[2:3], v[2:3], 3, v[160:161]
	global_load_dwordx2 v[4:5], v[2:3], off
	s_waitcnt vmcnt(0)
	v_cvt_pk_f16_f32 v1, v4, v5
	global_load_dwordx2 v[2:3], v[2:3], off offset:512
	v_pk_mul_f16 v1, v1, v250
	s_waitcnt vmcnt(0)
	v_cvt_pk_f16_f32 v2, v2, v3
	v_pk_mul_f16 v2, v2, v250
	ds_write2st64_b32 v221, v1, v2 offset1:1
.LBB30_50:                              ;   in Loop: Header=BB30_14 Depth=1
	s_or_b64 exec, exec, s[4:5]
	v_add_u32_e32 v190, v95, v238
	v_cmp_le_i32_e32 vcc, s80, v190
	s_and_saveexec_b64 s[4:5], vcc
	s_xor_b64 s[4:5], exec, s[4:5]
; %bb.51:                               ;   in Loop: Header=BB30_14 Depth=1
	v_add_u32_e32 v1, v198, v245
	v_add_u32_e32 v1, 0x80, v1
	ds_write2st64_b32 v1, v97, v97 offset0:115 offset1:116
; %bb.52:                               ;   in Loop: Header=BB30_14 Depth=1
	s_andn2_saveexec_b64 s[4:5], s[4:5]
	s_cbranch_execz .LBB30_54
; %bb.53:                               ;   in Loop: Header=BB30_14 Depth=1
	v_mad_u64_u32 v[2:3], s[36:37], v190, s42, v[94:95]
	v_ashrrev_i32_e32 v3, 31, v2
	v_lshl_add_u64 v[2:3], v[2:3], 3, v[160:161]
	global_load_dwordx2 v[4:5], v[2:3], off
	s_waitcnt vmcnt(0)
	v_cvt_pk_f16_f32 v1, v4, v5
	global_load_dwordx2 v[2:3], v[2:3], off offset:512
	v_pk_mul_f16 v1, v1, v250
	s_waitcnt vmcnt(0)
	v_cvt_pk_f16_f32 v2, v2, v3
	v_pk_mul_f16 v2, v2, v250
	ds_write2st64_b32 v222, v1, v2 offset1:1
.LBB30_54:                              ;   in Loop: Header=BB30_14 Depth=1
	s_or_b64 exec, exec, s[4:5]
	s_waitcnt lgkmcnt(0)
	s_barrier
	ds_read2_b64 v[30:33], v199 offset1:4
	ds_read2_b64 v[26:29], v199 offset0:8 offset1:12
	ds_read2_b64 v[22:25], v199 offset0:16 offset1:20
	;; [unrolled: 1-line block ×7, first 2 shown]
	s_add_i32 s41, s87, -1
	s_cmp_ge_i32 s40, s41
	s_waitcnt lgkmcnt(0)
	s_barrier
	s_cbranch_scc1 .LBB30_100
; %bb.55:                               ;   in Loop: Header=BB30_14 Depth=1
	v_mul_hi_u32 v1, s98, v237
	v_add_u32_e32 v1, v237, v1
	v_lshrrev_b32_e32 v1, s99, v1
	v_mul_lo_u32 v1, v1, s80
	v_sub_u32_e32 v1, v237, v1
	v_mad_i64_i32 v[164:165], s[4:5], v1, s62, 0
	v_mul_hi_u32 v1, s98, v186
	v_add_u32_e32 v1, v186, v1
	v_lshrrev_b32_e32 v1, s99, v1
	v_mul_lo_u32 v1, v1, s80
	v_sub_u32_e32 v1, v186, v1
	v_mad_i64_i32 v[166:167], s[4:5], v1, s62, 0
	;; [unrolled: 6-line block ×8, first 2 shown]
	v_and_b32_e32 v1, 64, v249
	v_add_u32_e32 v1, 64, v1
	v_xor_b32_e32 v34, 32, v249
	v_cmp_lt_i32_e32 vcc, v34, v1
	v_lshlrev_b32_e32 v96, 1, v94
	v_cmp_ne_u64_e64 s[36:37], 0, v[148:149]
	v_cndmask_b32_e32 v34, v249, v34, vcc
	v_lshlrev_b32_e32 v191, 2, v34
	v_xor_b32_e32 v34, 16, v249
	v_cmp_lt_i32_e32 vcc, v34, v1
	v_lshl_add_u64 v[162:163], v[148:149], 0, v[96:97]
	v_mov_b32_e32 v180, v146
	v_cndmask_b32_e32 v1, v249, v34, vcc
	v_lshlrev_b32_e32 v209, 2, v1
	v_mov_b32_e32 v181, v146
	s_lshl_b32 s38, s40, 6
	v_mov_b32_e32 v124, 0
	v_mov_b32_e32 v80, 0xfeffffff
	;; [unrolled: 1-line block ×34, first 2 shown]
	s_andn2_b64 vcc, exec, s[36:37]
	s_ashr_i32 s39, s38, 31
	s_cbranch_vccnz .LBB30_61
.LBB30_56:                              ;   in Loop: Header=BB30_14 Depth=1
	s_and_saveexec_b64 s[4:5], s[0:1]
	s_xor_b64 s[4:5], exec, s[4:5]
	s_cbranch_execz .LBB30_58
; %bb.57:                               ;   in Loop: Header=BB30_14 Depth=1
	v_add_u32_e32 v1, v251, v252
	ds_write_b16 v1, v97 offset:33792
	ds_write_b16 v1, v97 offset:34944
	;; [unrolled: 1-line block ×4, first 2 shown]
.LBB30_58:                              ;   in Loop: Header=BB30_14 Depth=1
	s_or_saveexec_b64 s[4:5], s[4:5]
	v_mov_b32_e32 v1, 0
	v_mov_b32_e32 v34, 0
	;; [unrolled: 1-line block ×4, first 2 shown]
	s_xor_b64 exec, exec, s[4:5]
	s_cbranch_execz .LBB30_60
; %bb.59:                               ;   in Loop: Header=BB30_14 Depth=1
	v_lshl_add_u64 v[36:37], s[38:39], 1, v[162:163]
	v_lshl_add_u64 v[34:35], v[164:165], 1, v[36:37]
	global_load_ushort v1, v[34:35], off
	v_lshl_add_u64 v[34:35], v[166:167], 1, v[36:37]
	global_load_ushort v38, v[34:35], off
	;; [unrolled: 2-line block ×4, first 2 shown]
	v_add_u32_e32 v35, v251, v252
	s_waitcnt vmcnt(3)
	ds_write_b16 v35, v1 offset:33792
	s_waitcnt vmcnt(2)
	ds_write_b16 v35, v38 offset:34944
	;; [unrolled: 2-line block ×4, first 2 shown]
	v_lshl_add_u64 v[34:35], v[172:173], 1, v[36:37]
	global_load_ushort v1, v[34:35], off
	v_lshl_add_u64 v[34:35], v[174:175], 1, v[36:37]
	v_lshl_add_u64 v[38:39], v[176:177], 1, v[36:37]
	;; [unrolled: 1-line block ×3, first 2 shown]
	global_load_ushort v34, v[34:35], off
	s_nop 0
	global_load_ushort v36, v[36:37], off
	s_nop 0
	global_load_ushort v35, v[38:39], off
.LBB30_60:                              ;   in Loop: Header=BB30_14 Depth=1
	s_or_b64 exec, exec, s[4:5]
	v_add_u32_e32 v37, v251, v252
	s_waitcnt vmcnt(3)
	ds_write_b16 v37, v1 offset:38400
	s_waitcnt vmcnt(2)
	ds_write_b16 v37, v34 offset:39552
	;; [unrolled: 2-line block ×3, first 2 shown]
	ds_write_b16 v37, v36 offset:41856
.LBB30_61:                              ;   Parent Loop BB30_14 Depth=1
                                        ; =>  This Inner Loop Header: Depth=2
	s_mul_hi_i32 s5, s38, s96
	s_mul_i32 s4, s38, s96
	s_lshl_b64 s[4:5], s[4:5], 2
	v_lshl_add_u64 v[34:35], v[150:151], 0, s[4:5]
	v_lshl_add_u64 v[36:37], v[100:101], 2, v[34:35]
	v_lshlrev_b32_e32 v96, 2, v98
	v_lshl_add_u64 v[36:37], v[36:37], 0, v[96:97]
	v_mov_b32_e32 v1, s31
	v_lshl_add_u64 v[38:39], v[102:103], 2, v[34:35]
	v_lshl_add_u64 v[40:41], v[104:105], 2, v[34:35]
	v_lshl_add_u64 v[34:35], v[106:107], 2, v[34:35]
	v_cndmask_b32_e64 v37, v1, v37, s[52:53]
	v_cndmask_b32_e64 v36, v211, v36, s[52:53]
	v_lshl_add_u64 v[34:35], v[34:35], 0, v[96:97]
	scratch_store_dwordx4 off, v[130:133], off
	v_cndmask_b32_e64 v43, v1, v35, s[12:13]
	v_cndmask_b32_e64 v42, v211, v34, s[12:13]
	flat_load_dwordx4 v[34:37], v[36:37]
	v_lshl_add_u64 v[38:39], v[38:39], 0, v[96:97]
	v_cndmask_b32_e64 v39, v1, v39, s[8:9]
	v_cndmask_b32_e64 v38, v211, v38, s[8:9]
	v_lshl_add_u64 v[40:41], v[40:41], 0, v[96:97]
	v_cndmask_b32_e64 v41, v1, v41, s[10:11]
	v_cndmask_b32_e64 v40, v211, v40, s[10:11]
	v_add_u32_e32 v1, 0x4000, v202
	s_waitcnt vmcnt(0) lgkmcnt(0)
	ds_write_b128 v201, v[34:37]
	flat_load_dwordx4 v[34:37], v[38:39]
	s_waitcnt vmcnt(0) lgkmcnt(0)
	ds_write_b128 v254, v[34:37]
	flat_load_dwordx4 v[34:37], v[40:41]
	;; [unrolled: 3-line block ×3, first 2 shown]
	s_waitcnt vmcnt(0) lgkmcnt(0)
	ds_write_b128 v246, v[34:37]
	s_waitcnt lgkmcnt(0)
	s_barrier
	ds_read2_b64 v[34:37], v202 offset1:4
	s_waitcnt lgkmcnt(0)
	v_mfma_f32_16x16x16_f16 v[38:41], v[34:35], v[30:31], 0
	v_mfma_f32_16x16x16_f16 v[34:37], v[36:37], v[32:33], v[38:41]
	s_nop 6
	ds_read2_b64 v[38:41], v202 offset0:8 offset1:12
	s_waitcnt lgkmcnt(0)
	v_mfma_f32_16x16x16_f16 v[34:37], v[38:39], v[26:27], v[34:37]
	v_mfma_f32_16x16x16_f16 v[34:37], v[40:41], v[28:29], v[34:37]
	ds_read2_b64 v[38:41], v202 offset0:16 offset1:20
	s_waitcnt lgkmcnt(0)
	v_mfma_f32_16x16x16_f16 v[34:37], v[38:39], v[22:23], v[34:37]
	v_mfma_f32_16x16x16_f16 v[34:37], v[40:41], v[24:25], v[34:37]
	ds_read2_b64 v[38:41], v202 offset0:24 offset1:28
	s_waitcnt lgkmcnt(0)
	v_mfma_f32_16x16x16_f16 v[34:37], v[38:39], v[18:19], v[34:37]
	v_mfma_f32_16x16x16_f16 v[34:37], v[40:41], v[20:21], v[34:37]
	ds_read2_b64 v[38:41], v202 offset0:32 offset1:36
	s_waitcnt lgkmcnt(0)
	v_mfma_f32_16x16x16_f16 v[34:37], v[38:39], v[14:15], v[34:37]
	v_mfma_f32_16x16x16_f16 v[34:37], v[40:41], v[16:17], v[34:37]
	ds_read2_b64 v[38:41], v202 offset0:40 offset1:44
	s_waitcnt lgkmcnt(0)
	v_mfma_f32_16x16x16_f16 v[34:37], v[38:39], v[10:11], v[34:37]
	v_mfma_f32_16x16x16_f16 v[34:37], v[40:41], v[12:13], v[34:37]
	ds_read2_b64 v[38:41], v202 offset0:48 offset1:52
	s_waitcnt lgkmcnt(0)
	v_mfma_f32_16x16x16_f16 v[34:37], v[38:39], v[6:7], v[34:37]
	v_mfma_f32_16x16x16_f16 v[34:37], v[40:41], v[8:9], v[34:37]
	ds_read2_b64 v[38:41], v202 offset0:56 offset1:60
	s_waitcnt lgkmcnt(0)
	v_mfma_f32_16x16x16_f16 v[34:37], v[38:39], v[2:3], v[34:37]
	v_mfma_f32_16x16x16_f16 v[34:37], v[40:41], v[4:5], v[34:37]
	ds_read2_b64 v[38:41], v1 offset0:64 offset1:68
	s_waitcnt lgkmcnt(0)
	v_mfma_f32_16x16x16_f16 v[42:45], v[38:39], v[30:31], 0
	s_nop 4
	v_cmp_nlt_f32_e64 s[4:5], |v34|, s2
	v_mfma_f32_16x16x16_f16 v[38:41], v[40:41], v[32:33], v[42:45]
	s_nop 2
	ds_read2_b64 v[42:45], v1 offset0:72 offset1:76
	s_waitcnt lgkmcnt(0)
	v_mfma_f32_16x16x16_f16 v[38:41], v[42:43], v[26:27], v[38:41]
	v_mfma_f32_16x16x16_f16 v[38:41], v[44:45], v[28:29], v[38:41]
	ds_read2_b64 v[42:45], v1 offset0:80 offset1:84
	s_waitcnt lgkmcnt(0)
	v_mfma_f32_16x16x16_f16 v[38:41], v[42:43], v[22:23], v[38:41]
	v_mfma_f32_16x16x16_f16 v[38:41], v[44:45], v[24:25], v[38:41]
	;; [unrolled: 4-line block ×6, first 2 shown]
	ds_read2_b64 v[42:45], v1 offset0:120 offset1:124
	s_waitcnt lgkmcnt(0)
	s_barrier
	v_mfma_f32_16x16x16_f16 v[38:41], v[42:43], v[2:3], v[38:41]
                                        ; implicit-def: $vgpr1
	v_mfma_f32_16x16x16_f16 v[38:41], v[44:45], v[4:5], v[38:41]
	s_and_saveexec_b64 s[42:43], s[4:5]
	s_xor_b64 s[4:5], exec, s[42:43]
	s_cbranch_execz .LBB30_63
; %bb.62:                               ;   in Loop: Header=BB30_61 Depth=2
	v_add_f32_e64 v1, |v34|, |v34|
	v_mul_f32_e32 v42, 0x3fb8aa3b, v1
	v_rndne_f32_e32 v43, v42
	v_sub_f32_e32 v44, v42, v43
	v_fma_f32 v42, v1, s3, -v42
	v_fmac_f32_e32 v42, 0x32a5705f, v1
	v_add_f32_e32 v42, v44, v42
	v_cvt_i32_f32_e32 v43, v43
	v_exp_f32_e32 v42, v42
	v_cmp_ngt_f32_e32 vcc, s30, v1
	v_ldexp_f32 v42, v42, v43
	s_nop 0
	v_cndmask_b32_e32 v42, 0, v42, vcc
	v_cmp_nlt_f32_e32 vcc, s81, v1
	s_nop 1
	v_cndmask_b32_e32 v1, v213, v42, vcc
	v_add_f32_e32 v1, 1.0, v1
	v_rcp_f32_e32 v1, v1
	s_nop 0
	v_fma_f32 v1, v1, -2.0, 1.0
.LBB30_63:                              ;   in Loop: Header=BB30_61 Depth=2
	s_andn2_saveexec_b64 s[4:5], s[4:5]
; %bb.64:                               ;   in Loop: Header=BB30_61 Depth=2
	v_mul_f32_e32 v1, v34, v34
	v_fmamk_f32 v42, v1, 0xbbbac73d, v214
	v_fmaak_f32 v42, v1, v42, 0xbd5c1c4e
	v_fmaak_f32 v42, v1, v42, 0x3e088382
	;; [unrolled: 1-line block ×3, first 2 shown]
	v_mul_f32_e64 v42, |v34|, v42
	v_fma_f32 v1, v1, v42, |v34|
; %bb.65:                               ;   in Loop: Header=BB30_61 Depth=2
	s_or_b64 exec, exec, s[4:5]
	v_cmp_nlt_f32_e64 s[4:5], |v35|, s2
                                        ; implicit-def: $vgpr42
	s_and_saveexec_b64 s[42:43], s[4:5]
	s_xor_b64 s[4:5], exec, s[42:43]
	s_cbranch_execz .LBB30_67
; %bb.66:                               ;   in Loop: Header=BB30_61 Depth=2
	v_add_f32_e64 v42, |v35|, |v35|
	v_mul_f32_e32 v43, 0x3fb8aa3b, v42
	v_rndne_f32_e32 v44, v43
	v_sub_f32_e32 v45, v43, v44
	v_fma_f32 v43, v42, s3, -v43
	v_fmac_f32_e32 v43, 0x32a5705f, v42
	v_add_f32_e32 v43, v45, v43
	v_cvt_i32_f32_e32 v44, v44
	v_exp_f32_e32 v43, v43
	v_cmp_ngt_f32_e32 vcc, s30, v42
	v_ldexp_f32 v43, v43, v44
	s_nop 0
	v_cndmask_b32_e32 v43, 0, v43, vcc
	v_cmp_nlt_f32_e32 vcc, s81, v42
	s_nop 1
	v_cndmask_b32_e32 v42, v213, v43, vcc
	v_add_f32_e32 v42, 1.0, v42
	v_rcp_f32_e32 v42, v42
	s_nop 0
	v_fma_f32 v42, v42, -2.0, 1.0
.LBB30_67:                              ;   in Loop: Header=BB30_61 Depth=2
	s_andn2_saveexec_b64 s[4:5], s[4:5]
; %bb.68:                               ;   in Loop: Header=BB30_61 Depth=2
	v_mul_f32_e32 v42, v35, v35
	v_fmamk_f32 v43, v42, 0xbbbac73d, v214
	v_fmaak_f32 v43, v42, v43, 0xbd5c1c4e
	v_fmaak_f32 v43, v42, v43, 0x3e088382
	;; [unrolled: 1-line block ×3, first 2 shown]
	v_mul_f32_e64 v43, |v35|, v43
	v_fma_f32 v42, v42, v43, |v35|
; %bb.69:                               ;   in Loop: Header=BB30_61 Depth=2
	s_or_b64 exec, exec, s[4:5]
	v_cmp_nlt_f32_e64 s[4:5], |v36|, s2
                                        ; implicit-def: $vgpr43
	s_and_saveexec_b64 s[42:43], s[4:5]
	s_xor_b64 s[4:5], exec, s[42:43]
	s_cbranch_execz .LBB30_71
; %bb.70:                               ;   in Loop: Header=BB30_61 Depth=2
	v_add_f32_e64 v43, |v36|, |v36|
	v_mul_f32_e32 v44, 0x3fb8aa3b, v43
	v_rndne_f32_e32 v45, v44
	v_sub_f32_e32 v46, v44, v45
	v_fma_f32 v44, v43, s3, -v44
	v_fmac_f32_e32 v44, 0x32a5705f, v43
	v_add_f32_e32 v44, v46, v44
	v_cvt_i32_f32_e32 v45, v45
	v_exp_f32_e32 v44, v44
	v_cmp_ngt_f32_e32 vcc, s30, v43
	v_ldexp_f32 v44, v44, v45
	s_nop 0
	v_cndmask_b32_e32 v44, 0, v44, vcc
	v_cmp_nlt_f32_e32 vcc, s81, v43
	s_nop 1
	v_cndmask_b32_e32 v43, v213, v44, vcc
	v_add_f32_e32 v43, 1.0, v43
	v_rcp_f32_e32 v43, v43
	s_nop 0
	v_fma_f32 v43, v43, -2.0, 1.0
.LBB30_71:                              ;   in Loop: Header=BB30_61 Depth=2
	s_andn2_saveexec_b64 s[4:5], s[4:5]
; %bb.72:                               ;   in Loop: Header=BB30_61 Depth=2
	v_mul_f32_e32 v43, v36, v36
	v_fmamk_f32 v44, v43, 0xbbbac73d, v214
	v_fmaak_f32 v44, v43, v44, 0xbd5c1c4e
	v_fmaak_f32 v44, v43, v44, 0x3e088382
	;; [unrolled: 1-line block ×3, first 2 shown]
	v_mul_f32_e64 v44, |v36|, v44
	v_fma_f32 v43, v43, v44, |v36|
; %bb.73:                               ;   in Loop: Header=BB30_61 Depth=2
	s_or_b64 exec, exec, s[4:5]
	v_cmp_nlt_f32_e64 s[4:5], |v37|, s2
                                        ; implicit-def: $vgpr44
	s_and_saveexec_b64 s[42:43], s[4:5]
	s_xor_b64 s[4:5], exec, s[42:43]
	s_cbranch_execz .LBB30_75
; %bb.74:                               ;   in Loop: Header=BB30_61 Depth=2
	v_add_f32_e64 v44, |v37|, |v37|
	v_mul_f32_e32 v45, 0x3fb8aa3b, v44
	v_rndne_f32_e32 v46, v45
	v_sub_f32_e32 v47, v45, v46
	v_fma_f32 v45, v44, s3, -v45
	v_fmac_f32_e32 v45, 0x32a5705f, v44
	v_add_f32_e32 v45, v47, v45
	v_cvt_i32_f32_e32 v46, v46
	v_exp_f32_e32 v45, v45
	v_cmp_ngt_f32_e32 vcc, s30, v44
	v_ldexp_f32 v45, v45, v46
	s_nop 0
	v_cndmask_b32_e32 v45, 0, v45, vcc
	v_cmp_nlt_f32_e32 vcc, s81, v44
	s_nop 1
	v_cndmask_b32_e32 v44, v213, v45, vcc
	v_add_f32_e32 v44, 1.0, v44
	v_rcp_f32_e32 v44, v44
	s_nop 0
	v_fma_f32 v44, v44, -2.0, 1.0
.LBB30_75:                              ;   in Loop: Header=BB30_61 Depth=2
	s_andn2_saveexec_b64 s[4:5], s[4:5]
; %bb.76:                               ;   in Loop: Header=BB30_61 Depth=2
	v_mul_f32_e32 v44, v37, v37
	v_fmamk_f32 v45, v44, 0xbbbac73d, v214
	v_fmaak_f32 v45, v44, v45, 0xbd5c1c4e
	v_fmaak_f32 v45, v44, v45, 0x3e088382
	;; [unrolled: 1-line block ×3, first 2 shown]
	v_mul_f32_e64 v45, |v37|, v45
	v_fma_f32 v44, v44, v45, |v37|
; %bb.77:                               ;   in Loop: Header=BB30_61 Depth=2
	s_or_b64 exec, exec, s[4:5]
	v_cmp_nlt_f32_e64 s[4:5], |v38|, s2
                                        ; implicit-def: $vgpr45
	s_and_saveexec_b64 s[42:43], s[4:5]
	s_xor_b64 s[4:5], exec, s[42:43]
	s_cbranch_execz .LBB30_79
; %bb.78:                               ;   in Loop: Header=BB30_61 Depth=2
	v_add_f32_e64 v45, |v38|, |v38|
	v_mul_f32_e32 v46, 0x3fb8aa3b, v45
	v_rndne_f32_e32 v47, v46
	v_sub_f32_e32 v48, v46, v47
	v_fma_f32 v46, v45, s3, -v46
	v_fmac_f32_e32 v46, 0x32a5705f, v45
	v_add_f32_e32 v46, v48, v46
	v_cvt_i32_f32_e32 v47, v47
	v_exp_f32_e32 v46, v46
	v_cmp_ngt_f32_e32 vcc, s30, v45
	v_ldexp_f32 v46, v46, v47
	s_nop 0
	v_cndmask_b32_e32 v46, 0, v46, vcc
	v_cmp_nlt_f32_e32 vcc, s81, v45
	s_nop 1
	v_cndmask_b32_e32 v45, v213, v46, vcc
	v_add_f32_e32 v45, 1.0, v45
	v_rcp_f32_e32 v45, v45
	s_nop 0
	v_fma_f32 v45, v45, -2.0, 1.0
.LBB30_79:                              ;   in Loop: Header=BB30_61 Depth=2
	s_andn2_saveexec_b64 s[4:5], s[4:5]
; %bb.80:                               ;   in Loop: Header=BB30_61 Depth=2
	v_mul_f32_e32 v45, v38, v38
	v_fmamk_f32 v46, v45, 0xbbbac73d, v214
	v_fmaak_f32 v46, v45, v46, 0xbd5c1c4e
	v_fmaak_f32 v46, v45, v46, 0x3e088382
	;; [unrolled: 1-line block ×3, first 2 shown]
	v_mul_f32_e64 v46, |v38|, v46
	v_fma_f32 v45, v45, v46, |v38|
; %bb.81:                               ;   in Loop: Header=BB30_61 Depth=2
	s_or_b64 exec, exec, s[4:5]
	v_cmp_nlt_f32_e64 s[4:5], |v39|, s2
                                        ; implicit-def: $vgpr47
	s_and_saveexec_b64 s[42:43], s[4:5]
	s_xor_b64 s[4:5], exec, s[42:43]
	s_cbranch_execz .LBB30_83
; %bb.82:                               ;   in Loop: Header=BB30_61 Depth=2
	v_add_f32_e64 v46, |v39|, |v39|
	v_mul_f32_e32 v47, 0x3fb8aa3b, v46
	v_rndne_f32_e32 v48, v47
	v_sub_f32_e32 v49, v47, v48
	v_fma_f32 v47, v46, s3, -v47
	v_fmac_f32_e32 v47, 0x32a5705f, v46
	v_add_f32_e32 v47, v49, v47
	v_cvt_i32_f32_e32 v48, v48
	v_exp_f32_e32 v47, v47
	v_cmp_ngt_f32_e32 vcc, s30, v46
	v_ldexp_f32 v47, v47, v48
	s_nop 0
	v_cndmask_b32_e32 v47, 0, v47, vcc
	v_cmp_nlt_f32_e32 vcc, s81, v46
	s_nop 1
	v_cndmask_b32_e32 v46, v213, v47, vcc
	v_add_f32_e32 v46, 1.0, v46
	v_rcp_f32_e32 v46, v46
	s_nop 0
	v_fma_f32 v47, v46, -2.0, 1.0
.LBB30_83:                              ;   in Loop: Header=BB30_61 Depth=2
	s_andn2_saveexec_b64 s[4:5], s[4:5]
; %bb.84:                               ;   in Loop: Header=BB30_61 Depth=2
	v_mul_f32_e32 v46, v39, v39
	v_fmamk_f32 v47, v46, 0xbbbac73d, v214
	v_fmaak_f32 v47, v46, v47, 0xbd5c1c4e
	v_fmaak_f32 v47, v46, v47, 0x3e088382
	;; [unrolled: 1-line block ×3, first 2 shown]
	v_mul_f32_e64 v47, |v39|, v47
	v_fma_f32 v47, v46, v47, |v39|
; %bb.85:                               ;   in Loop: Header=BB30_61 Depth=2
	s_or_b64 exec, exec, s[4:5]
	v_cmp_nlt_f32_e64 s[4:5], |v40|, s2
                                        ; implicit-def: $vgpr48
	s_and_saveexec_b64 s[42:43], s[4:5]
	s_xor_b64 s[4:5], exec, s[42:43]
	s_cbranch_execz .LBB30_87
; %bb.86:                               ;   in Loop: Header=BB30_61 Depth=2
	v_add_f32_e64 v46, |v40|, |v40|
	v_mul_f32_e32 v48, 0x3fb8aa3b, v46
	v_rndne_f32_e32 v49, v48
	v_sub_f32_e32 v50, v48, v49
	v_fma_f32 v48, v46, s3, -v48
	v_fmac_f32_e32 v48, 0x32a5705f, v46
	v_add_f32_e32 v48, v50, v48
	v_cvt_i32_f32_e32 v49, v49
	v_exp_f32_e32 v48, v48
	v_cmp_ngt_f32_e32 vcc, s30, v46
	v_ldexp_f32 v48, v48, v49
	s_nop 0
	v_cndmask_b32_e32 v48, 0, v48, vcc
	v_cmp_nlt_f32_e32 vcc, s81, v46
	s_nop 1
	v_cndmask_b32_e32 v46, v213, v48, vcc
	v_add_f32_e32 v46, 1.0, v46
	v_rcp_f32_e32 v46, v46
	s_nop 0
	v_fma_f32 v48, v46, -2.0, 1.0
.LBB30_87:                              ;   in Loop: Header=BB30_61 Depth=2
	s_andn2_saveexec_b64 s[4:5], s[4:5]
; %bb.88:                               ;   in Loop: Header=BB30_61 Depth=2
	v_mul_f32_e32 v46, v40, v40
	v_fmamk_f32 v48, v46, 0xbbbac73d, v214
	v_fmaak_f32 v48, v46, v48, 0xbd5c1c4e
	v_fmaak_f32 v48, v46, v48, 0x3e088382
	;; [unrolled: 1-line block ×3, first 2 shown]
	v_mul_f32_e64 v48, |v40|, v48
	v_fma_f32 v48, v46, v48, |v40|
; %bb.89:                               ;   in Loop: Header=BB30_61 Depth=2
	s_or_b64 exec, exec, s[4:5]
	v_cmp_nlt_f32_e64 s[4:5], |v41|, s2
                                        ; implicit-def: $vgpr49
	s_and_saveexec_b64 s[42:43], s[4:5]
	s_xor_b64 s[4:5], exec, s[42:43]
	s_cbranch_execz .LBB30_91
; %bb.90:                               ;   in Loop: Header=BB30_61 Depth=2
	v_add_f32_e64 v46, |v41|, |v41|
	v_mul_f32_e32 v49, 0x3fb8aa3b, v46
	v_rndne_f32_e32 v50, v49
	v_sub_f32_e32 v51, v49, v50
	v_fma_f32 v49, v46, s3, -v49
	v_fmac_f32_e32 v49, 0x32a5705f, v46
	v_add_f32_e32 v49, v51, v49
	v_cvt_i32_f32_e32 v50, v50
	v_exp_f32_e32 v49, v49
	v_cmp_ngt_f32_e32 vcc, s30, v46
	v_ldexp_f32 v49, v49, v50
	s_nop 0
	v_cndmask_b32_e32 v49, 0, v49, vcc
	v_cmp_nlt_f32_e32 vcc, s81, v46
	s_nop 1
	v_cndmask_b32_e32 v46, v213, v49, vcc
	v_add_f32_e32 v46, 1.0, v46
	v_rcp_f32_e32 v46, v46
	s_nop 0
	v_fma_f32 v49, v46, -2.0, 1.0
.LBB30_91:                              ;   in Loop: Header=BB30_61 Depth=2
	s_andn2_saveexec_b64 s[4:5], s[4:5]
; %bb.92:                               ;   in Loop: Header=BB30_61 Depth=2
	v_mul_f32_e32 v46, v41, v41
	v_fmamk_f32 v49, v46, 0xbbbac73d, v214
	v_fmaak_f32 v49, v46, v49, 0xbd5c1c4e
	v_fmaak_f32 v49, v46, v49, 0x3e088382
	;; [unrolled: 1-line block ×3, first 2 shown]
	v_mul_f32_e64 v49, |v41|, v49
	v_fma_f32 v49, v46, v49, |v41|
; %bb.93:                               ;   in Loop: Header=BB30_61 Depth=2
	s_or_b64 exec, exec, s[4:5]
	v_bfi_b32 v1, s86, v1, v34
	v_mul_f32_e32 v50, s93, v1
	v_bfi_b32 v1, s86, v42, v35
	v_bfi_b32 v38, s86, v45, v38
	v_mul_f32_e32 v51, s93, v1
	v_bfi_b32 v1, s86, v43, v36
	v_mul_f32_e32 v46, s93, v38
	v_bfi_b32 v38, s86, v47, v39
	v_mul_f32_e32 v52, s93, v1
	v_bfi_b32 v1, s86, v44, v37
	v_mul_f32_e32 v47, s93, v38
	v_bfi_b32 v38, s86, v48, v40
	v_mul_f32_e32 v53, s93, v1
	v_bfi_b32 v1, s86, v49, v41
	v_mul_f32_e32 v48, s93, v38
	v_mul_f32_e32 v49, s93, v1
	s_and_b64 vcc, exec, s[36:37]
	s_cbranch_vccz .LBB30_98
; %bb.94:                               ;   in Loop: Header=BB30_61 Depth=2
	v_add_u32_e32 v1, 0x8400, v226
	ds_read2_b32 v[34:35], v1 offset1:1
	ds_read_b32 v1, v228 offset:33792
	ds_read_b32 v38, v230 offset:33792
	v_mov_b32_e32 v147, v146
	s_waitcnt lgkmcnt(2)
	v_cvt_f32_f16_e32 v36, v34
	v_cvt_f32_f16_sdwa v37, v34 dst_sel:DWORD dst_unused:UNUSED_PAD src0_sel:WORD_1
	v_cvt_f32_f16_e32 v34, v35
	v_cvt_f32_f16_sdwa v35, v35 dst_sel:DWORD dst_unused:UNUSED_PAD src0_sel:WORD_1
	s_waitcnt lgkmcnt(1)
	v_cvt_f32_f16_sdwa v41, v1 dst_sel:DWORD dst_unused:UNUSED_PAD src0_sel:WORD_1
	s_waitcnt lgkmcnt(0)
	v_cvt_f32_f16_sdwa v43, v38 dst_sel:DWORD dst_unused:UNUSED_PAD src0_sel:WORD_1
	v_cvt_f32_f16_e32 v42, v38
	v_cvt_f32_f16_e32 v40, v1
	v_pk_fma_f32 v[38:39], v[146:147], v[34:35], v[52:53]
	v_pk_fma_f32 v[36:37], v[180:181], v[36:37], v[50:51]
	;; [unrolled: 1-line block ×4, first 2 shown]
	s_cbranch_execnz .LBB30_96
.LBB30_95:                              ;   in Loop: Header=BB30_61 Depth=2
	v_mov_b64_e32 v[42:43], v[46:47]
	v_mov_b64_e32 v[36:37], v[50:51]
	;; [unrolled: 1-line block ×4, first 2 shown]
.LBB30_96:                              ;   in Loop: Header=BB30_61 Depth=2
	v_add_f32_e32 v1, 0x40051340, v36
	v_max_f32_e32 v34, v80, v80
	v_max_f32_e32 v1, v34, v1
	v_cndmask_b32_e64 v1, v80, v1, s[14:15]
	v_add_f32_e32 v34, 0x40051340, v37
	v_max_f32_e32 v35, v1, v1
	v_max_f32_e32 v34, v35, v34
	v_cndmask_b32_e64 v1, v1, v34, s[16:17]
	;; [unrolled: 4-line block ×8, first 2 shown]
	ds_bpermute_b32 v34, v191, v1
	v_max_f32_e32 v1, v1, v1
	s_mul_hi_i32 s5, s38, s82
	s_mul_i32 s4, s38, s82
	s_lshl_b64 s[4:5], s[4:5], 2
	s_waitcnt lgkmcnt(0)
	v_max_f32_e32 v34, v34, v34
	v_max_f32_e32 v1, v1, v34
	ds_bpermute_b32 v34, v209, v1
	v_mov_b32_e32 v46, s31
	scratch_store_dwordx4 off, v[130:133], off
	s_add_i32 s40, s40, 1
	s_add_i32 s38, s38, 64
	s_waitcnt lgkmcnt(0)
	v_max_f32_e32 v34, v34, v34
	v_max_f32_e32 v120, v1, v34
	v_sub_f32_e32 v1, v36, v120
	v_mul_f32_e32 v34, 0x3fb8aa3b, v1
	v_fma_f32 v35, v1, s3, -v34
	v_rndne_f32_e32 v36, v34
	v_fmac_f32_e32 v35, 0x32a5705f, v1
	v_sub_f32_e32 v34, v34, v36
	v_add_f32_e32 v34, v34, v35
	v_exp_f32_e32 v34, v34
	v_cvt_i32_f32_e32 v35, v36
	v_cmp_ngt_f32_e32 vcc, s30, v1
	s_cmp_lt_i32 s40, s41
	v_ldexp_f32 v34, v34, v35
	v_cndmask_b32_e32 v34, 0, v34, vcc
	v_cmp_nlt_f32_e32 vcc, s81, v1
	s_nop 1
	v_cndmask_b32_e32 v1, v213, v34, vcc
	v_cndmask_b32_e64 v36, 0, v1, s[14:15]
	v_sub_f32_e32 v1, v37, v120
	v_mul_f32_e32 v34, 0x3fb8aa3b, v1
	v_fma_f32 v35, v1, s3, -v34
	v_rndne_f32_e32 v37, v34
	v_fmac_f32_e32 v35, 0x32a5705f, v1
	v_sub_f32_e32 v34, v34, v37
	v_add_f32_e32 v34, v34, v35
	v_exp_f32_e32 v34, v34
	v_cvt_i32_f32_e32 v35, v37
	v_cmp_ngt_f32_e32 vcc, s30, v1
	v_ldexp_f32 v34, v34, v35
	s_nop 0
	v_cndmask_b32_e32 v34, 0, v34, vcc
	v_cmp_nlt_f32_e32 vcc, s81, v1
	v_mov_b32_e32 v1, s95
	s_nop 0
	v_cndmask_b32_e32 v34, v213, v34, vcc
	v_add_f32_e32 v37, v34, v36
	v_cndmask_b32_e64 v35, v1, v34, s[16:17]
	v_sub_f32_e32 v34, v38, v120
	v_cndmask_b32_e64 v1, v36, v37, s[16:17]
	v_mul_f32_e32 v37, 0x3fb8aa3b, v34
	v_fma_f32 v38, v34, s3, -v37
	v_rndne_f32_e32 v40, v37
	v_fmac_f32_e32 v38, 0x32a5705f, v34
	v_sub_f32_e32 v37, v37, v40
	v_add_f32_e32 v37, v37, v38
	v_exp_f32_e32 v37, v37
	v_cvt_i32_f32_e32 v38, v40
	v_cmp_ngt_f32_e32 vcc, s30, v34
	v_cvt_pk_f16_f32 v184, v36, v35
	v_ldexp_f32 v37, v37, v38
	v_cndmask_b32_e32 v37, 0, v37, vcc
	v_cmp_nlt_f32_e32 vcc, s81, v34
	v_mov_b32_e32 v34, s95
	s_nop 0
	v_cndmask_b32_e32 v37, v213, v37, vcc
	v_cndmask_b32_e64 v40, v34, v37, s[18:19]
	v_sub_f32_e32 v34, v39, v120
	v_add_f32_e32 v38, v1, v37
	v_mul_f32_e32 v37, 0x3fb8aa3b, v34
	v_cndmask_b32_e64 v1, v1, v38, s[18:19]
	v_fma_f32 v38, v34, s3, -v37
	v_rndne_f32_e32 v39, v37
	v_fmac_f32_e32 v38, 0x32a5705f, v34
	v_sub_f32_e32 v37, v37, v39
	v_add_f32_e32 v37, v37, v38
	v_exp_f32_e32 v37, v37
	v_cvt_i32_f32_e32 v38, v39
	v_cmp_ngt_f32_e32 vcc, s30, v34
	v_ldexp_f32 v37, v37, v38
	s_nop 0
	v_cndmask_b32_e32 v37, 0, v37, vcc
	v_cmp_nlt_f32_e32 vcc, s81, v34
	s_nop 1
	v_cndmask_b32_e32 v34, v213, v37, vcc
	v_mov_b32_e32 v37, s95
	v_add_f32_e32 v38, v1, v34
	v_cndmask_b32_e64 v76, v37, v34, s[20:21]
	v_sub_f32_e32 v34, v42, v120
	v_mul_f32_e32 v37, 0x3fb8aa3b, v34
	v_cndmask_b32_e64 v1, v1, v38, s[20:21]
	v_fma_f32 v38, v34, s3, -v37
	v_rndne_f32_e32 v39, v37
	v_fmac_f32_e32 v38, 0x32a5705f, v34
	v_sub_f32_e32 v37, v37, v39
	v_add_f32_e32 v37, v37, v38
	v_exp_f32_e32 v37, v37
	v_cvt_i32_f32_e32 v38, v39
	v_cmp_ngt_f32_e32 vcc, s30, v34
	v_cvt_pk_f16_f32 v185, v40, v76
	v_ldexp_f32 v37, v37, v38
	v_cndmask_b32_e32 v37, 0, v37, vcc
	v_cmp_nlt_f32_e32 vcc, s81, v34
	v_mov_b32_e32 v34, s95
	s_nop 0
	v_cndmask_b32_e32 v37, v213, v37, vcc
	v_add_f32_e32 v38, v37, v1
	v_cndmask_b32_e64 v34, v34, v37, s[22:23]
	v_cndmask_b32_e64 v37, v1, v38, s[22:23]
	v_sub_f32_e32 v1, v43, v120
	v_mul_f32_e32 v38, 0x3fb8aa3b, v1
	v_fma_f32 v39, v1, s3, -v38
	v_rndne_f32_e32 v41, v38
	v_fmac_f32_e32 v39, 0x32a5705f, v1
	v_sub_f32_e32 v38, v38, v41
	v_add_f32_e32 v38, v38, v39
	v_exp_f32_e32 v38, v38
	v_cvt_i32_f32_e32 v39, v41
	v_cmp_ngt_f32_e32 vcc, s30, v1
	v_ldexp_f32 v38, v38, v39
	s_nop 0
	v_cndmask_b32_e32 v38, 0, v38, vcc
	v_cmp_nlt_f32_e32 vcc, s81, v1
	v_mov_b32_e32 v1, s95
	s_nop 0
	v_cndmask_b32_e32 v38, v213, v38, vcc
	v_add_f32_e32 v39, v38, v37
	v_cndmask_b32_e64 v1, v1, v38, s[24:25]
	v_sub_f32_e32 v38, v44, v120
	v_cndmask_b32_e64 v37, v37, v39, s[24:25]
	v_mul_f32_e32 v39, 0x3fb8aa3b, v38
	v_fma_f32 v41, v38, s3, -v39
	v_rndne_f32_e32 v42, v39
	v_fmac_f32_e32 v41, 0x32a5705f, v38
	v_sub_f32_e32 v39, v39, v42
	v_add_f32_e32 v39, v39, v41
	v_exp_f32_e32 v39, v39
	v_cvt_i32_f32_e32 v41, v42
	v_cmp_ngt_f32_e32 vcc, s30, v38
	v_cvt_pk_f16_f32 v182, v34, v1
	v_ldexp_f32 v39, v39, v41
	v_cndmask_b32_e32 v39, 0, v39, vcc
	v_cmp_nlt_f32_e32 vcc, s81, v38
	v_mov_b32_e32 v38, s95
	s_nop 0
	v_cndmask_b32_e32 v39, v213, v39, vcc
	v_add_f32_e32 v41, v39, v37
	v_cndmask_b32_e64 v38, v38, v39, s[26:27]
	v_cndmask_b32_e64 v39, v37, v41, s[26:27]
	v_sub_f32_e32 v37, v45, v120
	v_mul_f32_e32 v41, 0x3fb8aa3b, v37
	v_fma_f32 v42, v37, s3, -v41
	v_rndne_f32_e32 v43, v41
	v_fmac_f32_e32 v42, 0x32a5705f, v37
	v_sub_f32_e32 v41, v41, v43
	v_add_f32_e32 v41, v41, v42
	v_exp_f32_e32 v41, v41
	v_cvt_i32_f32_e32 v42, v43
	v_cmp_ngt_f32_e32 vcc, s30, v37
	v_lshl_add_u64 v[44:45], v[144:145], 0, s[4:5]
	v_ldexp_f32 v41, v41, v42
	v_cndmask_b32_e32 v41, 0, v41, vcc
	v_cmp_nlt_f32_e32 vcc, s81, v37
	v_mov_b32_e32 v37, s95
	s_nop 0
	v_cndmask_b32_e32 v41, v213, v41, vcc
	v_add_f32_e32 v42, v41, v39
	v_cndmask_b32_e64 v121, v39, v42, s[28:29]
	v_sub_f32_e32 v39, v80, v120
	v_cndmask_b32_e64 v37, v37, v41, s[28:29]
	v_mul_f32_e32 v41, 0x3fb8aa3b, v39
	v_fma_f32 v42, v39, s3, -v41
	v_rndne_f32_e32 v43, v41
	v_fmac_f32_e32 v42, 0x32a5705f, v39
	v_sub_f32_e32 v41, v41, v43
	v_add_f32_e32 v41, v41, v42
	v_exp_f32_e32 v41, v41
	v_cvt_i32_f32_e32 v42, v43
	v_cmp_ngt_f32_e32 vcc, s30, v39
	v_cvt_pk_f16_f32 v183, v38, v37
	v_ldexp_f32 v41, v41, v42
	v_cndmask_b32_e32 v41, 0, v41, vcc
	v_cmp_nlt_f32_e32 vcc, s81, v39
	s_nop 1
	v_cndmask_b32_e32 v41, v213, v41, vcc
	v_cmp_le_f32_e32 vcc, s7, v39
	s_nop 1
	v_cndmask_b32_e32 v39, 0, v41, vcc
	v_fmac_f32_e32 v121, v77, v39
	v_cvt_f16_f32_e32 v39, v39
	v_mul_u32_u24_e32 v42, 0x10001, v39
	v_pk_mul_f16 v73, v73, v42
	v_pk_mul_f16 v72, v72, v42
	v_pk_mul_f16 v41, v69, v42
	v_pk_mul_f16 v39, v68, v42
	v_pk_mul_f16 v53, v65, v42
	v_pk_mul_f16 v52, v64, v42
	v_pk_mul_f16 v49, v61, v42
	v_pk_mul_f16 v48, v60, v42
	v_pk_mul_f16 v51, v56, v42
	v_pk_mul_f16 v50, v57, v42
	v_pk_mul_f16 v55, v55, v42
	v_pk_mul_f16 v54, v54, v42
	v_pk_mul_f16 v59, v59, v42
	v_pk_mul_f16 v58, v58, v42
	v_pk_mul_f16 v63, v63, v42
	v_pk_mul_f16 v62, v62, v42
	v_pk_mul_f16 v67, v67, v42
	v_pk_mul_f16 v66, v66, v42
	v_pk_mul_f16 v71, v71, v42
	v_pk_mul_f16 v70, v70, v42
	v_pk_mul_f16 v75, v75, v42
	v_pk_mul_f16 v74, v74, v42
	v_pk_mul_f16 v79, v79, v42
	v_pk_mul_f16 v78, v78, v42
	v_pk_mul_f16 v83, v83, v42
	v_pk_mul_f16 v82, v82, v42
	v_pk_mul_f16 v87, v87, v42
	v_pk_mul_f16 v86, v86, v42
	v_pk_mul_f16 v91, v91, v42
	v_pk_mul_f16 v90, v90, v42
	v_pk_mul_f16 v125, v124, v42
	v_pk_mul_f16 v124, v126, v42
	v_lshl_add_u64 v[42:43], v[108:109], 2, v[44:45]
	v_lshl_add_u64 v[42:43], v[42:43], 0, v[96:97]
	v_cndmask_b32_e64 v57, v46, v43, s[52:53]
	v_cndmask_b32_e64 v56, v211, v42, s[52:53]
	flat_load_dwordx4 v[126:129], v[56:57]
	v_lshl_add_u64 v[42:43], v[110:111], 2, v[44:45]
	v_lshl_add_u64 v[42:43], v[42:43], 0, v[96:97]
	v_cndmask_b32_e64 v61, v46, v43, s[8:9]
	v_cndmask_b32_e64 v60, v211, v42, s[8:9]
	v_lshl_add_u64 v[42:43], v[112:113], 2, v[44:45]
	v_lshl_add_u64 v[42:43], v[42:43], 0, v[96:97]
	;; [unrolled: 1-line block ×3, first 2 shown]
	v_cndmask_b32_e64 v43, v46, v43, s[10:11]
	v_cndmask_b32_e64 v42, v211, v42, s[10:11]
	v_lshl_add_u64 v[44:45], v[44:45], 0, v[96:97]
	v_cndmask_b32_e64 v47, v46, v45, s[12:13]
	v_cndmask_b32_e64 v46, v211, v44, s[12:13]
	s_waitcnt vmcnt(0) lgkmcnt(0)
	ds_write_b128 v201, v[126:129]
	flat_load_dwordx4 v[126:129], v[60:61]
	s_waitcnt vmcnt(0) lgkmcnt(0)
	ds_write_b128 v254, v[126:129]
	flat_load_dwordx4 v[42:45], v[42:43]
	v_cvt_f32_f16_e32 v126, v49
	v_cvt_f32_f16_sdwa v127, v49 dst_sel:DWORD dst_unused:UNUSED_PAD src0_sel:WORD_1
	v_cvt_f32_f16_e32 v128, v48
	v_cvt_f32_f16_sdwa v129, v48 dst_sel:DWORD dst_unused:UNUSED_PAD src0_sel:WORD_1
	s_waitcnt vmcnt(0) lgkmcnt(0)
	ds_write_b128 v248, v[42:45]
	flat_load_dwordx4 v[42:45], v[46:47]
	s_waitcnt vmcnt(0) lgkmcnt(0)
	ds_write_b128 v246, v[42:45]
	s_waitcnt lgkmcnt(0)
	s_barrier
	ds_read_u16 v46, v204 offset:528
	ds_read_u16 v47, v204 offset:1056
	ds_read_u16 v56, v205
	ds_read_u16 v57, v205 offset:32
	v_cvt_f32_f16_e32 v42, v73
	v_cvt_f32_f16_sdwa v43, v73 dst_sel:DWORD dst_unused:UNUSED_PAD src0_sel:WORD_1
	v_cvt_f32_f16_e32 v44, v72
	s_waitcnt lgkmcnt(1)
	v_perm_b32 v47, v56, v47, s84
	ds_read_u16 v56, v204
	ds_read_u16 v60, v204 offset:32
	v_cvt_f32_f16_sdwa v45, v72 dst_sel:DWORD dst_unused:UNUSED_PAD src0_sel:WORD_1
	s_waitcnt lgkmcnt(1)
	v_perm_b32 v46, v46, v56, s84
	s_nop 1
	v_mfma_f32_16x16x16_f16 v[42:45], v[46:47], v[184:185], v[42:45]
	ds_read_u16 v46, v204 offset:16896
	ds_read_u16 v56, v204 offset:17424
	;; [unrolled: 1-line block ×6, first 2 shown]
	s_nop 1
	v_cvt_f16_f32_e32 v35, v42
	v_cvt_f16_f32_e32 v36, v43
	;; [unrolled: 1-line block ×4, first 2 shown]
	s_waitcnt lgkmcnt(2)
	v_perm_b32 v47, v61, v47, s84
	v_perm_b32 v46, v56, v46, s84
	v_cvt_f32_f16_e32 v42, v35
	v_cvt_f32_f16_e32 v43, v36
	;; [unrolled: 1-line block ×5, first 2 shown]
	v_cvt_f32_f16_sdwa v41, v41 dst_sel:DWORD dst_unused:UNUSED_PAD src0_sel:WORD_1
	v_mfma_f32_16x16x16_f16 v[34:37], v[46:47], v[182:183], v[42:45]
	s_nop 2
	v_cvt_f32_f16_e32 v42, v39
	v_cvt_f32_f16_sdwa v43, v39 dst_sel:DWORD dst_unused:UNUSED_PAD src0_sel:WORD_1
	s_waitcnt lgkmcnt(0)
	v_perm_b32 v39, v57, v38, s84
	v_perm_b32 v38, v1, v60, s84
	s_nop 1
	v_mfma_f32_16x16x16_f16 v[38:41], v[38:39], v[184:185], v[40:43]
	s_nop 2
	ds_read_u16 v42, v204 offset:16928
	ds_read_u16 v44, v204 offset:17456
	;; [unrolled: 1-line block ×4, first 2 shown]
	s_nop 0
	v_cvt_f16_f32_e32 v1, v38
	v_cvt_f16_f32_e32 v39, v39
	;; [unrolled: 1-line block ×4, first 2 shown]
	v_cvt_f32_f16_e32 v38, v1
	ds_read_u16 v1, v204 offset:64
	ds_read_u16 v46, v204 offset:592
	;; [unrolled: 1-line block ×4, first 2 shown]
	s_waitcnt lgkmcnt(4)
	v_perm_b32 v43, v45, v43, s84
	v_perm_b32 v42, v44, v42, s84
	v_cvt_f32_f16_e32 v39, v39
	v_cvt_f32_f16_e32 v40, v40
	;; [unrolled: 1-line block ×3, first 2 shown]
	s_waitcnt lgkmcnt(0)
	v_perm_b32 v47, v56, v47, s84
	v_perm_b32 v46, v46, v1, s84
	v_mfma_f32_16x16x16_f16 v[38:41], v[42:43], v[182:183], v[38:41]
	v_cvt_f32_f16_e32 v42, v53
	v_cvt_f32_f16_sdwa v43, v53 dst_sel:DWORD dst_unused:UNUSED_PAD src0_sel:WORD_1
	v_cvt_f32_f16_e32 v44, v52
	v_cvt_f32_f16_sdwa v45, v52 dst_sel:DWORD dst_unused:UNUSED_PAD src0_sel:WORD_1
	s_nop 1
	v_mfma_f32_16x16x16_f16 v[42:45], v[46:47], v[184:185], v[42:45]
	ds_read_u16 v46, v204 offset:16960
	ds_read_u16 v52, v204 offset:17488
	;; [unrolled: 1-line block ×4, first 2 shown]
	s_nop 3
	v_cvt_f16_f32_e32 v1, v42
	v_cvt_f16_f32_e32 v43, v43
	;; [unrolled: 1-line block ×4, first 2 shown]
	s_waitcnt lgkmcnt(0)
	v_perm_b32 v47, v53, v47, s84
	v_perm_b32 v46, v52, v46, s84
	v_cvt_f32_f16_e32 v42, v1
	v_cvt_f32_f16_e32 v43, v43
	;; [unrolled: 1-line block ×4, first 2 shown]
	s_nop 1
	v_mfma_f32_16x16x16_f16 v[42:45], v[46:47], v[182:183], v[42:45]
	ds_read_u16 v1, v204 offset:96
	ds_read_u16 v46, v204 offset:624
	;; [unrolled: 1-line block ×4, first 2 shown]
	s_waitcnt lgkmcnt(2)
	v_perm_b32 v46, v46, v1, s84
	s_waitcnt lgkmcnt(0)
	v_perm_b32 v47, v52, v47, s84
	ds_read_u16 v52, v204 offset:16992
	ds_read_u16 v56, v204 offset:17520
	ds_read_u16 v53, v204 offset:18048
	ds_read_u16 v57, v205 offset:16992
	v_mfma_f32_16x16x16_f16 v[46:49], v[46:47], v[184:185], v[126:129]
	s_waitcnt lgkmcnt(0)
	v_perm_b32 v53, v57, v53, s84
	v_perm_b32 v52, v56, v52, s84
	v_cvt_f32_f16_e32 v126, v51
	s_nop 3
	v_cvt_f16_f32_e32 v1, v46
	v_cvt_f16_f32_e32 v47, v47
	v_cvt_f16_f32_e32 v48, v48
	v_cvt_f16_f32_e32 v49, v49
	v_cvt_f32_f16_e32 v46, v1
	v_cvt_f32_f16_e32 v47, v47
	v_cvt_f32_f16_e32 v48, v48
	v_cvt_f32_f16_e32 v49, v49
	v_cvt_f32_f16_sdwa v127, v51 dst_sel:DWORD dst_unused:UNUSED_PAD src0_sel:WORD_1
	v_cvt_f32_f16_e32 v128, v50
	v_mfma_f32_16x16x16_f16 v[46:49], v[52:53], v[182:183], v[46:49]
	ds_read_u16 v1, v204 offset:128
	ds_read_u16 v52, v204 offset:656
	ds_read_u16 v53, v204 offset:1184
	ds_read_u16 v56, v205 offset:128
	v_cvt_f32_f16_sdwa v129, v50 dst_sel:DWORD dst_unused:UNUSED_PAD src0_sel:WORD_1
	s_waitcnt lgkmcnt(2)
	v_perm_b32 v50, v52, v1, s84
	s_waitcnt lgkmcnt(0)
	v_perm_b32 v51, v56, v53, s84
	ds_read_u16 v56, v204 offset:17024
	ds_read_u16 v60, v204 offset:17552
	ds_read_u16 v57, v204 offset:18080
	ds_read_u16 v61, v205 offset:17024
	v_mfma_f32_16x16x16_f16 v[50:53], v[50:51], v[184:185], v[126:129]
	s_waitcnt lgkmcnt(0)
	v_perm_b32 v57, v61, v57, s84
	v_perm_b32 v56, v60, v56, s84
	v_cvt_f32_f16_e32 v126, v55
	s_nop 3
	v_cvt_f16_f32_e32 v1, v50
	v_cvt_f16_f32_e32 v51, v51
	v_cvt_f16_f32_e32 v52, v52
	v_cvt_f16_f32_e32 v53, v53
	v_cvt_f32_f16_e32 v50, v1
	v_cvt_f32_f16_e32 v51, v51
	v_cvt_f32_f16_e32 v52, v52
	v_cvt_f32_f16_e32 v53, v53
	v_cvt_f32_f16_sdwa v127, v55 dst_sel:DWORD dst_unused:UNUSED_PAD src0_sel:WORD_1
	v_cvt_f32_f16_e32 v128, v54
	v_mfma_f32_16x16x16_f16 v[50:53], v[56:57], v[182:183], v[50:53]
	ds_read_u16 v1, v204 offset:160
	ds_read_u16 v56, v204 offset:688
	ds_read_u16 v57, v204 offset:1216
	ds_read_u16 v60, v205 offset:160
	v_cvt_f32_f16_sdwa v129, v54 dst_sel:DWORD dst_unused:UNUSED_PAD src0_sel:WORD_1
	;; [unrolled: 30-line block ×3, first 2 shown]
	s_waitcnt lgkmcnt(2)
	v_perm_b32 v58, v60, v1, s84
	s_nop 0
	v_cvt_pk_f16_f32 v55, v54, v55
	s_waitcnt lgkmcnt(0)
	v_perm_b32 v59, v64, v61, s84
	ds_read_u16 v64, v204 offset:17088
	ds_read_u16 v68, v204 offset:17616
	;; [unrolled: 1-line block ×4, first 2 shown]
	v_mfma_f32_16x16x16_f16 v[58:61], v[58:59], v[184:185], v[126:129]
	s_waitcnt lgkmcnt(0)
	v_perm_b32 v65, v69, v65, s84
	v_perm_b32 v64, v68, v64, s84
	v_cvt_f32_f16_e32 v126, v63
	s_nop 3
	v_cvt_f16_f32_e32 v1, v58
	v_cvt_f16_f32_e32 v59, v59
	;; [unrolled: 1-line block ×4, first 2 shown]
	v_cvt_f32_f16_e32 v58, v1
	v_cvt_f32_f16_e32 v59, v59
	;; [unrolled: 1-line block ×4, first 2 shown]
	v_cvt_f32_f16_sdwa v127, v63 dst_sel:DWORD dst_unused:UNUSED_PAD src0_sel:WORD_1
	v_cvt_f32_f16_e32 v128, v62
	v_mfma_f32_16x16x16_f16 v[58:61], v[64:65], v[182:183], v[58:61]
	ds_read_u16 v1, v204 offset:224
	ds_read_u16 v64, v204 offset:752
	;; [unrolled: 1-line block ×4, first 2 shown]
	v_cvt_f32_f16_sdwa v129, v62 dst_sel:DWORD dst_unused:UNUSED_PAD src0_sel:WORD_1
	v_cvt_pk_f16_f32 v54, v56, v57
	s_waitcnt lgkmcnt(2)
	v_perm_b32 v62, v64, v1, s84
	v_cvt_pk_f16_f32 v59, v58, v59
	s_waitcnt lgkmcnt(0)
	v_perm_b32 v63, v68, v65, s84
	v_cvt_pk_f16_f32 v58, v60, v61
	v_cvt_pk_f16_f32 v56, v50, v51
	v_mfma_f32_16x16x16_f16 v[62:65], v[62:63], v[184:185], v[126:129]
	v_cvt_pk_f16_f32 v57, v52, v53
	v_cvt_pk_f16_f32 v61, v46, v47
	;; [unrolled: 1-line block ×3, first 2 shown]
	s_nop 4
	v_cvt_f16_f32_e32 v1, v62
	v_cvt_f16_f32_e32 v62, v63
	;; [unrolled: 1-line block ×4, first 2 shown]
	ds_read_u16 v65, v204 offset:17120
	ds_read_u16 v68, v204 offset:17648
	;; [unrolled: 1-line block ×4, first 2 shown]
	v_cvt_f32_f16_e32 v126, v1
	v_cvt_f32_f16_e32 v127, v62
	;; [unrolled: 1-line block ×3, first 2 shown]
	s_waitcnt lgkmcnt(2)
	v_perm_b32 v62, v68, v65, s84
	s_waitcnt lgkmcnt(0)
	v_perm_b32 v63, v72, v69, s84
	ds_read_u16 v1, v204 offset:256
	ds_read_u16 v68, v204 offset:784
	;; [unrolled: 1-line block ×4, first 2 shown]
	v_cvt_f32_f16_e32 v129, v64
	s_nop 1
	v_mfma_f32_16x16x16_f16 v[62:65], v[62:63], v[182:183], v[126:129]
	s_nop 2
	v_cvt_f32_f16_e32 v126, v67
	v_cvt_f32_f16_sdwa v127, v67 dst_sel:DWORD dst_unused:UNUSED_PAD src0_sel:WORD_1
	v_cvt_f32_f16_e32 v128, v66
	v_cvt_f32_f16_sdwa v129, v66 dst_sel:DWORD dst_unused:UNUSED_PAD src0_sel:WORD_1
	s_waitcnt lgkmcnt(0)
	v_perm_b32 v67, v72, v69, s84
	v_perm_b32 v66, v68, v1, s84
	ds_read_u16 v72, v204 offset:17152
	ds_read_u16 v76, v204 offset:17680
	ds_read_u16 v73, v204 offset:18208
	ds_read_u16 v77, v205 offset:17152
	v_mfma_f32_16x16x16_f16 v[66:69], v[66:67], v[184:185], v[126:129]
	s_waitcnt lgkmcnt(0)
	v_perm_b32 v73, v77, v73, s84
	v_perm_b32 v72, v76, v72, s84
	v_cvt_f32_f16_e32 v126, v71
	s_nop 3
	v_cvt_f16_f32_e32 v1, v66
	v_cvt_f16_f32_e32 v67, v67
	v_cvt_f16_f32_e32 v68, v68
	v_cvt_f16_f32_e32 v69, v69
	v_cvt_f32_f16_e32 v66, v1
	v_cvt_f32_f16_e32 v67, v67
	v_cvt_f32_f16_e32 v68, v68
	v_cvt_f32_f16_e32 v69, v69
	v_cvt_f32_f16_sdwa v127, v71 dst_sel:DWORD dst_unused:UNUSED_PAD src0_sel:WORD_1
	v_cvt_f32_f16_e32 v128, v70
	v_mfma_f32_16x16x16_f16 v[66:69], v[72:73], v[182:183], v[66:69]
	ds_read_u16 v1, v204 offset:288
	ds_read_u16 v72, v204 offset:816
	ds_read_u16 v73, v204 offset:1344
	ds_read_u16 v76, v205 offset:288
	v_cvt_f32_f16_sdwa v129, v70 dst_sel:DWORD dst_unused:UNUSED_PAD src0_sel:WORD_1
	v_cvt_pk_f16_f32 v63, v62, v63
	s_waitcnt lgkmcnt(2)
	v_perm_b32 v70, v72, v1, s84
	v_cvt_pk_f16_f32 v67, v66, v67
	s_waitcnt lgkmcnt(0)
	v_perm_b32 v71, v76, v73, s84
	ds_read_u16 v76, v204 offset:17184
	ds_read_u16 v80, v204 offset:17712
	ds_read_u16 v77, v204 offset:18240
	ds_read_u16 v81, v205 offset:17184
	v_mfma_f32_16x16x16_f16 v[70:73], v[70:71], v[184:185], v[126:129]
	s_waitcnt lgkmcnt(0)
	v_perm_b32 v77, v81, v77, s84
	v_perm_b32 v76, v80, v76, s84
	v_cvt_f32_f16_e32 v126, v75
	s_nop 3
	v_cvt_f16_f32_e32 v1, v70
	v_cvt_f16_f32_e32 v71, v71
	v_cvt_f16_f32_e32 v72, v72
	v_cvt_f16_f32_e32 v73, v73
	v_cvt_f32_f16_e32 v70, v1
	v_cvt_f32_f16_e32 v71, v71
	v_cvt_f32_f16_e32 v72, v72
	v_cvt_f32_f16_e32 v73, v73
	v_cvt_f32_f16_sdwa v127, v75 dst_sel:DWORD dst_unused:UNUSED_PAD src0_sel:WORD_1
	v_cvt_f32_f16_e32 v128, v74
	v_mfma_f32_16x16x16_f16 v[70:73], v[76:77], v[182:183], v[70:73]
	ds_read_u16 v1, v204 offset:320
	ds_read_u16 v76, v204 offset:848
	ds_read_u16 v77, v204 offset:1376
	ds_read_u16 v80, v205 offset:320
	v_cvt_f32_f16_sdwa v129, v74 dst_sel:DWORD dst_unused:UNUSED_PAD src0_sel:WORD_1
	v_cvt_pk_f16_f32 v66, v68, v69
	s_waitcnt lgkmcnt(2)
	v_perm_b32 v74, v76, v1, s84
	v_cvt_pk_f16_f32 v71, v70, v71
	s_waitcnt lgkmcnt(0)
	;; [unrolled: 32-line block ×5, first 2 shown]
	v_perm_b32 v87, v92, v89, s84
	v_cvt_pk_f16_f32 v82, v84, v85
	v_cvt_pk_f16_f32 v62, v64, v65
	v_mfma_f32_16x16x16_f16 v[86:89], v[86:87], v[184:185], v[126:129]
	ds_read_u16 v92, v204 offset:17312
	ds_read_u16 v96, v204 offset:17840
	;; [unrolled: 1-line block ×4, first 2 shown]
	v_cvt_f32_f16_sdwa v127, v91 dst_sel:DWORD dst_unused:UNUSED_PAD src0_sel:WORD_1
	v_cvt_f32_f16_e32 v128, v90
	s_nop 1
	v_cvt_f16_f32_e32 v1, v86
	v_cvt_f16_f32_e32 v87, v87
	;; [unrolled: 1-line block ×4, first 2 shown]
	s_waitcnt lgkmcnt(0)
	v_perm_b32 v93, v126, v93, s84
	v_perm_b32 v92, v96, v92, s84
	v_cvt_f32_f16_e32 v86, v1
	v_cvt_f32_f16_e32 v87, v87
	;; [unrolled: 1-line block ×5, first 2 shown]
	v_cvt_f32_f16_sdwa v129, v90 dst_sel:DWORD dst_unused:UNUSED_PAD src0_sel:WORD_1
	v_mfma_f32_16x16x16_f16 v[86:89], v[92:93], v[182:183], v[86:89]
	ds_read_u16 v1, v204 offset:448
	ds_read_u16 v92, v204 offset:976
	;; [unrolled: 1-line block ×4, first 2 shown]
	v_cvt_pk_f16_f32 v65, v42, v43
	v_cvt_pk_f16_f32 v64, v44, v45
	s_waitcnt lgkmcnt(2)
	v_perm_b32 v90, v92, v1, s84
	v_cvt_pk_f16_f32 v87, v86, v87
	s_waitcnt lgkmcnt(0)
	v_perm_b32 v91, v96, v93, s84
	v_cvt_pk_f16_f32 v86, v88, v89
	v_cvt_pk_f16_f32 v69, v38, v39
	v_mfma_f32_16x16x16_f16 v[90:93], v[90:91], v[184:185], v[126:129]
	ds_read_u16 v96, v204 offset:17344
	s_nop 1
	ds_read_u16 v126, v204 offset:17872
	ds_read_u16 v127, v204 offset:18400
	;; [unrolled: 1-line block ×3, first 2 shown]
	v_cvt_f32_f16_sdwa v129, v124 dst_sel:DWORD dst_unused:UNUSED_PAD src0_sel:WORD_1
	v_cvt_pk_f16_f32 v68, v40, v41
	v_cvt_f16_f32_e32 v1, v90
	v_cvt_f16_f32_e32 v91, v91
	;; [unrolled: 1-line block ×4, first 2 shown]
	v_cvt_f32_f16_e32 v90, v1
	s_waitcnt lgkmcnt(0)
	v_perm_b32 v127, v128, v127, s84
	v_perm_b32 v126, v126, v96, s84
	ds_read_u16 v1, v204 offset:480
	ds_read_u16 v96, v204 offset:1008
	;; [unrolled: 1-line block ×4, first 2 shown]
	v_cvt_f32_f16_e32 v91, v91
	v_cvt_f32_f16_e32 v92, v92
	;; [unrolled: 1-line block ×4, first 2 shown]
	s_waitcnt lgkmcnt(2)
	v_perm_b32 v124, v96, v1, s84
	v_mfma_f32_16x16x16_f16 v[90:93], v[126:127], v[182:183], v[90:93]
	v_cvt_f32_f16_e32 v126, v125
	v_cvt_f32_f16_sdwa v127, v125 dst_sel:DWORD dst_unused:UNUSED_PAD src0_sel:WORD_1
	s_waitcnt lgkmcnt(0)
	v_perm_b32 v125, v135, v134, s84
	v_cvt_pk_f16_f32 v73, v34, v35
	s_nop 2
	v_cvt_pk_f16_f32 v91, v90, v91
	v_mfma_f32_16x16x16_f16 v[124:127], v[124:125], v[184:185], v[126:129]
	ds_read_u16 v1, v204 offset:17376
	ds_read_u16 v96, v204 offset:17904
	;; [unrolled: 1-line block ×4, first 2 shown]
	v_cvt_pk_f16_f32 v90, v92, v93
	v_cvt_pk_f16_f32 v72, v36, v37
	s_nop 1
	v_cvt_f16_f32_e32 v124, v124
	v_cvt_f16_f32_e32 v125, v125
	;; [unrolled: 1-line block ×4, first 2 shown]
	s_waitcnt lgkmcnt(0)
	v_perm_b32 v129, v128, v147, s84
	v_perm_b32 v128, v96, v1, s84
	v_cvt_f32_f16_e32 v124, v124
	v_cvt_f32_f16_e32 v125, v125
	;; [unrolled: 1-line block ×4, first 2 shown]
	s_barrier
	s_nop 0
	v_mfma_f32_16x16x16_f16 v[124:127], v[128:129], v[182:183], v[124:127]
	s_nop 7
	v_cvt_pk_f16_f32 v124, v124, v125
	v_cvt_pk_f16_f32 v126, v126, v127
	s_cbranch_scc0 .LBB30_101
; %bb.97:                               ;   in Loop: Header=BB30_61 Depth=2
	v_mov_b32_e32 v77, v121
	v_mov_b32_e32 v80, v120
	s_andn2_b64 vcc, exec, s[36:37]
	s_ashr_i32 s39, s38, 31
	s_cbranch_vccz .LBB30_56
	s_branch .LBB30_61
.LBB30_98:                              ;   in Loop: Header=BB30_61 Depth=2
                                        ; implicit-def: $vgpr36_vgpr37_vgpr38_vgpr39
                                        ; implicit-def: $vgpr42_vgpr43_vgpr44_vgpr45
	s_branch .LBB30_95
.LBB30_99:                              ;   in Loop: Header=BB30_14 Depth=1
	s_cbranch_execz .LBB30_13
	s_branch .LBB30_315
.LBB30_100:                             ;   in Loop: Header=BB30_14 Depth=1
	v_mov_b32_e32 v120, 0xfeffffff
	v_mov_b32_e32 v121, 0
	v_mov_b32_e32 v72, 0
	v_mov_b32_e32 v73, 0
	v_mov_b32_e32 v68, 0
	v_mov_b32_e32 v69, 0
	v_mov_b32_e32 v64, 0
	v_mov_b32_e32 v65, 0
	v_mov_b32_e32 v60, 0
	v_mov_b32_e32 v61, 0
	v_mov_b32_e32 v57, 0
	v_mov_b32_e32 v56, 0
	v_mov_b32_e32 v54, 0
	v_mov_b32_e32 v55, 0
	v_mov_b32_e32 v58, 0
	v_mov_b32_e32 v59, 0
	v_mov_b32_e32 v62, 0
	v_mov_b32_e32 v63, 0
	v_mov_b32_e32 v66, 0
	v_mov_b32_e32 v67, 0
	v_mov_b32_e32 v70, 0
	v_mov_b32_e32 v71, 0
	v_mov_b32_e32 v74, 0
	v_mov_b32_e32 v75, 0
	v_mov_b32_e32 v78, 0
	v_mov_b32_e32 v79, 0
	v_mov_b32_e32 v82, 0
	v_mov_b32_e32 v83, 0
	v_mov_b32_e32 v86, 0
	v_mov_b32_e32 v87, 0
	v_mov_b32_e32 v90, 0
	v_mov_b32_e32 v91, 0
	v_mov_b32_e32 v126, 0
	v_mov_b32_e32 v124, 0
.LBB30_101:                             ;   in Loop: Header=BB30_14 Depth=1
	s_lshl_b32 s4, s40, 6
	v_readlane_b32 s36, v255, 3
	v_cmp_eq_u64_e32 vcc, 0, v[148:149]
	s_sub_i32 s60, s36, s4
	s_ashr_i32 s5, s4, 31
	v_readlane_b32 s37, v255, 4
	s_cbranch_vccnz .LBB30_111
; %bb.102:                              ;   in Loop: Header=BB30_14 Depth=1
	v_cmp_le_i32_e32 vcc, s60, v94
	s_and_saveexec_b64 s[36:37], vcc
	s_xor_b64 s[36:37], exec, s[36:37]
	s_cbranch_execz .LBB30_104
; %bb.103:                              ;   in Loop: Header=BB30_14 Depth=1
	v_add_u32_e32 v1, v251, v252
	ds_write_b16 v1, v97 offset:33792
	ds_write_b16 v1, v97 offset:34944
                                        ; implicit-def: $vgpr186
                                        ; implicit-def: $vgpr187
                                        ; implicit-def: $vgpr189
.LBB30_104:                             ;   in Loop: Header=BB30_14 Depth=1
	s_or_saveexec_b64 s[36:37], s[36:37]
	s_lshl_b64 s[38:39], s[4:5], 1
	v_lshl_add_u64 v[34:35], v[148:149], 0, s[38:39]
	v_lshlrev_b32_e32 v96, 1, v94
	v_lshl_add_u64 v[34:35], v[34:35], 0, v[96:97]
	v_mov_b32_e32 v36, 0
	v_mov_b32_e32 v37, 0
	s_xor_b64 exec, exec, s[36:37]
	s_cbranch_execz .LBB30_106
; %bb.105:                              ;   in Loop: Header=BB30_14 Depth=1
	v_mul_hi_u32 v1, s98, v237
	v_add_u32_e32 v1, v237, v1
	v_lshrrev_b32_e32 v1, s99, v1
	v_mul_lo_u32 v1, v1, s80
	v_sub_u32_e32 v1, v237, v1
	v_mad_i64_i32 v[36:37], s[38:39], v1, s62, 0
	v_lshl_add_u64 v[36:37], v[36:37], 1, v[34:35]
	global_load_ushort v1, v[36:37], off
	v_mul_hi_u32 v36, s98, v186
	v_add_u32_e32 v36, v186, v36
	v_lshrrev_b32_e32 v36, s99, v36
	v_mul_lo_u32 v36, v36, s80
	v_sub_u32_e32 v36, v186, v36
	v_mad_i64_i32 v[36:37], s[38:39], v36, s62, 0
	v_lshl_add_u64 v[36:37], v[36:37], 1, v[34:35]
	global_load_ushort v36, v[36:37], off
	v_add_u32_e32 v37, v251, v252
	s_waitcnt vmcnt(1)
	ds_write_b16 v37, v1 offset:33792
	s_waitcnt vmcnt(0)
	ds_write_b16 v37, v36 offset:34944
	v_mul_hi_u32 v1, s98, v187
	v_add_u32_e32 v1, v187, v1
	v_lshrrev_b32_e32 v1, s99, v1
	v_mul_lo_u32 v1, v1, s80
	v_sub_u32_e32 v1, v187, v1
	v_mad_i64_i32 v[36:37], s[38:39], v1, s62, 0
	v_mul_hi_u32 v1, s98, v189
	v_add_u32_e32 v1, v189, v1
	v_lshrrev_b32_e32 v1, s99, v1
	v_mul_lo_u32 v1, v1, s80
	v_sub_u32_e32 v1, v189, v1
	v_mad_i64_i32 v[38:39], s[38:39], v1, s62, 0
	v_lshl_add_u64 v[36:37], v[36:37], 1, v[34:35]
	v_lshl_add_u64 v[38:39], v[38:39], 1, v[34:35]
	global_load_ushort v36, v[36:37], off
	s_nop 0
	global_load_ushort v37, v[38:39], off
.LBB30_106:                             ;   in Loop: Header=BB30_14 Depth=1
	s_or_b64 exec, exec, s[36:37]
	v_add_u32_e32 v1, v251, v252
	s_waitcnt vmcnt(1)
	ds_write_b16 v1, v36 offset:36096
	s_waitcnt vmcnt(0)
	ds_write_b16 v1, v37 offset:37248
	s_and_saveexec_b64 s[36:37], vcc
	s_xor_b64 s[36:37], exec, s[36:37]
	s_cbranch_execz .LBB30_108
; %bb.107:                              ;   in Loop: Header=BB30_14 Depth=1
	ds_write_b16 v1, v97 offset:38400
	ds_write_b16 v1, v97 offset:39552
                                        ; implicit-def: $vgpr188
                                        ; implicit-def: $vgpr34_vgpr35
                                        ; implicit-def: $vgpr210
                                        ; implicit-def: $vgpr197
                                        ; implicit-def: $vgpr190
.LBB30_108:                             ;   in Loop: Header=BB30_14 Depth=1
	s_or_saveexec_b64 s[36:37], s[36:37]
	v_mov_b32_e32 v36, 0
	v_mov_b32_e32 v37, 0
	s_xor_b64 exec, exec, s[36:37]
	s_cbranch_execz .LBB30_110
; %bb.109:                              ;   in Loop: Header=BB30_14 Depth=1
	v_mul_hi_u32 v36, s98, v188
	v_add_u32_e32 v36, v188, v36
	v_lshrrev_b32_e32 v36, s99, v36
	v_mul_lo_u32 v36, v36, s80
	v_sub_u32_e32 v36, v188, v36
	v_mad_i64_i32 v[36:37], s[38:39], v36, s62, 0
	v_lshl_add_u64 v[36:37], v[36:37], 1, v[34:35]
	global_load_ushort v38, v[36:37], off
	v_mul_hi_u32 v36, s98, v210
	v_add_u32_e32 v36, v210, v36
	v_lshrrev_b32_e32 v36, s99, v36
	v_mul_lo_u32 v36, v36, s80
	v_sub_u32_e32 v36, v210, v36
	v_mad_i64_i32 v[36:37], s[38:39], v36, s62, 0
	v_lshl_add_u64 v[36:37], v[36:37], 1, v[34:35]
	global_load_ushort v36, v[36:37], off
	s_waitcnt vmcnt(1)
	ds_write_b16 v1, v38 offset:38400
	s_waitcnt vmcnt(0)
	ds_write_b16 v1, v36 offset:39552
	v_mul_hi_u32 v36, s98, v197
	v_add_u32_e32 v36, v197, v36
	v_lshrrev_b32_e32 v36, s99, v36
	v_mul_lo_u32 v36, v36, s80
	v_sub_u32_e32 v36, v197, v36
	v_mad_i64_i32 v[36:37], s[38:39], v36, s62, 0
	v_lshl_add_u64 v[36:37], v[36:37], 1, v[34:35]
	global_load_ushort v36, v[36:37], off
	v_mul_hi_u32 v37, s98, v190
	v_add_u32_e32 v37, v190, v37
	v_lshrrev_b32_e32 v37, s99, v37
	v_mul_lo_u32 v37, v37, s80
	v_sub_u32_e32 v37, v190, v37
	v_mad_i64_i32 v[38:39], s[38:39], v37, s62, 0
	v_lshl_add_u64 v[34:35], v[38:39], 1, v[34:35]
	global_load_ushort v37, v[34:35], off
.LBB30_110:                             ;   in Loop: Header=BB30_14 Depth=1
	s_or_b64 exec, exec, s[36:37]
	s_waitcnt vmcnt(1)
	ds_write_b16 v1, v36 offset:40704
	s_waitcnt vmcnt(0)
	ds_write_b16 v1, v37 offset:41856
.LBB30_111:                             ;   in Loop: Header=BB30_14 Depth=1
	s_mul_hi_i32 s37, s4, s96
	s_mul_i32 s36, s4, s96
	s_lshl_b64 s[36:37], s[36:37], 2
	v_lshl_add_u64 v[34:35], v[150:151], 0, s[36:37]
	v_lshl_add_u64 v[36:37], v[100:101], 2, v[34:35]
	v_lshlrev_b32_e32 v96, 2, v98
	v_cmp_gt_i32_e64 s[36:37], s60, v200
	v_lshl_add_u64 v[36:37], v[36:37], 0, v[96:97]
	v_mov_b32_e32 v1, s31
	v_lshl_add_u64 v[38:39], v[102:103], 2, v[34:35]
	v_lshl_add_u64 v[40:41], v[104:105], 2, v[34:35]
	;; [unrolled: 1-line block ×3, first 2 shown]
	v_cndmask_b32_e64 v37, v1, v37, s[36:37]
	v_cndmask_b32_e64 v36, v211, v36, s[36:37]
	v_cmp_gt_i32_e64 s[42:43], s60, v247
	v_lshl_add_u64 v[34:35], v[34:35], 0, v[96:97]
	scratch_store_dwordx4 off, v[130:133], off
	v_cndmask_b32_e64 v43, v1, v35, s[42:43]
	v_cndmask_b32_e64 v42, v211, v34, s[42:43]
	flat_load_dwordx4 v[34:37], v[36:37]
	v_cmp_gt_i32_e64 s[38:39], s60, v253
	v_lshl_add_u64 v[38:39], v[38:39], 0, v[96:97]
	v_cmp_gt_i32_e64 s[40:41], s60, v219
	v_cndmask_b32_e64 v39, v1, v39, s[38:39]
	v_cndmask_b32_e64 v38, v211, v38, s[38:39]
	v_lshl_add_u64 v[40:41], v[40:41], 0, v[96:97]
	v_cndmask_b32_e64 v41, v1, v41, s[40:41]
	v_cndmask_b32_e64 v40, v211, v40, s[40:41]
	v_add_u32_e32 v1, 0x4000, v202
	s_waitcnt vmcnt(0) lgkmcnt(0)
	ds_write_b128 v201, v[34:37]
	flat_load_dwordx4 v[34:37], v[38:39]
	s_waitcnt vmcnt(0) lgkmcnt(0)
	ds_write_b128 v254, v[34:37]
	flat_load_dwordx4 v[34:37], v[40:41]
	;; [unrolled: 3-line block ×3, first 2 shown]
	s_waitcnt vmcnt(0) lgkmcnt(0)
	ds_write_b128 v246, v[34:37]
	s_waitcnt lgkmcnt(0)
	s_barrier
	ds_read2_b64 v[34:37], v202 offset1:4
	s_waitcnt lgkmcnt(0)
	v_mfma_f32_16x16x16_f16 v[38:41], v[34:35], v[30:31], 0
	v_mfma_f32_16x16x16_f16 v[34:37], v[36:37], v[32:33], v[38:41]
	s_nop 6
	ds_read2_b64 v[38:41], v202 offset0:8 offset1:12
	s_waitcnt lgkmcnt(0)
	v_mfma_f32_16x16x16_f16 v[34:37], v[38:39], v[26:27], v[34:37]
	v_mfma_f32_16x16x16_f16 v[34:37], v[40:41], v[28:29], v[34:37]
	ds_read2_b64 v[38:41], v202 offset0:16 offset1:20
	s_waitcnt lgkmcnt(0)
	v_mfma_f32_16x16x16_f16 v[34:37], v[38:39], v[22:23], v[34:37]
	v_mfma_f32_16x16x16_f16 v[34:37], v[40:41], v[24:25], v[34:37]
	;; [unrolled: 4-line block ×7, first 2 shown]
	ds_read2_b64 v[38:41], v1 offset0:64 offset1:68
	s_waitcnt lgkmcnt(0)
	v_mfma_f32_16x16x16_f16 v[42:45], v[38:39], v[30:31], 0
	s_nop 4
	v_cmp_nlt_f32_e64 s[44:45], |v34|, s2
	v_mfma_f32_16x16x16_f16 v[30:33], v[40:41], v[32:33], v[42:45]
	ds_read2_b64 v[38:41], v1 offset0:72 offset1:76
	s_waitcnt lgkmcnt(0)
	v_mfma_f32_16x16x16_f16 v[30:33], v[38:39], v[26:27], v[30:33]
	v_mfma_f32_16x16x16_f16 v[26:29], v[40:41], v[28:29], v[30:33]
	s_nop 6
	ds_read2_b64 v[30:33], v1 offset0:80 offset1:84
	s_waitcnt lgkmcnt(0)
	v_mfma_f32_16x16x16_f16 v[26:29], v[30:31], v[22:23], v[26:29]
	v_mfma_f32_16x16x16_f16 v[22:25], v[32:33], v[24:25], v[26:29]
	s_nop 6
	;; [unrolled: 5-line block ×6, first 2 shown]
	ds_read2_b64 v[10:13], v1 offset0:120 offset1:124
	s_waitcnt lgkmcnt(0)
	v_mfma_f32_16x16x16_f16 v[6:9], v[10:11], v[2:3], v[6:9]
	s_barrier
	v_mfma_f32_16x16x16_f16 v[2:5], v[12:13], v[4:5], v[6:9]
                                        ; implicit-def: $vgpr1
	s_and_saveexec_b64 s[46:47], s[44:45]
	s_xor_b64 s[44:45], exec, s[46:47]
	s_cbranch_execz .LBB30_113
; %bb.112:                              ;   in Loop: Header=BB30_14 Depth=1
	v_add_f32_e64 v1, |v34|, |v34|
	s_nop 1
	v_mul_f32_e32 v6, 0x3fb8aa3b, v1
	v_rndne_f32_e32 v7, v6
	v_sub_f32_e32 v8, v6, v7
	v_fma_f32 v6, v1, s3, -v6
	v_fmac_f32_e32 v6, 0x32a5705f, v1
	v_add_f32_e32 v6, v8, v6
	v_cvt_i32_f32_e32 v7, v7
	v_exp_f32_e32 v6, v6
	v_cmp_ngt_f32_e32 vcc, s30, v1
	v_ldexp_f32 v6, v6, v7
	s_nop 0
	v_cndmask_b32_e32 v6, 0, v6, vcc
	v_cmp_nlt_f32_e32 vcc, s81, v1
	s_nop 1
	v_cndmask_b32_e32 v1, v213, v6, vcc
	v_add_f32_e32 v1, 1.0, v1
	v_rcp_f32_e32 v1, v1
	s_nop 0
	v_fma_f32 v1, v1, -2.0, 1.0
.LBB30_113:                             ;   in Loop: Header=BB30_14 Depth=1
	s_andn2_saveexec_b64 s[44:45], s[44:45]
; %bb.114:                              ;   in Loop: Header=BB30_14 Depth=1
	v_mul_f32_e32 v1, v34, v34
	s_nop 0
	v_fmamk_f32 v6, v1, 0xbbbac73d, v214
	v_fmaak_f32 v6, v1, v6, 0xbd5c1c4e
	v_fmaak_f32 v6, v1, v6, 0x3e088382
	v_fmaak_f32 v6, v1, v6, 0xbeaaaa99
	v_mul_f32_e64 v6, |v34|, v6
	v_fma_f32 v1, v1, v6, |v34|
; %bb.115:                              ;   in Loop: Header=BB30_14 Depth=1
	s_or_b64 exec, exec, s[44:45]
	v_cmp_nlt_f32_e64 s[44:45], |v35|, s2
                                        ; implicit-def: $vgpr6
	s_and_saveexec_b64 s[46:47], s[44:45]
	s_xor_b64 s[44:45], exec, s[46:47]
	s_cbranch_execz .LBB30_117
; %bb.116:                              ;   in Loop: Header=BB30_14 Depth=1
	v_add_f32_e64 v6, |v35|, |v35|
	v_mul_f32_e32 v7, 0x3fb8aa3b, v6
	v_rndne_f32_e32 v8, v7
	v_sub_f32_e32 v9, v7, v8
	v_fma_f32 v7, v6, s3, -v7
	v_fmac_f32_e32 v7, 0x32a5705f, v6
	v_add_f32_e32 v7, v9, v7
	v_cvt_i32_f32_e32 v8, v8
	v_exp_f32_e32 v7, v7
	v_cmp_ngt_f32_e32 vcc, s30, v6
	v_ldexp_f32 v7, v7, v8
	s_nop 0
	v_cndmask_b32_e32 v7, 0, v7, vcc
	v_cmp_nlt_f32_e32 vcc, s81, v6
	s_nop 1
	v_cndmask_b32_e32 v6, v213, v7, vcc
	v_add_f32_e32 v6, 1.0, v6
	v_rcp_f32_e32 v6, v6
	s_nop 0
	v_fma_f32 v6, v6, -2.0, 1.0
.LBB30_117:                             ;   in Loop: Header=BB30_14 Depth=1
	s_andn2_saveexec_b64 s[44:45], s[44:45]
; %bb.118:                              ;   in Loop: Header=BB30_14 Depth=1
	v_mul_f32_e32 v6, v35, v35
	v_fmamk_f32 v7, v6, 0xbbbac73d, v214
	v_fmaak_f32 v7, v6, v7, 0xbd5c1c4e
	v_fmaak_f32 v7, v6, v7, 0x3e088382
	;; [unrolled: 1-line block ×3, first 2 shown]
	v_mul_f32_e64 v7, |v35|, v7
	v_fma_f32 v6, v6, v7, |v35|
; %bb.119:                              ;   in Loop: Header=BB30_14 Depth=1
	s_or_b64 exec, exec, s[44:45]
	v_cmp_nlt_f32_e64 s[44:45], |v36|, s2
                                        ; implicit-def: $vgpr7
	s_and_saveexec_b64 s[46:47], s[44:45]
	s_xor_b64 s[44:45], exec, s[46:47]
	s_cbranch_execz .LBB30_121
; %bb.120:                              ;   in Loop: Header=BB30_14 Depth=1
	v_add_f32_e64 v7, |v36|, |v36|
	v_mul_f32_e32 v8, 0x3fb8aa3b, v7
	v_rndne_f32_e32 v9, v8
	v_sub_f32_e32 v10, v8, v9
	v_fma_f32 v8, v7, s3, -v8
	v_fmac_f32_e32 v8, 0x32a5705f, v7
	v_add_f32_e32 v8, v10, v8
	v_cvt_i32_f32_e32 v9, v9
	v_exp_f32_e32 v8, v8
	v_cmp_ngt_f32_e32 vcc, s30, v7
	v_ldexp_f32 v8, v8, v9
	s_nop 0
	v_cndmask_b32_e32 v8, 0, v8, vcc
	v_cmp_nlt_f32_e32 vcc, s81, v7
	s_nop 1
	v_cndmask_b32_e32 v7, v213, v8, vcc
	v_add_f32_e32 v7, 1.0, v7
	v_rcp_f32_e32 v7, v7
	s_nop 0
	v_fma_f32 v7, v7, -2.0, 1.0
.LBB30_121:                             ;   in Loop: Header=BB30_14 Depth=1
	s_andn2_saveexec_b64 s[44:45], s[44:45]
; %bb.122:                              ;   in Loop: Header=BB30_14 Depth=1
	v_mul_f32_e32 v7, v36, v36
	v_fmamk_f32 v8, v7, 0xbbbac73d, v214
	v_fmaak_f32 v8, v7, v8, 0xbd5c1c4e
	v_fmaak_f32 v8, v7, v8, 0x3e088382
	;; [unrolled: 1-line block ×3, first 2 shown]
	v_mul_f32_e64 v8, |v36|, v8
	v_fma_f32 v7, v7, v8, |v36|
; %bb.123:                              ;   in Loop: Header=BB30_14 Depth=1
	s_or_b64 exec, exec, s[44:45]
	v_cmp_nlt_f32_e64 s[44:45], |v37|, s2
                                        ; implicit-def: $vgpr8
	s_and_saveexec_b64 s[46:47], s[44:45]
	s_xor_b64 s[44:45], exec, s[46:47]
	s_cbranch_execz .LBB30_125
; %bb.124:                              ;   in Loop: Header=BB30_14 Depth=1
	v_add_f32_e64 v8, |v37|, |v37|
	v_mul_f32_e32 v9, 0x3fb8aa3b, v8
	v_rndne_f32_e32 v10, v9
	v_sub_f32_e32 v11, v9, v10
	v_fma_f32 v9, v8, s3, -v9
	v_fmac_f32_e32 v9, 0x32a5705f, v8
	v_add_f32_e32 v9, v11, v9
	v_cvt_i32_f32_e32 v10, v10
	v_exp_f32_e32 v9, v9
	v_cmp_ngt_f32_e32 vcc, s30, v8
	v_ldexp_f32 v9, v9, v10
	s_nop 0
	v_cndmask_b32_e32 v9, 0, v9, vcc
	v_cmp_nlt_f32_e32 vcc, s81, v8
	s_nop 1
	v_cndmask_b32_e32 v8, v213, v9, vcc
	v_add_f32_e32 v8, 1.0, v8
	v_rcp_f32_e32 v8, v8
	s_nop 0
	v_fma_f32 v8, v8, -2.0, 1.0
.LBB30_125:                             ;   in Loop: Header=BB30_14 Depth=1
	s_andn2_saveexec_b64 s[44:45], s[44:45]
; %bb.126:                              ;   in Loop: Header=BB30_14 Depth=1
	v_mul_f32_e32 v8, v37, v37
	v_fmamk_f32 v9, v8, 0xbbbac73d, v214
	v_fmaak_f32 v9, v8, v9, 0xbd5c1c4e
	v_fmaak_f32 v9, v8, v9, 0x3e088382
	;; [unrolled: 1-line block ×3, first 2 shown]
	v_mul_f32_e64 v9, |v37|, v9
	v_fma_f32 v8, v8, v9, |v37|
; %bb.127:                              ;   in Loop: Header=BB30_14 Depth=1
	s_or_b64 exec, exec, s[44:45]
	v_cmp_nlt_f32_e64 s[44:45], |v2|, s2
                                        ; implicit-def: $vgpr9
	s_and_saveexec_b64 s[46:47], s[44:45]
	s_xor_b64 s[44:45], exec, s[46:47]
	s_cbranch_execz .LBB30_129
; %bb.128:                              ;   in Loop: Header=BB30_14 Depth=1
	v_add_f32_e64 v9, |v2|, |v2|
	v_mul_f32_e32 v10, 0x3fb8aa3b, v9
	v_rndne_f32_e32 v11, v10
	v_sub_f32_e32 v12, v10, v11
	v_fma_f32 v10, v9, s3, -v10
	v_fmac_f32_e32 v10, 0x32a5705f, v9
	v_add_f32_e32 v10, v12, v10
	v_cvt_i32_f32_e32 v11, v11
	v_exp_f32_e32 v10, v10
	v_cmp_ngt_f32_e32 vcc, s30, v9
	v_ldexp_f32 v10, v10, v11
	s_nop 0
	v_cndmask_b32_e32 v10, 0, v10, vcc
	v_cmp_nlt_f32_e32 vcc, s81, v9
	s_nop 1
	v_cndmask_b32_e32 v9, v213, v10, vcc
	v_add_f32_e32 v9, 1.0, v9
	v_rcp_f32_e32 v9, v9
	s_nop 0
	v_fma_f32 v9, v9, -2.0, 1.0
.LBB30_129:                             ;   in Loop: Header=BB30_14 Depth=1
	s_andn2_saveexec_b64 s[44:45], s[44:45]
; %bb.130:                              ;   in Loop: Header=BB30_14 Depth=1
	v_mul_f32_e32 v9, v2, v2
	v_fmamk_f32 v10, v9, 0xbbbac73d, v214
	v_fmaak_f32 v10, v9, v10, 0xbd5c1c4e
	v_fmaak_f32 v10, v9, v10, 0x3e088382
	;; [unrolled: 1-line block ×3, first 2 shown]
	v_mul_f32_e64 v10, |v2|, v10
	v_fma_f32 v9, v9, v10, |v2|
; %bb.131:                              ;   in Loop: Header=BB30_14 Depth=1
	s_or_b64 exec, exec, s[44:45]
	v_cmp_nlt_f32_e64 s[44:45], |v3|, s2
                                        ; implicit-def: $vgpr11
	s_and_saveexec_b64 s[46:47], s[44:45]
	s_xor_b64 s[44:45], exec, s[46:47]
	s_cbranch_execz .LBB30_133
; %bb.132:                              ;   in Loop: Header=BB30_14 Depth=1
	v_add_f32_e64 v10, |v3|, |v3|
	v_mul_f32_e32 v11, 0x3fb8aa3b, v10
	v_rndne_f32_e32 v12, v11
	v_sub_f32_e32 v13, v11, v12
	v_fma_f32 v11, v10, s3, -v11
	v_fmac_f32_e32 v11, 0x32a5705f, v10
	v_add_f32_e32 v11, v13, v11
	v_cvt_i32_f32_e32 v12, v12
	v_exp_f32_e32 v11, v11
	v_cmp_ngt_f32_e32 vcc, s30, v10
	v_ldexp_f32 v11, v11, v12
	s_nop 0
	v_cndmask_b32_e32 v11, 0, v11, vcc
	v_cmp_nlt_f32_e32 vcc, s81, v10
	s_nop 1
	v_cndmask_b32_e32 v10, v213, v11, vcc
	v_add_f32_e32 v10, 1.0, v10
	v_rcp_f32_e32 v10, v10
	s_nop 0
	v_fma_f32 v11, v10, -2.0, 1.0
.LBB30_133:                             ;   in Loop: Header=BB30_14 Depth=1
	s_andn2_saveexec_b64 s[44:45], s[44:45]
; %bb.134:                              ;   in Loop: Header=BB30_14 Depth=1
	v_mul_f32_e32 v10, v3, v3
	v_fmamk_f32 v11, v10, 0xbbbac73d, v214
	v_fmaak_f32 v11, v10, v11, 0xbd5c1c4e
	v_fmaak_f32 v11, v10, v11, 0x3e088382
	;; [unrolled: 1-line block ×3, first 2 shown]
	v_mul_f32_e64 v11, |v3|, v11
	v_fma_f32 v11, v10, v11, |v3|
; %bb.135:                              ;   in Loop: Header=BB30_14 Depth=1
	s_or_b64 exec, exec, s[44:45]
	v_cmp_nlt_f32_e64 s[44:45], |v4|, s2
                                        ; implicit-def: $vgpr12
	s_and_saveexec_b64 s[46:47], s[44:45]
	s_xor_b64 s[44:45], exec, s[46:47]
	s_cbranch_execz .LBB30_137
; %bb.136:                              ;   in Loop: Header=BB30_14 Depth=1
	v_add_f32_e64 v10, |v4|, |v4|
	v_mul_f32_e32 v12, 0x3fb8aa3b, v10
	v_rndne_f32_e32 v13, v12
	v_sub_f32_e32 v14, v12, v13
	v_fma_f32 v12, v10, s3, -v12
	v_fmac_f32_e32 v12, 0x32a5705f, v10
	v_add_f32_e32 v12, v14, v12
	v_cvt_i32_f32_e32 v13, v13
	v_exp_f32_e32 v12, v12
	v_cmp_ngt_f32_e32 vcc, s30, v10
	v_ldexp_f32 v12, v12, v13
	s_nop 0
	v_cndmask_b32_e32 v12, 0, v12, vcc
	v_cmp_nlt_f32_e32 vcc, s81, v10
	s_nop 1
	v_cndmask_b32_e32 v10, v213, v12, vcc
	v_add_f32_e32 v10, 1.0, v10
	v_rcp_f32_e32 v10, v10
	s_nop 0
	v_fma_f32 v12, v10, -2.0, 1.0
.LBB30_137:                             ;   in Loop: Header=BB30_14 Depth=1
	s_andn2_saveexec_b64 s[44:45], s[44:45]
; %bb.138:                              ;   in Loop: Header=BB30_14 Depth=1
	v_mul_f32_e32 v10, v4, v4
	v_fmamk_f32 v12, v10, 0xbbbac73d, v214
	v_fmaak_f32 v12, v10, v12, 0xbd5c1c4e
	v_fmaak_f32 v12, v10, v12, 0x3e088382
	;; [unrolled: 1-line block ×3, first 2 shown]
	v_mul_f32_e64 v12, |v4|, v12
	v_fma_f32 v12, v10, v12, |v4|
; %bb.139:                              ;   in Loop: Header=BB30_14 Depth=1
	s_or_b64 exec, exec, s[44:45]
	v_cmp_nlt_f32_e64 s[44:45], |v5|, s2
                                        ; implicit-def: $vgpr13
	s_and_saveexec_b64 s[46:47], s[44:45]
	s_xor_b64 s[44:45], exec, s[46:47]
	s_cbranch_execz .LBB30_141
; %bb.140:                              ;   in Loop: Header=BB30_14 Depth=1
	v_add_f32_e64 v10, |v5|, |v5|
	v_mul_f32_e32 v13, 0x3fb8aa3b, v10
	v_rndne_f32_e32 v14, v13
	v_sub_f32_e32 v15, v13, v14
	v_fma_f32 v13, v10, s3, -v13
	v_fmac_f32_e32 v13, 0x32a5705f, v10
	v_add_f32_e32 v13, v15, v13
	v_cvt_i32_f32_e32 v14, v14
	v_exp_f32_e32 v13, v13
	v_cmp_ngt_f32_e32 vcc, s30, v10
	v_ldexp_f32 v13, v13, v14
	s_nop 0
	v_cndmask_b32_e32 v13, 0, v13, vcc
	v_cmp_nlt_f32_e32 vcc, s81, v10
	s_nop 1
	v_cndmask_b32_e32 v10, v213, v13, vcc
	v_add_f32_e32 v10, 1.0, v10
	v_rcp_f32_e32 v10, v10
	s_nop 0
	v_fma_f32 v13, v10, -2.0, 1.0
.LBB30_141:                             ;   in Loop: Header=BB30_14 Depth=1
	s_andn2_saveexec_b64 s[44:45], s[44:45]
; %bb.142:                              ;   in Loop: Header=BB30_14 Depth=1
	v_mul_f32_e32 v10, v5, v5
	v_fmamk_f32 v13, v10, 0xbbbac73d, v214
	v_fmaak_f32 v13, v10, v13, 0xbd5c1c4e
	v_fmaak_f32 v13, v10, v13, 0x3e088382
	;; [unrolled: 1-line block ×3, first 2 shown]
	v_mul_f32_e64 v13, |v5|, v13
	v_fma_f32 v13, v10, v13, |v5|
; %bb.143:                              ;   in Loop: Header=BB30_14 Depth=1
	s_or_b64 exec, exec, s[44:45]
	v_bfi_b32 v1, s86, v1, v34
	v_mul_f32_e32 v14, s93, v1
	v_bfi_b32 v1, s86, v6, v35
	v_bfi_b32 v2, s86, v9, v2
	v_mul_f32_e32 v15, s93, v1
	v_bfi_b32 v1, s86, v7, v36
	v_mul_f32_e32 v10, s93, v2
	;; [unrolled: 2-line block ×3, first 2 shown]
	v_bfi_b32 v1, s86, v8, v37
	v_cmp_ne_u64_e32 vcc, 0, v[148:149]
	v_mul_f32_e32 v11, s93, v2
	v_bfi_b32 v2, s86, v12, v4
	v_mul_f32_e32 v17, s93, v1
	v_bfi_b32 v1, s86, v13, v5
	v_mul_f32_e32 v12, s93, v2
	v_mul_f32_e32 v13, s93, v1
	s_cbranch_vccz .LBB30_605
; %bb.144:                              ;   in Loop: Header=BB30_14 Depth=1
	v_add_u32_e32 v1, 0x8400, v226
	ds_read2_b32 v[2:3], v1 offset1:1
	ds_read_b32 v1, v228 offset:33792
	ds_read_b32 v4, v230 offset:33792
	s_waitcnt lgkmcnt(2)
	v_cvt_f32_f16_e32 v6, v2
	v_cvt_f32_f16_sdwa v7, v2 dst_sel:DWORD dst_unused:UNUSED_PAD src0_sel:WORD_1
	v_cvt_f32_f16_e32 v2, v3
	v_cvt_f32_f16_sdwa v3, v3 dst_sel:DWORD dst_unused:UNUSED_PAD src0_sel:WORD_1
	s_waitcnt lgkmcnt(1)
	v_cvt_f32_f16_sdwa v19, v1 dst_sel:DWORD dst_unused:UNUSED_PAD src0_sel:WORD_1
	s_waitcnt lgkmcnt(0)
	v_cvt_f32_f16_sdwa v9, v4 dst_sel:DWORD dst_unused:UNUSED_PAD src0_sel:WORD_1
	v_cvt_f32_f16_e32 v8, v4
	v_cvt_f32_f16_e32 v18, v1
	v_pk_fma_f32 v[4:5], v[146:147], v[2:3], v[16:17] op_sel_hi:[0,1,1]
	v_pk_fma_f32 v[2:3], v[146:147], v[6:7], v[14:15] op_sel_hi:[0,1,1]
	;; [unrolled: 1-line block ×4, first 2 shown]
	s_cbranch_execnz .LBB30_146
.LBB30_145:                             ;   in Loop: Header=BB30_14 Depth=1
	v_mov_b64_e32 v[6:7], v[10:11]
	v_mov_b64_e32 v[2:3], v[14:15]
	;; [unrolled: 1-line block ×4, first 2 shown]
.LBB30_146:                             ;   in Loop: Header=BB30_14 Depth=1
	v_add_f32_e32 v1, 0x40051340, v2
	v_max_f32_e32 v10, v120, v120
	v_cmp_gt_u32_e64 s[54:55], s60, v203
	v_max_f32_e32 v1, v10, v1
	v_add_f32_e32 v10, 0x40051340, v3
	v_cndmask_b32_e64 v1, v120, v1, s[54:55]
	v_max_f32_e32 v11, v1, v1
	v_cmp_gt_u32_e64 s[56:57], s60, v220
	v_max_f32_e32 v10, v11, v10
	v_cmp_gt_u32_e64 s[58:59], s60, v218
	v_cndmask_b32_e64 v1, v1, v10, s[56:57]
	v_add_f32_e32 v10, 0x40051340, v4
	v_max_f32_e32 v11, v1, v1
	v_max_f32_e32 v10, v11, v10
	v_cndmask_b32_e64 v1, v1, v10, s[58:59]
	v_add_f32_e32 v10, 0x40051340, v5
	v_max_f32_e32 v11, v1, v1
	v_cmp_gt_u32_e64 s[50:51], s60, v217
	v_max_f32_e32 v10, v11, v10
	v_cmp_gt_u32_e64 s[48:49], s60, v227
	v_cndmask_b32_e64 v1, v1, v10, s[50:51]
	v_add_f32_e32 v10, 0x40051340, v6
	v_max_f32_e32 v11, v1, v1
	v_max_f32_e32 v10, v11, v10
	v_cndmask_b32_e64 v1, v1, v10, s[48:49]
	v_add_f32_e32 v10, 0x40051340, v7
	;; [unrolled: 10-line block ×3, first 2 shown]
	v_max_f32_e32 v11, v1, v1
	v_cmp_gt_u32_e32 vcc, s60, v239
	v_max_f32_e32 v10, v11, v10
	v_xor_b32_e32 v11, 32, v249
	v_cndmask_b32_e32 v1, v1, v10, vcc
	v_and_b32_e32 v10, 64, v249
	v_add_u32_e32 v10, 64, v10
	v_cmp_lt_i32_e64 s[60:61], v11, v10
	s_mul_hi_i32 s5, s4, s82
	s_mul_i32 s4, s4, s82
	v_cndmask_b32_e64 v11, v249, v11, s[60:61]
	v_lshlrev_b32_e32 v37, 2, v11
	ds_bpermute_b32 v11, v37, v1
	v_max_f32_e32 v1, v1, v1
	s_lshl_b64 s[4:5], s[4:5], 2
	v_mov_b32_e32 v50, s31
	scratch_store_dwordx4 off, v[130:133], off
	s_waitcnt lgkmcnt(0)
	v_max_f32_e32 v11, v11, v11
	v_max_f32_e32 v1, v1, v11
	v_xor_b32_e32 v11, 16, v249
	v_cmp_lt_i32_e64 s[60:61], v11, v10
	s_nop 1
	v_cndmask_b32_e64 v10, v249, v11, s[60:61]
	v_lshlrev_b32_e32 v40, 2, v10
	ds_bpermute_b32 v10, v40, v1
	s_waitcnt lgkmcnt(0)
	v_max_f32_e32 v10, v10, v10
	v_max_f32_e32 v36, v1, v10
	v_sub_f32_e32 v1, v2, v36
	v_mul_f32_e32 v2, 0x3fb8aa3b, v1
	v_fma_f32 v10, v1, s3, -v2
	v_rndne_f32_e32 v11, v2
	v_fmac_f32_e32 v10, 0x32a5705f, v1
	v_sub_f32_e32 v2, v2, v11
	v_add_f32_e32 v2, v2, v10
	v_exp_f32_e32 v2, v2
	v_cvt_i32_f32_e32 v10, v11
	v_cmp_ngt_f32_e64 s[60:61], s30, v1
	v_sub_f32_e32 v4, v4, v36
	v_sub_f32_e32 v6, v6, v36
	v_ldexp_f32 v2, v2, v10
	v_cndmask_b32_e64 v2, 0, v2, s[60:61]
	v_cmp_nlt_f32_e64 s[60:61], s81, v1
	v_sub_f32_e32 v8, v8, v36
	s_nop 0
	v_cndmask_b32_e64 v1, v213, v2, s[60:61]
	v_cndmask_b32_e64 v2, 0, v1, s[54:55]
	v_sub_f32_e32 v1, v3, v36
	v_mul_f32_e32 v3, 0x3fb8aa3b, v1
	v_fma_f32 v10, v1, s3, -v3
	v_rndne_f32_e32 v11, v3
	v_fmac_f32_e32 v10, 0x32a5705f, v1
	v_sub_f32_e32 v3, v3, v11
	v_add_f32_e32 v3, v3, v10
	v_exp_f32_e32 v3, v3
	v_cvt_i32_f32_e32 v10, v11
	v_cmp_ngt_f32_e64 s[54:55], s30, v1
	v_ldexp_f32 v3, v3, v10
	s_nop 0
	v_cndmask_b32_e64 v3, 0, v3, s[54:55]
	v_cmp_nlt_f32_e64 s[54:55], s81, v1
	v_mov_b32_e32 v1, s95
	s_nop 0
	v_cndmask_b32_e64 v3, v213, v3, s[54:55]
	v_add_f32_e32 v10, v3, v2
	v_cndmask_b32_e64 v1, v1, v3, s[56:57]
	v_cndmask_b32_e64 v3, v2, v10, s[56:57]
	v_mul_f32_e32 v10, 0x3fb8aa3b, v4
	v_fma_f32 v11, v4, s3, -v10
	v_rndne_f32_e32 v12, v10
	v_fmac_f32_e32 v11, 0x32a5705f, v4
	v_sub_f32_e32 v10, v10, v12
	v_add_f32_e32 v10, v10, v11
	v_exp_f32_e32 v10, v10
	v_cvt_i32_f32_e32 v11, v12
	v_cmp_ngt_f32_e64 s[54:55], s30, v4
	v_ldexp_f32 v10, v10, v11
	s_nop 0
	v_cndmask_b32_e64 v10, 0, v10, s[54:55]
	v_cmp_nlt_f32_e64 s[54:55], s81, v4
	v_mov_b32_e32 v4, s95
	s_nop 0
	v_cndmask_b32_e64 v10, v213, v10, s[54:55]
	v_add_f32_e32 v11, v3, v10
	v_cndmask_b32_e64 v4, v4, v10, s[58:59]
	v_cndmask_b32_e64 v10, v3, v11, s[58:59]
	v_sub_f32_e32 v3, v5, v36
	v_mul_f32_e32 v5, 0x3fb8aa3b, v3
	v_fma_f32 v11, v3, s3, -v5
	v_rndne_f32_e32 v12, v5
	v_fmac_f32_e32 v11, 0x32a5705f, v3
	v_sub_f32_e32 v5, v5, v12
	v_add_f32_e32 v5, v5, v11
	v_exp_f32_e32 v5, v5
	v_cvt_i32_f32_e32 v11, v12
	v_cmp_ngt_f32_e64 s[54:55], s30, v3
	v_ldexp_f32 v5, v5, v11
	s_nop 0
	v_cndmask_b32_e64 v5, 0, v5, s[54:55]
	v_cmp_nlt_f32_e64 s[54:55], s81, v3
	v_mov_b32_e32 v3, s95
	s_nop 0
	v_cndmask_b32_e64 v5, v213, v5, s[54:55]
	v_add_f32_e32 v11, v10, v5
	v_cndmask_b32_e64 v5, v3, v5, s[50:51]
	v_cndmask_b32_e64 v3, v10, v11, s[50:51]
	v_mul_f32_e32 v10, 0x3fb8aa3b, v6
	v_fma_f32 v11, v6, s3, -v10
	v_rndne_f32_e32 v12, v10
	v_fmac_f32_e32 v11, 0x32a5705f, v6
	v_sub_f32_e32 v10, v10, v12
	v_add_f32_e32 v10, v10, v11
	v_exp_f32_e32 v10, v10
	v_cvt_i32_f32_e32 v11, v12
	v_cmp_ngt_f32_e64 s[50:51], s30, v6
	v_ldexp_f32 v10, v10, v11
	s_nop 0
	v_cndmask_b32_e64 v10, 0, v10, s[50:51]
	v_cmp_nlt_f32_e64 s[50:51], s81, v6
	v_mov_b32_e32 v6, s95
	s_nop 0
	v_cndmask_b32_e64 v10, v213, v10, s[50:51]
	v_add_f32_e32 v11, v10, v3
	v_cndmask_b32_e64 v6, v6, v10, s[48:49]
	v_cndmask_b32_e64 v10, v3, v11, s[48:49]
	v_sub_f32_e32 v3, v7, v36
	v_mul_f32_e32 v7, 0x3fb8aa3b, v3
	v_fma_f32 v11, v3, s3, -v7
	v_rndne_f32_e32 v12, v7
	v_fmac_f32_e32 v11, 0x32a5705f, v3
	v_sub_f32_e32 v7, v7, v12
	v_add_f32_e32 v7, v7, v11
	v_exp_f32_e32 v7, v7
	v_cvt_i32_f32_e32 v11, v12
	v_cmp_ngt_f32_e64 s[48:49], s30, v3
	v_ldexp_f32 v7, v7, v11
	s_nop 0
	v_cndmask_b32_e64 v7, 0, v7, s[48:49]
	v_cmp_nlt_f32_e64 s[48:49], s81, v3
	v_mov_b32_e32 v3, s95
	s_nop 0
	v_cndmask_b32_e64 v7, v213, v7, s[48:49]
	v_add_f32_e32 v11, v7, v10
	v_cndmask_b32_e64 v3, v3, v7, s[46:47]
	v_cndmask_b32_e64 v7, v10, v11, s[46:47]
	v_mul_f32_e32 v10, 0x3fb8aa3b, v8
	v_fma_f32 v11, v8, s3, -v10
	v_rndne_f32_e32 v12, v10
	v_fmac_f32_e32 v11, 0x32a5705f, v8
	v_sub_f32_e32 v10, v10, v12
	v_add_f32_e32 v10, v10, v11
	v_exp_f32_e32 v10, v10
	v_cvt_i32_f32_e32 v11, v12
	v_cmp_ngt_f32_e64 s[46:47], s30, v8
	v_ldexp_f32 v10, v10, v11
	s_nop 0
	v_cndmask_b32_e64 v10, 0, v10, s[46:47]
	v_cmp_nlt_f32_e64 s[46:47], s81, v8
	v_mov_b32_e32 v8, s95
	s_nop 0
	v_cndmask_b32_e64 v10, v213, v10, s[46:47]
	v_add_f32_e32 v11, v10, v7
	v_cndmask_b32_e64 v8, v8, v10, s[44:45]
	v_cndmask_b32_e64 v10, v7, v11, s[44:45]
	v_sub_f32_e32 v7, v9, v36
	v_mul_f32_e32 v9, 0x3fb8aa3b, v7
	v_fma_f32 v11, v7, s3, -v9
	v_rndne_f32_e32 v12, v9
	v_fmac_f32_e32 v11, 0x32a5705f, v7
	v_sub_f32_e32 v9, v9, v12
	v_add_f32_e32 v9, v9, v11
	v_exp_f32_e32 v9, v9
	v_cvt_i32_f32_e32 v11, v12
	v_cmp_ngt_f32_e64 s[44:45], s30, v7
	v_ldexp_f32 v9, v9, v11
	s_nop 0
	v_cndmask_b32_e64 v9, 0, v9, s[44:45]
	v_cmp_nlt_f32_e64 s[44:45], s81, v7
	v_mov_b32_e32 v7, s95
	s_nop 0
	v_cndmask_b32_e64 v9, v213, v9, s[44:45]
	v_add_f32_e32 v11, v9, v10
	v_cndmask_b32_e32 v7, v7, v9, vcc
	v_sub_f32_e32 v9, v120, v36
	v_cndmask_b32_e32 v41, v10, v11, vcc
	v_mul_f32_e32 v10, 0x3fb8aa3b, v9
	v_fma_f32 v11, v9, s3, -v10
	v_rndne_f32_e32 v12, v10
	v_fmac_f32_e32 v11, 0x32a5705f, v9
	v_sub_f32_e32 v10, v10, v12
	v_add_f32_e32 v10, v10, v11
	v_exp_f32_e32 v10, v10
	v_cvt_i32_f32_e32 v11, v12
	v_cmp_ngt_f32_e32 vcc, s30, v9
	v_readlane_b32 s44, v255, 38
	v_readlane_b32 s45, v255, 39
	v_ldexp_f32 v10, v10, v11
	v_cndmask_b32_e32 v10, 0, v10, vcc
	v_cmp_nlt_f32_e32 vcc, s81, v9
	s_nop 1
	v_cndmask_b32_e32 v10, v213, v10, vcc
	v_cmp_le_f32_e32 vcc, s7, v9
	s_nop 1
	v_cndmask_b32_e32 v9, 0, v10, vcc
	v_fmac_f32_e32 v41, v121, v9
	v_cvt_f16_f32_e32 v9, v9
	v_cmp_ne_u64_e32 vcc, 0, v[142:143]
	v_mul_u32_u24_e32 v10, 0x10001, v9
	v_pk_mul_f16 v35, v73, v10
	v_pk_mul_f16 v34, v72, v10
	;; [unrolled: 1-line block ×32, first 2 shown]
	v_lshl_add_u64 v[10:11], v[144:145], 0, s[4:5]
	v_lshl_add_u64 v[14:15], v[110:111], 2, v[10:11]
	;; [unrolled: 1-line block ×5, first 2 shown]
	v_cndmask_b32_e64 v39, v50, v15, s[38:39]
	v_cndmask_b32_e64 v38, v211, v14, s[38:39]
	v_lshl_add_u64 v[14:15], v[112:113], 2, v[10:11]
	v_lshl_add_u64 v[10:11], v[114:115], 2, v[10:11]
	v_cndmask_b32_e64 v13, v50, v13, s[36:37]
	v_cndmask_b32_e64 v12, v211, v12, s[36:37]
	v_lshl_add_u64 v[14:15], v[14:15], 0, v[96:97]
	v_lshl_add_u64 v[10:11], v[10:11], 0, v[96:97]
	v_cndmask_b32_e64 v17, v50, v15, s[40:41]
	v_cndmask_b32_e64 v16, v211, v14, s[40:41]
	;; [unrolled: 1-line block ×4, first 2 shown]
	flat_load_dwordx4 v[10:13], v[12:13]
	v_cvt_f32_f16_e32 v72, v19
	v_cvt_f32_f16_sdwa v73, v19 dst_sel:DWORD dst_unused:UNUSED_PAD src0_sel:WORD_1
	v_cvt_f32_f16_e32 v74, v18
	v_cvt_f32_f16_sdwa v75, v18 dst_sel:DWORD dst_unused:UNUSED_PAD src0_sel:WORD_1
	;; [unrolled: 2-line block ×9, first 2 shown]
	v_cvt_f32_f16_sdwa v91, v42 dst_sel:DWORD dst_unused:UNUSED_PAD src0_sel:WORD_1
	s_and_b64 s[36:37], s[44:45], vcc
	s_waitcnt vmcnt(0) lgkmcnt(0)
	ds_write_b128 v201, v[10:13]
	flat_load_dwordx4 v[10:13], v[38:39]
	v_cvt_pk_f16_f32 v39, v4, v5
	v_cvt_pk_f16_f32 v38, v2, v1
	s_waitcnt vmcnt(0) lgkmcnt(0)
	ds_write_b128 v254, v[10:13]
	flat_load_dwordx4 v[10:13], v[16:17]
	s_waitcnt vmcnt(0) lgkmcnt(0)
	ds_write_b128 v248, v[10:13]
	flat_load_dwordx4 v[10:13], v[14:15]
	s_waitcnt vmcnt(0) lgkmcnt(0)
	ds_write_b128 v246, v[10:13]
	s_waitcnt lgkmcnt(0)
	s_barrier
	ds_read_u16 v14, v204 offset:528
	ds_read_u16 v15, v204 offset:1056
	ds_read_u16 v16, v205
	ds_read_u16 v17, v205 offset:32
	v_cvt_f32_f16_e32 v10, v35
	v_cvt_f32_f16_sdwa v11, v35 dst_sel:DWORD dst_unused:UNUSED_PAD src0_sel:WORD_1
	v_cvt_f32_f16_e32 v12, v34
	s_waitcnt lgkmcnt(1)
	v_perm_b32 v15, v16, v15, s84
	ds_read_u16 v16, v204
	ds_read_u16 v53, v204 offset:32
	v_cvt_f32_f16_sdwa v13, v34 dst_sel:DWORD dst_unused:UNUSED_PAD src0_sel:WORD_1
	v_cvt_pk_f16_f32 v35, v8, v7
	v_cvt_f32_f16_sdwa v7, v44 dst_sel:DWORD dst_unused:UNUSED_PAD src0_sel:WORD_1
	s_waitcnt lgkmcnt(1)
	v_perm_b32 v14, v14, v16, s84
	s_nop 1
	v_mfma_f32_16x16x16_f16 v[10:13], v[14:15], v[38:39], v[10:13]
	ds_read_u16 v14, v204 offset:16896
	ds_read_u16 v15, v204 offset:17424
	;; [unrolled: 1-line block ×4, first 2 shown]
	s_nop 3
	v_cvt_f16_f32_e32 v4, v12
	v_cvt_f16_f32_e32 v5, v13
	;; [unrolled: 1-line block ×4, first 2 shown]
	v_cvt_f32_f16_e32 v12, v4
	v_cvt_f32_f16_e32 v13, v5
	s_waitcnt lgkmcnt(0)
	v_perm_b32 v5, v34, v16, s84
	v_perm_b32 v4, v15, v14, s84
	v_cvt_f32_f16_e32 v10, v1
	v_cvt_f32_f16_e32 v11, v2
	v_cvt_pk_f16_f32 v34, v6, v3
	v_cvt_f32_f16_e32 v6, v44
	s_nop 0
	v_mfma_f32_16x16x16_f16 v[2:5], v[4:5], v[34:35], v[10:13]
	ds_read_u16 v8, v204 offset:560
	s_nop 1
	ds_read_u16 v10, v204 offset:1088
	s_waitcnt lgkmcnt(0)
	v_perm_b32 v11, v17, v10, s84
	s_nop 1
	v_cvt_f16_f32_e32 v1, v4
	v_cvt_f16_f32_e32 v4, v5
	v_perm_b32 v10, v8, v53, s84
	v_cvt_f32_f16_sdwa v5, v52 dst_sel:DWORD dst_unused:UNUSED_PAD src0_sel:WORD_1
	v_cvt_f16_f32_e32 v50, v2
	v_perm_b32 v1, v4, v1, s84
	v_cvt_f32_f16_e32 v4, v52
	v_cvt_f16_f32_e32 v51, v3
	v_perm_b32 v50, v51, v50, s84
	v_mfma_f32_16x16x16_f16 v[4:7], v[10:11], v[38:39], v[4:7]
	ds_read_u16 v8, v204 offset:16928
	ds_read_u16 v10, v204 offset:17456
	;; [unrolled: 1-line block ×4, first 2 shown]
	s_waitcnt lgkmcnt(2)
	v_perm_b32 v10, v10, v8, s84
	s_nop 1
	v_cvt_f16_f32_e32 v4, v4
	v_cvt_f16_f32_e32 v5, v5
	;; [unrolled: 1-line block ×4, first 2 shown]
	s_waitcnt lgkmcnt(0)
	v_perm_b32 v11, v12, v11, s84
	v_cvt_f32_f16_e32 v4, v4
	v_cvt_f32_f16_e32 v5, v5
	;; [unrolled: 1-line block ×5, first 2 shown]
	v_cvt_f32_f16_sdwa v9, v9 dst_sel:DWORD dst_unused:UNUSED_PAD src0_sel:WORD_1
	v_mfma_f32_16x16x16_f16 v[4:7], v[10:11], v[34:35], v[4:7]
	ds_read_u16 v10, v204 offset:64
	ds_read_u16 v12, v204 offset:592
	;; [unrolled: 1-line block ×4, first 2 shown]
	s_nop 3
	v_cvt_f16_f32_e32 v6, v6
	v_cvt_f16_f32_e32 v7, v7
	s_waitcnt lgkmcnt(0)
	v_perm_b32 v11, v13, v11, s84
	v_perm_b32 v10, v12, v10, s84
	v_cvt_f16_f32_e32 v52, v4
	v_perm_b32 v44, v7, v6, s84
	v_cvt_f32_f16_e32 v6, v45
	v_cvt_f32_f16_sdwa v7, v45 dst_sel:DWORD dst_unused:UNUSED_PAD src0_sel:WORD_1
	v_cvt_f16_f32_e32 v53, v5
	v_perm_b32 v52, v53, v52, s84
	v_mfma_f32_16x16x16_f16 v[6:9], v[10:11], v[38:39], v[6:9]
	ds_read_u16 v10, v204 offset:16960
	ds_read_u16 v12, v204 offset:17488
	;; [unrolled: 1-line block ×4, first 2 shown]
	s_waitcnt lgkmcnt(2)
	v_perm_b32 v10, v12, v10, s84
	s_nop 1
	v_cvt_f16_f32_e32 v6, v6
	v_cvt_f16_f32_e32 v7, v7
	;; [unrolled: 1-line block ×4, first 2 shown]
	s_waitcnt lgkmcnt(0)
	v_perm_b32 v11, v13, v11, s84
	v_cvt_f32_f16_e32 v6, v6
	v_cvt_f32_f16_e32 v7, v7
	v_cvt_f32_f16_e32 v8, v8
	v_cvt_f32_f16_e32 v9, v9
	ds_read_u16 v12, v204 offset:96
	ds_read_u16 v14, v204 offset:624
	ds_read_u16 v13, v204 offset:1152
	ds_read_u16 v15, v205 offset:96
	v_mfma_f32_16x16x16_f16 v[6:9], v[10:11], v[34:35], v[6:9]
	s_waitcnt lgkmcnt(2)
	v_perm_b32 v12, v14, v12, s84
	s_waitcnt lgkmcnt(0)
	v_perm_b32 v13, v15, v13, s84
	v_cvt_f32_f16_e32 v10, v47
	s_nop 2
	v_cvt_f16_f32_e32 v8, v8
	v_cvt_f16_f32_e32 v9, v9
	v_cvt_f32_f16_sdwa v11, v47 dst_sel:DWORD dst_unused:UNUSED_PAD src0_sel:WORD_1
	v_cvt_f16_f32_e32 v58, v6
	v_cvt_f16_f32_e32 v59, v7
	v_perm_b32 v45, v9, v8, s84
	v_cvt_f32_f16_e32 v8, v61
	v_cvt_f32_f16_sdwa v9, v61 dst_sel:DWORD dst_unused:UNUSED_PAD src0_sel:WORD_1
	v_perm_b32 v58, v59, v58, s84
	s_nop 0
	v_mfma_f32_16x16x16_f16 v[8:11], v[12:13], v[38:39], v[8:11]
	ds_read_u16 v12, v204 offset:16992
	ds_read_u16 v14, v204 offset:17520
	ds_read_u16 v13, v204 offset:18048
	ds_read_u16 v15, v205 offset:16992
	s_nop 3
	v_cvt_f16_f32_e32 v8, v8
	v_cvt_f16_f32_e32 v9, v9
	v_cvt_f16_f32_e32 v10, v10
	v_cvt_f16_f32_e32 v11, v11
	s_waitcnt lgkmcnt(0)
	v_perm_b32 v13, v15, v13, s84
	v_perm_b32 v12, v14, v12, s84
	v_cvt_f32_f16_e32 v8, v8
	v_cvt_f32_f16_e32 v9, v9
	v_cvt_f32_f16_e32 v10, v10
	v_cvt_f32_f16_e32 v11, v11
	ds_read_u16 v14, v204 offset:128
	ds_read_u16 v16, v204 offset:656
	ds_read_u16 v15, v204 offset:1184
	ds_read_u16 v17, v205 offset:128
	v_mfma_f32_16x16x16_f16 v[8:11], v[12:13], v[34:35], v[8:11]
	s_waitcnt lgkmcnt(2)
	v_perm_b32 v14, v16, v14, s84
	s_waitcnt lgkmcnt(0)
	v_perm_b32 v15, v17, v15, s84
	v_cvt_f32_f16_e32 v12, v49
	s_nop 2
	v_cvt_f16_f32_e32 v10, v10
	v_cvt_f16_f32_e32 v11, v11
	v_cvt_f32_f16_sdwa v13, v49 dst_sel:DWORD dst_unused:UNUSED_PAD src0_sel:WORD_1
	v_cvt_f16_f32_e32 v62, v8
	v_cvt_f16_f32_e32 v63, v9
	v_perm_b32 v47, v11, v10, s84
	v_cvt_f32_f16_e32 v10, v56
	v_cvt_f32_f16_sdwa v11, v56 dst_sel:DWORD dst_unused:UNUSED_PAD src0_sel:WORD_1
	v_perm_b32 v62, v63, v62, s84
	s_nop 0
	v_mfma_f32_16x16x16_f16 v[10:13], v[14:15], v[38:39], v[10:13]
	ds_read_u16 v14, v204 offset:17024
	ds_read_u16 v16, v204 offset:17552
	ds_read_u16 v15, v204 offset:18080
	ds_read_u16 v17, v205 offset:17024
	s_nop 3
	v_cvt_f16_f32_e32 v10, v10
	v_cvt_f16_f32_e32 v11, v11
	v_cvt_f16_f32_e32 v12, v12
	v_cvt_f16_f32_e32 v13, v13
	s_waitcnt lgkmcnt(0)
	v_perm_b32 v15, v17, v15, s84
	;; [unrolled: 38-line block ×4, first 2 shown]
	v_perm_b32 v56, v48, v46, s84
	v_cvt_f32_f16_e32 v14, v14
	v_cvt_f32_f16_e32 v15, v15
	;; [unrolled: 1-line block ×4, first 2 shown]
	s_nop 1
	v_mfma_f32_16x16x16_f16 v[14:17], v[56:57], v[34:35], v[14:17]
	s_nop 7
	v_cvt_f16_f32_e32 v16, v16
	v_cvt_f16_f32_e32 v17, v17
	;; [unrolled: 1-line block ×4, first 2 shown]
	v_perm_b32 v57, v17, v16, s84
	ds_read_u16 v16, v204 offset:224
	ds_read_u16 v46, v204 offset:752
	;; [unrolled: 1-line block ×4, first 2 shown]
	v_perm_b32 v69, v70, v69, s84
	s_waitcnt lgkmcnt(2)
	v_perm_b32 v16, v46, v16, s84
	s_waitcnt lgkmcnt(0)
	v_perm_b32 v17, v48, v17, s84
	ds_read_u16 v46, v204 offset:17120
	ds_read_u16 v48, v204 offset:17648
	;; [unrolled: 1-line block ×4, first 2 shown]
	v_mfma_f32_16x16x16_f16 v[16:19], v[16:17], v[38:39], v[72:75]
	s_waitcnt lgkmcnt(0)
	v_perm_b32 v61, v56, v54, s84
	v_perm_b32 v60, v48, v46, s84
	s_nop 4
	v_cvt_f16_f32_e32 v16, v16
	v_cvt_f16_f32_e32 v17, v17
	;; [unrolled: 1-line block ×4, first 2 shown]
	v_cvt_f32_f16_e32 v16, v16
	v_cvt_f32_f16_e32 v17, v17
	;; [unrolled: 1-line block ×4, first 2 shown]
	s_nop 1
	v_mfma_f32_16x16x16_f16 v[16:19], v[60:61], v[34:35], v[16:19]
	s_nop 7
	v_cvt_f16_f32_e32 v18, v18
	v_cvt_f16_f32_e32 v19, v19
	;; [unrolled: 1-line block ×4, first 2 shown]
	v_perm_b32 v71, v19, v18, s84
	ds_read_u16 v18, v204 offset:256
	ds_read_u16 v46, v204 offset:784
	;; [unrolled: 1-line block ×4, first 2 shown]
	v_perm_b32 v74, v75, v74, s84
	s_waitcnt lgkmcnt(2)
	v_perm_b32 v18, v46, v18, s84
	s_waitcnt lgkmcnt(0)
	v_perm_b32 v19, v48, v19, s84
	ds_read_u16 v46, v204 offset:17152
	ds_read_u16 v48, v204 offset:17680
	ds_read_u16 v54, v204 offset:18208
	ds_read_u16 v56, v205 offset:17152
	v_mfma_f32_16x16x16_f16 v[18:21], v[18:19], v[38:39], v[76:79]
	s_waitcnt lgkmcnt(0)
	v_perm_b32 v61, v56, v54, s84
	v_perm_b32 v60, v48, v46, s84
	v_cvt_f32_f16_e32 v78, v23
	s_nop 3
	v_cvt_f16_f32_e32 v18, v18
	v_cvt_f16_f32_e32 v19, v19
	;; [unrolled: 1-line block ×4, first 2 shown]
	v_cvt_f32_f16_e32 v18, v18
	v_cvt_f32_f16_e32 v19, v19
	;; [unrolled: 1-line block ×4, first 2 shown]
	v_cvt_f32_f16_sdwa v79, v23 dst_sel:DWORD dst_unused:UNUSED_PAD src0_sel:WORD_1
	s_nop 0
	v_mfma_f32_16x16x16_f16 v[18:21], v[60:61], v[34:35], v[18:21]
	s_nop 7
	v_cvt_f16_f32_e32 v20, v20
	v_cvt_f16_f32_e32 v21, v21
	;; [unrolled: 1-line block ×4, first 2 shown]
	v_perm_b32 v46, v21, v20, s84
	ds_read_u16 v20, v204 offset:288
	ds_read_u16 v48, v204 offset:816
	;; [unrolled: 1-line block ×4, first 2 shown]
	v_perm_b32 v73, v76, v73, s84
	s_waitcnt lgkmcnt(2)
	v_perm_b32 v20, v48, v20, s84
	s_waitcnt lgkmcnt(0)
	v_perm_b32 v21, v54, v21, s84
	ds_read_u16 v48, v204 offset:17184
	ds_read_u16 v54, v204 offset:17712
	;; [unrolled: 1-line block ×4, first 2 shown]
	v_mfma_f32_16x16x16_f16 v[20:23], v[20:21], v[38:39], v[78:81]
	s_waitcnt lgkmcnt(0)
	v_perm_b32 v61, v60, v56, s84
	v_perm_b32 v60, v54, v48, s84
	v_cvt_f32_f16_e32 v78, v25
	s_nop 3
	v_cvt_f16_f32_e32 v20, v20
	v_cvt_f16_f32_e32 v21, v21
	;; [unrolled: 1-line block ×4, first 2 shown]
	v_cvt_f32_f16_e32 v20, v20
	v_cvt_f32_f16_e32 v21, v21
	;; [unrolled: 1-line block ×4, first 2 shown]
	v_cvt_f32_f16_sdwa v79, v25 dst_sel:DWORD dst_unused:UNUSED_PAD src0_sel:WORD_1
	v_cvt_f32_f16_e32 v80, v24
	v_mfma_f32_16x16x16_f16 v[20:23], v[60:61], v[34:35], v[20:23]
	v_cvt_f32_f16_sdwa v81, v24 dst_sel:DWORD dst_unused:UNUSED_PAD src0_sel:WORD_1
	s_nop 6
	v_cvt_f16_f32_e32 v22, v22
	v_cvt_f16_f32_e32 v23, v23
	;; [unrolled: 1-line block ×4, first 2 shown]
	v_perm_b32 v48, v23, v22, s84
	ds_read_u16 v22, v204 offset:320
	ds_read_u16 v54, v204 offset:848
	;; [unrolled: 1-line block ×4, first 2 shown]
	v_perm_b32 v72, v77, v72, s84
	s_waitcnt lgkmcnt(2)
	v_perm_b32 v22, v54, v22, s84
	s_waitcnt lgkmcnt(0)
	v_perm_b32 v23, v56, v23, s84
	ds_read_u16 v54, v204 offset:17216
	ds_read_u16 v56, v204 offset:17744
	ds_read_u16 v60, v204 offset:18272
	ds_read_u16 v61, v205 offset:17216
	v_mfma_f32_16x16x16_f16 v[22:25], v[22:23], v[38:39], v[78:81]
	s_waitcnt lgkmcnt(0)
	v_perm_b32 v61, v61, v60, s84
	v_perm_b32 v60, v56, v54, s84
	v_cvt_f32_f16_e32 v80, v27
	s_nop 3
	v_cvt_f16_f32_e32 v22, v22
	v_cvt_f16_f32_e32 v23, v23
	;; [unrolled: 1-line block ×4, first 2 shown]
	v_cvt_f32_f16_e32 v22, v22
	v_cvt_f32_f16_e32 v23, v23
	;; [unrolled: 1-line block ×4, first 2 shown]
	v_cvt_f32_f16_sdwa v81, v27 dst_sel:DWORD dst_unused:UNUSED_PAD src0_sel:WORD_1
	s_nop 0
	v_mfma_f32_16x16x16_f16 v[22:25], v[60:61], v[34:35], v[22:25]
	s_nop 7
	v_cvt_f16_f32_e32 v24, v24
	v_cvt_f16_f32_e32 v25, v25
	;; [unrolled: 1-line block ×4, first 2 shown]
	v_perm_b32 v54, v25, v24, s84
	ds_read_u16 v24, v204 offset:352
	ds_read_u16 v56, v204 offset:880
	;; [unrolled: 1-line block ×4, first 2 shown]
	s_waitcnt lgkmcnt(2)
	v_perm_b32 v24, v56, v24, s84
	s_waitcnt lgkmcnt(0)
	v_perm_b32 v25, v60, v25, s84
	ds_read_u16 v56, v204 offset:17248
	ds_read_u16 v60, v204 offset:17776
	;; [unrolled: 1-line block ×4, first 2 shown]
	v_mfma_f32_16x16x16_f16 v[24:27], v[24:25], v[38:39], v[80:83]
	s_waitcnt lgkmcnt(0)
	v_perm_b32 v61, v64, v61, s84
	v_perm_b32 v60, v60, v56, s84
	v_cvt_f32_f16_e32 v82, v29
	s_nop 3
	v_cvt_f16_f32_e32 v24, v24
	v_cvt_f16_f32_e32 v25, v25
	;; [unrolled: 1-line block ×4, first 2 shown]
	v_cvt_f32_f16_e32 v24, v24
	v_cvt_f32_f16_e32 v25, v25
	v_cvt_f32_f16_e32 v26, v26
	v_cvt_f32_f16_e32 v27, v27
	v_cvt_f32_f16_sdwa v83, v29 dst_sel:DWORD dst_unused:UNUSED_PAD src0_sel:WORD_1
	s_nop 0
	v_mfma_f32_16x16x16_f16 v[24:27], v[60:61], v[34:35], v[24:27]
	s_nop 7
	v_cvt_f16_f32_e32 v26, v26
	v_cvt_f16_f32_e32 v27, v27
	v_cvt_f16_f32_e32 v80, v24
	v_cvt_f16_f32_e32 v81, v25
	v_perm_b32 v56, v27, v26, s84
	ds_read_u16 v26, v204 offset:384
	ds_read_u16 v60, v204 offset:912
	;; [unrolled: 1-line block ×4, first 2 shown]
	s_waitcnt lgkmcnt(2)
	v_perm_b32 v26, v60, v26, s84
	s_waitcnt lgkmcnt(0)
	v_perm_b32 v27, v61, v27, s84
	s_nop 1
	v_mfma_f32_16x16x16_f16 v[26:29], v[26:27], v[38:39], v[82:85]
	ds_read_u16 v60, v204 offset:17280
	ds_read_u16 v64, v204 offset:17808
	ds_read_u16 v61, v204 offset:18336
	ds_read_u16 v82, v205 offset:17280
	v_cvt_f32_f16_e32 v84, v31
	v_cvt_f32_f16_sdwa v85, v31 dst_sel:DWORD dst_unused:UNUSED_PAD src0_sel:WORD_1
	s_nop 1
	v_cvt_f16_f32_e32 v26, v26
	v_cvt_f16_f32_e32 v27, v27
	;; [unrolled: 1-line block ×4, first 2 shown]
	s_waitcnt lgkmcnt(0)
	v_perm_b32 v61, v82, v61, s84
	v_perm_b32 v60, v64, v60, s84
	v_cvt_f32_f16_e32 v26, v26
	v_cvt_f32_f16_e32 v27, v27
	;; [unrolled: 1-line block ×4, first 2 shown]
	s_nop 1
	v_mfma_f32_16x16x16_f16 v[26:29], v[60:61], v[34:35], v[26:29]
	s_nop 7
	v_cvt_f16_f32_e32 v28, v28
	v_cvt_f16_f32_e32 v29, v29
	;; [unrolled: 1-line block ×4, first 2 shown]
	v_perm_b32 v60, v29, v28, s84
	ds_read_u16 v28, v204 offset:416
	ds_read_u16 v61, v204 offset:944
	;; [unrolled: 1-line block ×4, first 2 shown]
	s_waitcnt lgkmcnt(2)
	v_perm_b32 v28, v61, v28, s84
	s_waitcnt lgkmcnt(0)
	v_perm_b32 v29, v64, v29, s84
	s_nop 1
	v_mfma_f32_16x16x16_f16 v[28:31], v[28:29], v[38:39], v[84:87]
	ds_read_u16 v61, v204 offset:17312
	ds_read_u16 v64, v204 offset:17840
	s_nop 0
	ds_read_u16 v84, v204 offset:18368
	ds_read_u16 v85, v205 offset:17312
	v_cvt_f32_f16_e32 v86, v33
	v_cvt_f32_f16_sdwa v87, v33 dst_sel:DWORD dst_unused:UNUSED_PAD src0_sel:WORD_1
	s_nop 0
	v_cvt_f16_f32_e32 v28, v28
	v_cvt_f16_f32_e32 v29, v29
	;; [unrolled: 1-line block ×4, first 2 shown]
	s_waitcnt lgkmcnt(0)
	v_perm_b32 v85, v85, v84, s84
	v_perm_b32 v84, v64, v61, s84
	v_cvt_f32_f16_e32 v28, v28
	v_cvt_f32_f16_e32 v29, v29
	;; [unrolled: 1-line block ×4, first 2 shown]
	s_nop 1
	v_mfma_f32_16x16x16_f16 v[28:31], v[84:85], v[34:35], v[28:31]
	s_nop 7
	v_cvt_f16_f32_e32 v30, v30
	v_cvt_f16_f32_e32 v31, v31
	;; [unrolled: 1-line block ×4, first 2 shown]
	v_perm_b32 v61, v31, v30, s84
	ds_read_u16 v30, v204 offset:448
	ds_read_u16 v64, v204 offset:976
	;; [unrolled: 1-line block ×4, first 2 shown]
	s_waitcnt lgkmcnt(2)
	v_perm_b32 v30, v64, v30, s84
	s_waitcnt lgkmcnt(0)
	v_perm_b32 v31, v90, v31, s84
	v_cvt_f32_f16_e32 v90, v42
	s_nop 0
	v_mfma_f32_16x16x16_f16 v[30:33], v[30:31], v[38:39], v[86:89]
	ds_read_u16 v64, v204 offset:17344
	s_nop 1
	ds_read_u16 v86, v204 offset:17872
	ds_read_u16 v87, v204 offset:18400
	;; [unrolled: 1-line block ×3, first 2 shown]
	v_cvt_f32_f16_sdwa v89, v43 dst_sel:DWORD dst_unused:UNUSED_PAD src0_sel:WORD_1
	s_nop 0
	v_cvt_f16_f32_e32 v30, v30
	v_cvt_f16_f32_e32 v31, v31
	;; [unrolled: 1-line block ×4, first 2 shown]
	s_waitcnt lgkmcnt(0)
	v_perm_b32 v87, v88, v87, s84
	v_perm_b32 v86, v86, v64, s84
	v_cvt_f32_f16_e32 v30, v30
	v_cvt_f32_f16_e32 v31, v31
	;; [unrolled: 1-line block ×5, first 2 shown]
	s_nop 0
	v_mfma_f32_16x16x16_f16 v[30:33], v[86:87], v[34:35], v[30:33]
	s_nop 7
	v_cvt_f16_f32_e32 v32, v32
	v_cvt_f16_f32_e32 v33, v33
	;; [unrolled: 1-line block ×4, first 2 shown]
	v_perm_b32 v64, v33, v32, s84
	ds_read_u16 v32, v204 offset:480
	ds_read_u16 v92, v204 offset:1008
	;; [unrolled: 1-line block ×4, first 2 shown]
	s_waitcnt lgkmcnt(2)
	v_perm_b32 v32, v92, v32, s84
	s_waitcnt lgkmcnt(0)
	v_perm_b32 v33, v93, v33, s84
	s_nop 1
	v_mfma_f32_16x16x16_f16 v[88:91], v[32:33], v[38:39], v[88:91]
	s_nop 7
	v_cvt_f16_f32_e32 v38, v88
	v_cvt_f16_f32_e32 v39, v89
	ds_read_u16 v32, v204 offset:17376
	ds_read_u16 v33, v204 offset:17904
	;; [unrolled: 1-line block ×4, first 2 shown]
	v_cvt_f16_f32_e32 v42, v90
	v_cvt_f16_f32_e32 v43, v91
	v_cvt_f32_f16_e32 v90, v38
	v_cvt_f32_f16_e32 v91, v39
	s_waitcnt lgkmcnt(0)
	v_perm_b32 v39, v89, v88, s84
	v_perm_b32 v38, v33, v32, s84
	v_cvt_f32_f16_e32 v92, v42
	v_cvt_f32_f16_e32 v93, v43
	v_perm_b32 v42, v81, v80, s84
	v_perm_b32 v43, v79, v78, s84
	v_mfma_f32_16x16x16_f16 v[32:35], v[38:39], v[34:35], v[90:93]
	s_barrier
	s_nop 6
	v_cvt_f16_f32_e32 v34, v34
	v_cvt_f16_f32_e32 v35, v35
	;; [unrolled: 1-line block ×4, first 2 shown]
	v_perm_b32 v34, v35, v34, s84
	ds_bpermute_b32 v35, v37, v41
	s_waitcnt lgkmcnt(0)
	v_add_f32_e32 v35, v41, v35
	ds_bpermute_b32 v37, v40, v35
	v_perm_b32 v41, v83, v82, s84
	s_waitcnt lgkmcnt(0)
	v_add_f32_e32 v37, v35, v37
	v_perm_b32 v35, v39, v38, s84
	v_perm_b32 v38, v87, v86, s84
	v_perm_b32 v39, v85, v84, s84
	s_and_saveexec_b64 s[4:5], s[36:37]
	s_cbranch_execz .LBB30_148
; %bb.147:                              ;   in Loop: Header=BB30_14 Depth=1
	v_cvt_pk_f16_f32 v4, v4, v5
	v_cvt_pk_f16_f32 v5, v6, v7
	v_cvt_pk_f16_f32 v7, v10, v11
	v_cvt_pk_f16_f32 v11, v18, v19
	global_load_dword v19, v[142:143], off
	v_cvt_pk_f16_f32 v3, v2, v3
	v_cvt_pk_f16_f32 v6, v8, v9
	;; [unrolled: 1-line block ×4, first 2 shown]
	v_max_f32_e32 v20, v36, v36
	v_cvt_pk_f16_f32 v13, v22, v23
	v_cvt_pk_f16_f32 v9, v14, v15
	;; [unrolled: 1-line block ×8, first 2 shown]
	s_waitcnt vmcnt(0)
	v_max_f32_e32 v2, v19, v19
	v_max_f32_e32 v2, v20, v2
	v_sub_f32_e32 v20, v36, v2
	v_mul_f32_e32 v21, 0x3fb8aa3b, v20
	v_fma_f32 v22, v20, s3, -v21
	v_rndne_f32_e32 v23, v21
	v_fmac_f32_e32 v22, 0x32a5705f, v20
	v_sub_f32_e32 v21, v21, v23
	v_add_f32_e32 v21, v21, v22
	v_exp_f32_e32 v21, v21
	v_cvt_i32_f32_e32 v22, v23
	v_cmp_ngt_f32_e32 vcc, s30, v20
	v_sub_f32_e32 v19, v19, v2
	v_ldexp_f32 v21, v21, v22
	v_cndmask_b32_e32 v21, 0, v21, vcc
	v_cmp_nlt_f32_e32 vcc, s81, v20
	s_nop 1
	v_cndmask_b32_e32 v21, v213, v21, vcc
	v_cmp_le_f32_e32 vcc, s7, v20
	s_nop 1
	v_cndmask_b32_e32 v20, 0, v21, vcc
	v_cvt_f16_f32_e32 v21, v20
	v_cmp_ngt_f32_e32 vcc, s30, v19
	v_mul_u32_u24_e32 v21, 0x10001, v21
	v_pk_mul_f16 v50, v3, v21
	v_mul_f32_e32 v3, 0x3fb8aa3b, v19
	v_pk_mul_f16 v52, v4, v21
	v_pk_mul_f16 v58, v5, v21
	v_fma_f32 v4, v19, s3, -v3
	v_rndne_f32_e32 v5, v3
	v_fmac_f32_e32 v4, 0x32a5705f, v19
	v_sub_f32_e32 v3, v3, v5
	v_add_f32_e32 v3, v3, v4
	v_exp_f32_e32 v3, v3
	v_cvt_i32_f32_e32 v4, v5
	v_pk_mul_f16 v1, v1, v21
	v_pk_mul_f16 v44, v44, v21
	;; [unrolled: 1-line block ×3, first 2 shown]
	v_ldexp_f32 v3, v3, v4
	v_cndmask_b32_e32 v3, 0, v3, vcc
	v_cmp_nlt_f32_e32 vcc, s81, v19
	v_pk_mul_f16 v62, v6, v21
	v_pk_mul_f16 v47, v47, v21
	v_cndmask_b32_e32 v3, v213, v3, vcc
	v_fmac_f32_e32 v3, v37, v20
	v_pk_mul_f16 v65, v7, v21
	v_pk_mul_f16 v49, v49, v21
	;; [unrolled: 1-line block ×24, first 2 shown]
	v_mov_b64_e32 v[36:37], v[2:3]
.LBB30_148:                             ;   in Loop: Header=BB30_14 Depth=1
	s_or_b64 exec, exec, s[4:5]
	s_mov_b64 s[4:5], exec
	v_readlane_b32 s36, v255, 55
	v_readlane_b32 s37, v255, 56
	s_and_b64 s[36:37], s[4:5], s[36:37]
	s_mov_b32 s42, s63
	s_movk_i32 s43, 0x47
	s_mov_b64 exec, s[36:37]
; %bb.149:                              ;   in Loop: Header=BB30_14 Depth=1
	v_add_u32_e32 v2, 0, v231
	ds_write2_b32 v2, v36, v37 offset0:64 offset1:65
; %bb.150:                              ;   in Loop: Header=BB30_14 Depth=1
	s_or_b64 exec, exec, s[4:5]
	s_waitcnt lgkmcnt(0)
	s_barrier
	s_mov_b64 s[4:5], exec
	v_readlane_b32 s36, v255, 40
	v_readlane_b32 s37, v255, 41
	s_and_b64 s[36:37], s[4:5], s[36:37]
	s_xor_b64 s[4:5], s[36:37], s[4:5]
	s_mov_b64 exec, s[36:37]
	s_cbranch_execz .LBB30_152
; %bb.151:                              ;   in Loop: Header=BB30_14 Depth=1
	s_barrier
                                        ; implicit-def: $vgpr40
.LBB30_152:                             ;   in Loop: Header=BB30_14 Depth=1
	s_andn2_saveexec_b64 s[4:5], s[4:5]
	s_cbranch_execz .LBB30_158
; %bb.153:                              ;   in Loop: Header=BB30_14 Depth=1
	v_add_u32_e32 v3, 0, v232
	ds_read_b64 v[6:7], v3 offset:256
	s_waitcnt lgkmcnt(0)
	s_barrier
	ds_bpermute_b32 v2, v40, v6
	v_max_f32_e32 v4, v6, v6
	s_waitcnt lgkmcnt(0)
	v_max_f32_e32 v2, v2, v2
	v_max_f32_e32 v2, v4, v2
	v_sub_f32_e32 v4, v6, v2
	v_mul_f32_e32 v5, 0x3fb8aa3b, v4
	v_fma_f32 v6, v4, s3, -v5
	v_rndne_f32_e32 v8, v5
	v_fmac_f32_e32 v6, 0x32a5705f, v4
	v_sub_f32_e32 v5, v5, v8
	v_add_f32_e32 v5, v5, v6
	v_cvt_i32_f32_e32 v8, v8
	v_exp_f32_e32 v5, v5
	v_cmp_ngt_f32_e32 vcc, s30, v4
	v_ldexp_f32 v5, v5, v8
	s_nop 0
	v_cndmask_b32_e32 v5, 0, v5, vcc
	v_cmp_nlt_f32_e32 vcc, s81, v4
	s_nop 1
	v_cndmask_b32_e32 v4, v213, v5, vcc
	v_mul_f32_e32 v5, v7, v4
	ds_bpermute_b32 v5, v40, v5
	s_waitcnt lgkmcnt(0)
	v_fmac_f32_e32 v5, v7, v4
	s_mov_b64 s[36:37], exec
	v_readlane_b32 s38, v255, 57
	v_readlane_b32 s39, v255, 58
	s_and_b64 s[38:39], s[36:37], s[38:39]
	s_mov_b64 exec, s[38:39]
; %bb.154:                              ;   in Loop: Header=BB30_14 Depth=1
	ds_write_b64 v3, v[4:5] offset:256
; %bb.155:                              ;   in Loop: Header=BB30_14 Depth=1
	s_or_b64 exec, exec, s[36:37]
	s_mov_b64 s[36:37], exec
	v_readlane_b32 s38, v255, 55
	v_readlane_b32 s39, v255, 56
	s_and_b64 s[38:39], s[36:37], s[38:39]
	s_mov_b64 exec, s[38:39]
	s_cbranch_execz .LBB30_157
; %bb.156:                              ;   in Loop: Header=BB30_14 Depth=1
	v_mov_b32_e32 v3, v5
	scratch_load_dwordx2 v[4:5], off, off offset:72 ; 8-byte Folded Reload
	s_waitcnt vmcnt(0)
	global_store_dwordx2 v[4:5], v[2:3], off
.LBB30_157:                             ;   in Loop: Header=BB30_14 Depth=1
	s_or_b64 exec, exec, s[36:37]
.LBB30_158:                             ;   in Loop: Header=BB30_14 Depth=1
	s_or_b64 exec, exec, s[4:5]
	ds_write2_b32 v206, v50, v1 offset1:1
	ds_write2_b32 v206, v52, v44 offset0:8 offset1:9
	ds_write2_b32 v206, v58, v45 offset0:16 offset1:17
	;; [unrolled: 1-line block ×7, first 2 shown]
	v_add_u32_e32 v1, v207, v238
	s_waitcnt lgkmcnt(0)
	s_barrier
	s_and_saveexec_b64 s[4:5], s[44:45]
	s_cbranch_execz .LBB30_236
; %bb.159:                              ;   in Loop: Header=BB30_14 Depth=1
	v_cmp_gt_i32_e32 vcc, s80, v1
	v_mov_b32_e32 v2, 0x47
	s_and_saveexec_b64 s[36:37], vcc
	s_cbranch_execz .LBB30_161
; %bb.160:                              ;   in Loop: Header=BB30_14 Depth=1
	v_add_u32_e32 v4, v198, v233
	ds_read2st64_b32 v[4:5], v4 offset1:17
	v_add_u32_e32 v2, 0, v233
	ds_read2st64_b32 v[2:3], v2 offset0:1 offset1:18
	v_readlane_b32 s38, v255, 49
	s_waitcnt lgkmcnt(1)
	v_cvt_f32_f16_e32 v8, v4
	v_cvt_f32_f16_sdwa v9, v4 dst_sel:DWORD dst_unused:UNUSED_PAD src0_sel:WORD_1
	v_cvt_f32_f16_e32 v4, v5
	v_cvt_f32_f16_sdwa v5, v5 dst_sel:DWORD dst_unused:UNUSED_PAD src0_sel:WORD_1
	v_mad_u64_u32 v[6:7], s[38:39], v1, s38, v[94:95]
	v_ashrrev_i32_e32 v7, 31, v6
	s_waitcnt lgkmcnt(0)
	v_pk_fma_f32 v[8:9], v[2:3], v[8:9], 0 op_sel_hi:[0,1,0]
	v_mov_b32_e32 v2, v3
	v_lshl_add_u64 v[6:7], v[6:7], 3, v[140:141]
	v_pk_fma_f32 v[2:3], v[2:3], v[4:5], v[8:9] op_sel_hi:[0,1,1]
	global_store_dwordx2 v[6:7], v[2:3], off
	v_mov_b32_e32 v2, 0
.LBB30_161:                             ;   in Loop: Header=BB30_14 Depth=1
	s_or_b64 exec, exec, s[36:37]
	v_cmp_gt_i32_e32 vcc, s43, v2
	s_mov_b64 s[36:37], -1
	s_and_saveexec_b64 s[38:39], vcc
; %bb.162:                              ;   in Loop: Header=BB30_14 Depth=1
	v_cmp_eq_u32_e32 vcc, 0, v2
	s_orn2_b64 s[36:37], vcc, exec
; %bb.163:                              ;   in Loop: Header=BB30_14 Depth=1
	s_or_b64 exec, exec, s[38:39]
	s_and_b64 exec, exec, s[36:37]
	s_cbranch_execz .LBB30_236
; %bb.164:                              ;   in Loop: Header=BB30_14 Depth=1
	v_add_u32_e32 v2, v208, v238
	v_cmp_gt_i32_e32 vcc, s80, v2
	v_mov_b32_e32 v3, 0x47
	s_and_saveexec_b64 s[36:37], vcc
	s_cbranch_execz .LBB30_166
; %bb.165:                              ;   in Loop: Header=BB30_14 Depth=1
	v_add_u32_e32 v3, 0, v234
	ds_read2st64_b32 v[4:5], v3 offset0:1 offset1:18
	v_add_u32_e32 v3, v198, v234
	ds_read2st64_b32 v[6:7], v3 offset1:17
	v_readlane_b32 s38, v255, 49
	s_waitcnt lgkmcnt(0)
	v_cvt_f32_f16_e32 v8, v6
	v_cvt_f32_f16_sdwa v9, v6 dst_sel:DWORD dst_unused:UNUSED_PAD src0_sel:WORD_1
	v_cvt_f32_f16_e32 v6, v7
	v_cvt_f32_f16_sdwa v7, v7 dst_sel:DWORD dst_unused:UNUSED_PAD src0_sel:WORD_1
	v_mad_u64_u32 v[2:3], s[38:39], v2, s38, v[94:95]
	v_ashrrev_i32_e32 v3, 31, v2
	v_pk_fma_f32 v[8:9], v[4:5], v[8:9], 0 op_sel_hi:[0,1,0]
	v_mov_b32_e32 v4, v5
	v_lshl_add_u64 v[2:3], v[2:3], 3, v[140:141]
	v_pk_fma_f32 v[4:5], v[4:5], v[6:7], v[8:9] op_sel_hi:[0,1,1]
	global_store_dwordx2 v[2:3], v[4:5], off
	v_mov_b32_e32 v3, 0
.LBB30_166:                             ;   in Loop: Header=BB30_14 Depth=1
	s_or_b64 exec, exec, s[36:37]
	v_cmp_gt_i32_e32 vcc, s43, v3
	s_mov_b64 s[36:37], -1
	s_and_saveexec_b64 s[38:39], vcc
; %bb.167:                              ;   in Loop: Header=BB30_14 Depth=1
	v_cmp_eq_u32_e32 vcc, 0, v3
	s_orn2_b64 s[36:37], vcc, exec
; %bb.168:                              ;   in Loop: Header=BB30_14 Depth=1
	s_or_b64 exec, exec, s[38:39]
	s_and_b64 exec, exec, s[36:37]
	s_cbranch_execz .LBB30_236
; %bb.169:                              ;   in Loop: Header=BB30_14 Depth=1
	v_add_u32_e32 v2, 8, v207
	v_add_u32_e32 v2, v2, v238
	v_cmp_gt_i32_e32 vcc, s80, v2
	v_mov_b32_e32 v3, 0x47
	s_and_saveexec_b64 s[36:37], vcc
	s_cbranch_execz .LBB30_171
; %bb.170:                              ;   in Loop: Header=BB30_14 Depth=1
	v_add_u32_e32 v3, 0, v235
	ds_read2st64_b32 v[4:5], v3 offset0:1 offset1:18
	v_add_u32_e32 v3, v198, v235
	ds_read2st64_b32 v[6:7], v3 offset1:17
	v_readlane_b32 s38, v255, 49
	s_waitcnt lgkmcnt(0)
	v_cvt_f32_f16_e32 v8, v6
	v_cvt_f32_f16_sdwa v9, v6 dst_sel:DWORD dst_unused:UNUSED_PAD src0_sel:WORD_1
	v_cvt_f32_f16_e32 v6, v7
	v_cvt_f32_f16_sdwa v7, v7 dst_sel:DWORD dst_unused:UNUSED_PAD src0_sel:WORD_1
	v_mad_u64_u32 v[2:3], s[38:39], v2, s38, v[94:95]
	v_ashrrev_i32_e32 v3, 31, v2
	v_pk_fma_f32 v[8:9], v[4:5], v[8:9], 0 op_sel_hi:[0,1,0]
	v_mov_b32_e32 v4, v5
	v_lshl_add_u64 v[2:3], v[2:3], 3, v[140:141]
	v_pk_fma_f32 v[4:5], v[4:5], v[6:7], v[8:9] op_sel_hi:[0,1,1]
	global_store_dwordx2 v[2:3], v[4:5], off
	v_mov_b32_e32 v3, 0
.LBB30_171:                             ;   in Loop: Header=BB30_14 Depth=1
	s_or_b64 exec, exec, s[36:37]
	v_cmp_gt_i32_e32 vcc, s43, v3
	s_mov_b64 s[36:37], -1
	s_and_saveexec_b64 s[38:39], vcc
; %bb.172:                              ;   in Loop: Header=BB30_14 Depth=1
	v_cmp_eq_u32_e32 vcc, 0, v3
	s_orn2_b64 s[36:37], vcc, exec
; %bb.173:                              ;   in Loop: Header=BB30_14 Depth=1
	s_or_b64 exec, exec, s[38:39]
	s_and_b64 exec, exec, s[36:37]
	s_cbranch_execz .LBB30_236
; %bb.174:                              ;   in Loop: Header=BB30_14 Depth=1
	v_add_u32_e32 v2, 12, v207
	v_add_u32_e32 v2, v2, v238
	v_cmp_gt_i32_e32 vcc, s80, v2
	v_mov_b32_e32 v3, 0x47
	s_and_saveexec_b64 s[36:37], vcc
	s_cbranch_execz .LBB30_176
; %bb.175:                              ;   in Loop: Header=BB30_14 Depth=1
	scratch_load_dword v6, off, off offset:80 ; 4-byte Folded Reload
	v_readlane_b32 s38, v255, 49
	s_waitcnt vmcnt(0)
	v_add_u32_e32 v3, 0, v6
	ds_read2st64_b32 v[4:5], v3 offset0:1 offset1:18
	v_add_u32_e32 v3, v198, v6
	ds_read2st64_b32 v[6:7], v3 offset1:17
	v_mad_u64_u32 v[2:3], s[38:39], v2, s38, v[94:95]
	v_ashrrev_i32_e32 v3, 31, v2
	v_lshl_add_u64 v[2:3], v[2:3], 3, v[140:141]
	s_waitcnt lgkmcnt(0)
	v_cvt_f32_f16_e32 v8, v6
	v_cvt_f32_f16_sdwa v9, v6 dst_sel:DWORD dst_unused:UNUSED_PAD src0_sel:WORD_1
	v_cvt_f32_f16_e32 v6, v7
	v_cvt_f32_f16_sdwa v7, v7 dst_sel:DWORD dst_unused:UNUSED_PAD src0_sel:WORD_1
	v_pk_fma_f32 v[8:9], v[4:5], v[8:9], 0 op_sel_hi:[0,1,0]
	v_mov_b32_e32 v4, v5
	v_pk_fma_f32 v[4:5], v[4:5], v[6:7], v[8:9] op_sel_hi:[0,1,1]
	global_store_dwordx2 v[2:3], v[4:5], off
	v_mov_b32_e32 v3, 0
.LBB30_176:                             ;   in Loop: Header=BB30_14 Depth=1
	s_or_b64 exec, exec, s[36:37]
	v_cmp_gt_i32_e32 vcc, s43, v3
	s_mov_b64 s[36:37], -1
	s_and_saveexec_b64 s[38:39], vcc
; %bb.177:                              ;   in Loop: Header=BB30_14 Depth=1
	v_cmp_eq_u32_e32 vcc, 0, v3
	s_orn2_b64 s[36:37], vcc, exec
; %bb.178:                              ;   in Loop: Header=BB30_14 Depth=1
	s_or_b64 exec, exec, s[38:39]
	s_and_b64 exec, exec, s[36:37]
	s_cbranch_execz .LBB30_236
; %bb.179:                              ;   in Loop: Header=BB30_14 Depth=1
	v_add_u32_e32 v2, 16, v207
	v_add_u32_e32 v2, v2, v238
	v_cmp_gt_i32_e32 vcc, s80, v2
	v_mov_b32_e32 v3, 0x47
	s_and_saveexec_b64 s[36:37], vcc
	s_cbranch_execz .LBB30_181
; %bb.180:                              ;   in Loop: Header=BB30_14 Depth=1
	scratch_load_dword v6, off, off offset:84 ; 4-byte Folded Reload
	v_readlane_b32 s38, v255, 49
	s_waitcnt vmcnt(0)
	v_add_u32_e32 v3, 0, v6
	ds_read2st64_b32 v[4:5], v3 offset0:1 offset1:18
	v_add_u32_e32 v3, v198, v6
	ds_read2st64_b32 v[6:7], v3 offset1:17
	v_mad_u64_u32 v[2:3], s[38:39], v2, s38, v[94:95]
	v_ashrrev_i32_e32 v3, 31, v2
	v_lshl_add_u64 v[2:3], v[2:3], 3, v[140:141]
	s_waitcnt lgkmcnt(0)
	v_cvt_f32_f16_e32 v8, v6
	v_cvt_f32_f16_sdwa v9, v6 dst_sel:DWORD dst_unused:UNUSED_PAD src0_sel:WORD_1
	v_cvt_f32_f16_e32 v6, v7
	v_cvt_f32_f16_sdwa v7, v7 dst_sel:DWORD dst_unused:UNUSED_PAD src0_sel:WORD_1
	v_pk_fma_f32 v[8:9], v[4:5], v[8:9], 0 op_sel_hi:[0,1,0]
	v_mov_b32_e32 v4, v5
	v_pk_fma_f32 v[4:5], v[4:5], v[6:7], v[8:9] op_sel_hi:[0,1,1]
	global_store_dwordx2 v[2:3], v[4:5], off
	v_mov_b32_e32 v3, 0
.LBB30_181:                             ;   in Loop: Header=BB30_14 Depth=1
	;; [unrolled: 40-line block ×12, first 2 shown]
	s_or_b64 exec, exec, s[36:37]
	v_cmp_gt_i32_e32 vcc, s43, v3
	s_mov_b64 s[36:37], -1
	s_and_saveexec_b64 s[38:39], vcc
; %bb.232:                              ;   in Loop: Header=BB30_14 Depth=1
	v_cmp_eq_u32_e32 vcc, 0, v3
	s_orn2_b64 s[36:37], vcc, exec
; %bb.233:                              ;   in Loop: Header=BB30_14 Depth=1
	s_or_b64 exec, exec, s[38:39]
	s_and_b64 exec, exec, s[36:37]
	s_cbranch_execz .LBB30_236
; %bb.234:                              ;   in Loop: Header=BB30_14 Depth=1
	v_add_u32_e32 v2, 60, v207
	v_add_u32_e32 v2, v2, v238
	v_cmp_gt_i32_e32 vcc, s80, v2
	s_and_b64 exec, exec, vcc
	s_cbranch_execz .LBB30_236
; %bb.235:                              ;   in Loop: Header=BB30_14 Depth=1
	scratch_load_dword v6, off, off offset:132 ; 4-byte Folded Reload
	v_readlane_b32 s36, v255, 49
	s_waitcnt vmcnt(0)
	v_add_u32_e32 v3, 0, v6
	ds_read2st64_b32 v[4:5], v3 offset0:1 offset1:18
	v_add_u32_e32 v3, v198, v6
	ds_read2st64_b32 v[6:7], v3 offset1:17
	v_mad_u64_u32 v[2:3], s[36:37], v2, s36, v[94:95]
	v_ashrrev_i32_e32 v3, 31, v2
	v_lshl_add_u64 v[2:3], v[2:3], 3, v[140:141]
	s_waitcnt lgkmcnt(0)
	v_cvt_f32_f16_e32 v8, v6
	v_cvt_f32_f16_sdwa v9, v6 dst_sel:DWORD dst_unused:UNUSED_PAD src0_sel:WORD_1
	v_cvt_f32_f16_e32 v6, v7
	v_cvt_f32_f16_sdwa v7, v7 dst_sel:DWORD dst_unused:UNUSED_PAD src0_sel:WORD_1
	v_pk_fma_f32 v[8:9], v[4:5], v[8:9], 0 op_sel_hi:[0,1,0]
	v_mov_b32_e32 v4, v5
	v_pk_fma_f32 v[4:5], v[4:5], v[6:7], v[8:9] op_sel_hi:[0,1,1]
	global_store_dwordx2 v[2:3], v[4:5], off
.LBB30_236:                             ;   in Loop: Header=BB30_14 Depth=1
	s_or_b64 exec, exec, s[4:5]
	s_barrier
	ds_write2_b32 v206, v73, v46 offset1:1
	ds_write2_b32 v206, v72, v48 offset0:8 offset1:9
	ds_write2_b32 v206, v43, v54 offset0:16 offset1:17
	;; [unrolled: 1-line block ×7, first 2 shown]
	s_waitcnt lgkmcnt(0)
	s_barrier
	s_and_saveexec_b64 s[4:5], s[44:45]
	s_cbranch_execz .LBB30_314
; %bb.237:                              ;   in Loop: Header=BB30_14 Depth=1
	v_cmp_gt_i32_e32 vcc, s80, v1
	v_mov_b32_e32 v2, 0x47
	s_and_saveexec_b64 s[36:37], vcc
	s_cbranch_execz .LBB30_239
; %bb.238:                              ;   in Loop: Header=BB30_14 Depth=1
	v_add_u32_e32 v4, v198, v233
	ds_read2st64_b32 v[4:5], v4 offset1:17
	v_add_u32_e32 v2, 0, v233
	ds_read2st64_b32 v[2:3], v2 offset0:1 offset1:18
	v_readlane_b32 s38, v255, 49
	s_waitcnt lgkmcnt(1)
	v_cvt_f32_f16_e32 v8, v4
	v_cvt_f32_f16_sdwa v9, v4 dst_sel:DWORD dst_unused:UNUSED_PAD src0_sel:WORD_1
	v_cvt_f32_f16_e32 v4, v5
	v_cvt_f32_f16_sdwa v5, v5 dst_sel:DWORD dst_unused:UNUSED_PAD src0_sel:WORD_1
	v_mad_u64_u32 v[6:7], s[38:39], v1, s38, v[122:123]
	v_ashrrev_i32_e32 v7, 31, v6
	s_waitcnt lgkmcnt(0)
	v_pk_fma_f32 v[8:9], v[2:3], v[8:9], 0 op_sel_hi:[0,1,0]
	v_mov_b32_e32 v2, v3
	v_lshl_add_u64 v[6:7], v[6:7], 3, v[140:141]
	v_pk_fma_f32 v[2:3], v[2:3], v[4:5], v[8:9] op_sel_hi:[0,1,1]
	global_store_dwordx2 v[6:7], v[2:3], off
	v_mov_b32_e32 v2, 0
.LBB30_239:                             ;   in Loop: Header=BB30_14 Depth=1
	s_or_b64 exec, exec, s[36:37]
	v_cmp_gt_i32_e32 vcc, s43, v2
	s_mov_b64 s[36:37], -1
	s_and_saveexec_b64 s[38:39], vcc
; %bb.240:                              ;   in Loop: Header=BB30_14 Depth=1
	v_cmp_eq_u32_e32 vcc, 0, v2
	s_orn2_b64 s[36:37], vcc, exec
; %bb.241:                              ;   in Loop: Header=BB30_14 Depth=1
	s_or_b64 exec, exec, s[38:39]
	s_and_b64 exec, exec, s[36:37]
	s_cbranch_execz .LBB30_314
; %bb.242:                              ;   in Loop: Header=BB30_14 Depth=1
	v_add_u32_e32 v1, v208, v238
	v_cmp_gt_i32_e32 vcc, s80, v1
	v_mov_b32_e32 v2, 0x47
	s_and_saveexec_b64 s[36:37], vcc
	s_cbranch_execz .LBB30_244
; %bb.243:                              ;   in Loop: Header=BB30_14 Depth=1
	v_add_u32_e32 v4, v198, v234
	ds_read2st64_b32 v[4:5], v4 offset1:17
	v_add_u32_e32 v2, 0, v234
	ds_read2st64_b32 v[2:3], v2 offset0:1 offset1:18
	v_readlane_b32 s38, v255, 49
	s_waitcnt lgkmcnt(1)
	v_cvt_f32_f16_e32 v8, v4
	v_cvt_f32_f16_sdwa v9, v4 dst_sel:DWORD dst_unused:UNUSED_PAD src0_sel:WORD_1
	v_cvt_f32_f16_e32 v4, v5
	v_cvt_f32_f16_sdwa v5, v5 dst_sel:DWORD dst_unused:UNUSED_PAD src0_sel:WORD_1
	v_mad_u64_u32 v[6:7], s[38:39], v1, s38, v[122:123]
	v_ashrrev_i32_e32 v7, 31, v6
	s_waitcnt lgkmcnt(0)
	v_pk_fma_f32 v[8:9], v[2:3], v[8:9], 0 op_sel_hi:[0,1,0]
	v_mov_b32_e32 v2, v3
	v_lshl_add_u64 v[6:7], v[6:7], 3, v[140:141]
	v_pk_fma_f32 v[2:3], v[2:3], v[4:5], v[8:9] op_sel_hi:[0,1,1]
	global_store_dwordx2 v[6:7], v[2:3], off
	v_mov_b32_e32 v2, 0
.LBB30_244:                             ;   in Loop: Header=BB30_14 Depth=1
	s_or_b64 exec, exec, s[36:37]
	v_cmp_gt_i32_e32 vcc, s43, v2
	s_mov_b64 s[36:37], -1
	s_and_saveexec_b64 s[38:39], vcc
; %bb.245:                              ;   in Loop: Header=BB30_14 Depth=1
	v_cmp_eq_u32_e32 vcc, 0, v2
	s_orn2_b64 s[36:37], vcc, exec
; %bb.246:                              ;   in Loop: Header=BB30_14 Depth=1
	s_or_b64 exec, exec, s[38:39]
	s_and_b64 exec, exec, s[36:37]
	s_cbranch_execz .LBB30_314
; %bb.247:                              ;   in Loop: Header=BB30_14 Depth=1
	v_add_u32_e32 v1, 8, v207
	v_add_u32_e32 v1, v1, v238
	v_cmp_gt_i32_e32 vcc, s80, v1
	v_mov_b32_e32 v2, 0x47
	s_and_saveexec_b64 s[36:37], vcc
	s_cbranch_execz .LBB30_249
; %bb.248:                              ;   in Loop: Header=BB30_14 Depth=1
	v_add_u32_e32 v4, v198, v235
	ds_read2st64_b32 v[4:5], v4 offset1:17
	v_add_u32_e32 v2, 0, v235
	ds_read2st64_b32 v[2:3], v2 offset0:1 offset1:18
	v_readlane_b32 s38, v255, 49
	s_waitcnt lgkmcnt(1)
	v_cvt_f32_f16_e32 v8, v4
	v_cvt_f32_f16_sdwa v9, v4 dst_sel:DWORD dst_unused:UNUSED_PAD src0_sel:WORD_1
	v_cvt_f32_f16_e32 v4, v5
	v_cvt_f32_f16_sdwa v5, v5 dst_sel:DWORD dst_unused:UNUSED_PAD src0_sel:WORD_1
	v_mad_u64_u32 v[6:7], s[38:39], v1, s38, v[122:123]
	v_ashrrev_i32_e32 v7, 31, v6
	s_waitcnt lgkmcnt(0)
	v_pk_fma_f32 v[8:9], v[2:3], v[8:9], 0 op_sel_hi:[0,1,0]
	v_mov_b32_e32 v2, v3
	v_lshl_add_u64 v[6:7], v[6:7], 3, v[140:141]
	v_pk_fma_f32 v[2:3], v[2:3], v[4:5], v[8:9] op_sel_hi:[0,1,1]
	global_store_dwordx2 v[6:7], v[2:3], off
	v_mov_b32_e32 v2, 0
.LBB30_249:                             ;   in Loop: Header=BB30_14 Depth=1
	s_or_b64 exec, exec, s[36:37]
	v_cmp_gt_i32_e32 vcc, s43, v2
	s_mov_b64 s[36:37], -1
	s_and_saveexec_b64 s[38:39], vcc
; %bb.250:                              ;   in Loop: Header=BB30_14 Depth=1
	v_cmp_eq_u32_e32 vcc, 0, v2
	s_orn2_b64 s[36:37], vcc, exec
; %bb.251:                              ;   in Loop: Header=BB30_14 Depth=1
	s_or_b64 exec, exec, s[38:39]
	s_and_b64 exec, exec, s[36:37]
	s_cbranch_execz .LBB30_314
; %bb.252:                              ;   in Loop: Header=BB30_14 Depth=1
	v_add_u32_e32 v1, 12, v207
	v_add_u32_e32 v1, v1, v238
	v_cmp_gt_i32_e32 vcc, s80, v1
	v_mov_b32_e32 v2, 0x47
	s_and_saveexec_b64 s[36:37], vcc
	s_cbranch_execz .LBB30_254
; %bb.253:                              ;   in Loop: Header=BB30_14 Depth=1
	scratch_load_dword v4, off, off offset:80 ; 4-byte Folded Reload
	v_readlane_b32 s38, v255, 49
	s_waitcnt vmcnt(0)
	v_add_u32_e32 v2, 0, v4
	v_add_u32_e32 v4, v198, v4
	ds_read2st64_b32 v[4:5], v4 offset1:17
	ds_read2st64_b32 v[2:3], v2 offset0:1 offset1:18
	v_mad_u64_u32 v[6:7], s[38:39], v1, s38, v[122:123]
	v_ashrrev_i32_e32 v7, 31, v6
	s_waitcnt lgkmcnt(1)
	v_cvt_f32_f16_e32 v8, v4
	v_cvt_f32_f16_sdwa v9, v4 dst_sel:DWORD dst_unused:UNUSED_PAD src0_sel:WORD_1
	v_cvt_f32_f16_e32 v4, v5
	v_cvt_f32_f16_sdwa v5, v5 dst_sel:DWORD dst_unused:UNUSED_PAD src0_sel:WORD_1
	v_lshl_add_u64 v[6:7], v[6:7], 3, v[140:141]
	s_waitcnt lgkmcnt(0)
	v_pk_fma_f32 v[8:9], v[2:3], v[8:9], 0 op_sel_hi:[0,1,0]
	v_mov_b32_e32 v2, v3
	v_pk_fma_f32 v[2:3], v[2:3], v[4:5], v[8:9] op_sel_hi:[0,1,1]
	global_store_dwordx2 v[6:7], v[2:3], off
	v_mov_b32_e32 v2, 0
.LBB30_254:                             ;   in Loop: Header=BB30_14 Depth=1
	s_or_b64 exec, exec, s[36:37]
	v_cmp_gt_i32_e32 vcc, s43, v2
	s_mov_b64 s[36:37], -1
	s_and_saveexec_b64 s[38:39], vcc
; %bb.255:                              ;   in Loop: Header=BB30_14 Depth=1
	v_cmp_eq_u32_e32 vcc, 0, v2
	s_orn2_b64 s[36:37], vcc, exec
; %bb.256:                              ;   in Loop: Header=BB30_14 Depth=1
	s_or_b64 exec, exec, s[38:39]
	s_and_b64 exec, exec, s[36:37]
	s_cbranch_execz .LBB30_314
; %bb.257:                              ;   in Loop: Header=BB30_14 Depth=1
	v_add_u32_e32 v1, 16, v207
	v_add_u32_e32 v1, v1, v238
	v_cmp_gt_i32_e32 vcc, s80, v1
	v_mov_b32_e32 v2, 0x47
	s_and_saveexec_b64 s[36:37], vcc
	s_cbranch_execz .LBB30_259
; %bb.258:                              ;   in Loop: Header=BB30_14 Depth=1
	scratch_load_dword v4, off, off offset:84 ; 4-byte Folded Reload
	v_readlane_b32 s38, v255, 49
	s_waitcnt vmcnt(0)
	v_add_u32_e32 v2, 0, v4
	v_add_u32_e32 v4, v198, v4
	ds_read2st64_b32 v[4:5], v4 offset1:17
	ds_read2st64_b32 v[2:3], v2 offset0:1 offset1:18
	v_mad_u64_u32 v[6:7], s[38:39], v1, s38, v[122:123]
	v_ashrrev_i32_e32 v7, 31, v6
	s_waitcnt lgkmcnt(1)
	v_cvt_f32_f16_e32 v8, v4
	v_cvt_f32_f16_sdwa v9, v4 dst_sel:DWORD dst_unused:UNUSED_PAD src0_sel:WORD_1
	v_cvt_f32_f16_e32 v4, v5
	v_cvt_f32_f16_sdwa v5, v5 dst_sel:DWORD dst_unused:UNUSED_PAD src0_sel:WORD_1
	v_lshl_add_u64 v[6:7], v[6:7], 3, v[140:141]
	s_waitcnt lgkmcnt(0)
	v_pk_fma_f32 v[8:9], v[2:3], v[8:9], 0 op_sel_hi:[0,1,0]
	v_mov_b32_e32 v2, v3
	v_pk_fma_f32 v[2:3], v[2:3], v[4:5], v[8:9] op_sel_hi:[0,1,1]
	global_store_dwordx2 v[6:7], v[2:3], off
	v_mov_b32_e32 v2, 0
.LBB30_259:                             ;   in Loop: Header=BB30_14 Depth=1
	;; [unrolled: 41-line block ×12, first 2 shown]
	s_or_b64 exec, exec, s[36:37]
	v_cmp_gt_i32_e32 vcc, s43, v2
	s_mov_b64 s[36:37], -1
	s_and_saveexec_b64 s[38:39], vcc
; %bb.310:                              ;   in Loop: Header=BB30_14 Depth=1
	v_cmp_eq_u32_e32 vcc, 0, v2
	s_orn2_b64 s[36:37], vcc, exec
; %bb.311:                              ;   in Loop: Header=BB30_14 Depth=1
	s_or_b64 exec, exec, s[38:39]
	s_and_b64 exec, exec, s[36:37]
	s_cbranch_execz .LBB30_314
; %bb.312:                              ;   in Loop: Header=BB30_14 Depth=1
	v_add_u32_e32 v1, 60, v207
	v_add_u32_e32 v1, v1, v238
	v_cmp_gt_i32_e32 vcc, s80, v1
	s_and_b64 exec, exec, vcc
	s_cbranch_execz .LBB30_314
; %bb.313:                              ;   in Loop: Header=BB30_14 Depth=1
	scratch_load_dword v4, off, off offset:132 ; 4-byte Folded Reload
	v_readlane_b32 s36, v255, 49
	s_waitcnt vmcnt(0)
	v_add_u32_e32 v2, 0, v4
	v_add_u32_e32 v4, v198, v4
	ds_read2st64_b32 v[4:5], v4 offset1:17
	ds_read2st64_b32 v[2:3], v2 offset0:1 offset1:18
	v_mad_u64_u32 v[6:7], s[36:37], v1, s36, v[122:123]
	v_ashrrev_i32_e32 v7, 31, v6
	s_waitcnt lgkmcnt(1)
	v_cvt_f32_f16_e32 v8, v4
	v_cvt_f32_f16_sdwa v9, v4 dst_sel:DWORD dst_unused:UNUSED_PAD src0_sel:WORD_1
	v_cvt_f32_f16_e32 v4, v5
	v_cvt_f32_f16_sdwa v5, v5 dst_sel:DWORD dst_unused:UNUSED_PAD src0_sel:WORD_1
	v_lshl_add_u64 v[6:7], v[6:7], 3, v[140:141]
	s_waitcnt lgkmcnt(0)
	v_pk_fma_f32 v[8:9], v[2:3], v[8:9], 0 op_sel_hi:[0,1,0]
	v_mov_b32_e32 v2, v3
	v_pk_fma_f32 v[2:3], v[2:3], v[4:5], v[8:9] op_sel_hi:[0,1,1]
	global_store_dwordx2 v[6:7], v[2:3], off
.LBB30_314:                             ;   in Loop: Header=BB30_14 Depth=1
	s_or_b64 exec, exec, s[4:5]
	s_barrier
	s_branch .LBB30_13
.LBB30_315:                             ;   in Loop: Header=BB30_14 Depth=1
	v_cmp_le_i32_e32 vcc, s80, v237
	s_and_saveexec_b64 s[4:5], vcc
	s_xor_b64 s[4:5], exec, s[4:5]
; %bb.316:                              ;   in Loop: Header=BB30_14 Depth=1
	v_add_u32_e32 v1, v198, v245
	ds_write2st64_b32 v1, v97, v97 offset1:1
; %bb.317:                              ;   in Loop: Header=BB30_14 Depth=1
	s_andn2_saveexec_b64 s[4:5], s[4:5]
	s_cbranch_execz .LBB30_319
; %bb.318:                              ;   in Loop: Header=BB30_14 Depth=1
	v_mad_u64_u32 v[2:3], s[36:37], v237, s42, v[94:95]
	v_ashrrev_i32_e32 v3, 31, v2
	v_lshl_add_u64 v[2:3], v[2:3], 3, v[160:161]
	global_load_dwordx2 v[4:5], v[2:3], off
	s_nop 0
	global_load_dwordx2 v[2:3], v[2:3], off offset:512
	s_waitcnt vmcnt(1)
	v_cvt_pk_f16_f32 v1, v4, v5
	s_waitcnt vmcnt(0)
	v_cvt_pk_f16_f32 v2, v2, v3
	v_pk_mul_f16 v1, v1, v250
	v_pk_mul_f16 v2, v2, v250
	ds_write2st64_b32 v244, v1, v2 offset1:1
.LBB30_319:                             ;   in Loop: Header=BB30_14 Depth=1
	s_or_b64 exec, exec, s[4:5]
	v_add_u32_e32 v210, v196, v238
	v_cmp_le_i32_e32 vcc, s80, v210
	s_and_saveexec_b64 s[4:5], vcc
	s_xor_b64 s[4:5], exec, s[4:5]
; %bb.320:                              ;   in Loop: Header=BB30_14 Depth=1
	v_add_u32_e32 v1, v198, v245
	v_add_u32_e32 v1, 0x80, v1
	ds_write2st64_b32 v1, v97, v97 offset0:16 offset1:17
; %bb.321:                              ;   in Loop: Header=BB30_14 Depth=1
	s_andn2_saveexec_b64 s[4:5], s[4:5]
	s_cbranch_execz .LBB30_323
; %bb.322:                              ;   in Loop: Header=BB30_14 Depth=1
	v_mad_u64_u32 v[2:3], s[36:37], v210, s42, v[94:95]
	v_ashrrev_i32_e32 v3, 31, v2
	v_lshl_add_u64 v[2:3], v[2:3], 3, v[160:161]
	global_load_dwordx2 v[4:5], v[2:3], off
	s_nop 0
	global_load_dwordx2 v[2:3], v[2:3], off offset:512
	s_waitcnt vmcnt(1)
	v_cvt_pk_f16_f32 v1, v4, v5
	s_waitcnt vmcnt(0)
	v_cvt_pk_f16_f32 v2, v2, v3
	v_pk_mul_f16 v1, v1, v250
	v_pk_mul_f16 v2, v2, v250
	ds_write2st64_b32 v243, v1, v2 offset1:1
.LBB30_323:                             ;   in Loop: Header=BB30_14 Depth=1
	s_or_b64 exec, exec, s[4:5]
	v_add_u32_e32 v197, v195, v238
	v_cmp_le_i32_e32 vcc, s80, v197
	s_and_saveexec_b64 s[4:5], vcc
	s_xor_b64 s[4:5], exec, s[4:5]
; %bb.324:                              ;   in Loop: Header=BB30_14 Depth=1
	v_add_u32_e32 v1, v198, v245
	ds_write2st64_b32 v1, v97, v97 offset0:33 offset1:34
; %bb.325:                              ;   in Loop: Header=BB30_14 Depth=1
	s_andn2_saveexec_b64 s[4:5], s[4:5]
	s_cbranch_execz .LBB30_327
; %bb.326:                              ;   in Loop: Header=BB30_14 Depth=1
	v_mad_u64_u32 v[2:3], s[36:37], v197, s42, v[94:95]
	v_ashrrev_i32_e32 v3, 31, v2
	v_lshl_add_u64 v[2:3], v[2:3], 3, v[160:161]
	global_load_dwordx2 v[4:5], v[2:3], off
	s_nop 0
	global_load_dwordx2 v[2:3], v[2:3], off offset:512
	s_waitcnt vmcnt(1)
	v_cvt_pk_f16_f32 v1, v4, v5
	s_waitcnt vmcnt(0)
	v_cvt_pk_f16_f32 v2, v2, v3
	v_pk_mul_f16 v1, v1, v250
	v_pk_mul_f16 v2, v2, v250
	ds_write2st64_b32 v215, v1, v2 offset1:1
.LBB30_327:                             ;   in Loop: Header=BB30_14 Depth=1
	s_or_b64 exec, exec, s[4:5]
	v_add_u32_e32 v236, v194, v238
	v_cmp_le_i32_e32 vcc, s80, v236
	s_and_saveexec_b64 s[4:5], vcc
	s_xor_b64 s[4:5], exec, s[4:5]
; %bb.328:                              ;   in Loop: Header=BB30_14 Depth=1
	v_add_u32_e32 v1, v198, v245
	v_add_u32_e32 v1, 0x80, v1
	ds_write2st64_b32 v1, v97, v97 offset0:49 offset1:50
; %bb.329:                              ;   in Loop: Header=BB30_14 Depth=1
	s_andn2_saveexec_b64 s[4:5], s[4:5]
	s_cbranch_execz .LBB30_331
; %bb.330:                              ;   in Loop: Header=BB30_14 Depth=1
	v_mad_u64_u32 v[2:3], s[36:37], v236, s42, v[94:95]
	v_ashrrev_i32_e32 v3, 31, v2
	v_lshl_add_u64 v[2:3], v[2:3], 3, v[160:161]
	global_load_dwordx2 v[4:5], v[2:3], off
	s_waitcnt vmcnt(0)
	v_cvt_pk_f16_f32 v1, v4, v5
	global_load_dwordx2 v[2:3], v[2:3], off offset:512
	v_pk_mul_f16 v1, v1, v250
	s_waitcnt vmcnt(0)
	v_cvt_pk_f16_f32 v2, v2, v3
	v_pk_mul_f16 v2, v2, v250
	ds_write2st64_b32 v242, v1, v2 offset1:1
.LBB30_331:                             ;   in Loop: Header=BB30_14 Depth=1
	s_or_b64 exec, exec, s[4:5]
	v_add_u32_e32 v190, v193, v238
	v_cmp_le_i32_e32 vcc, s80, v190
	s_and_saveexec_b64 s[4:5], vcc
	s_xor_b64 s[4:5], exec, s[4:5]
; %bb.332:                              ;   in Loop: Header=BB30_14 Depth=1
	v_add_u32_e32 v1, v198, v245
	ds_write2st64_b32 v1, v97, v97 offset0:66 offset1:67
; %bb.333:                              ;   in Loop: Header=BB30_14 Depth=1
	s_andn2_saveexec_b64 s[4:5], s[4:5]
	s_cbranch_execz .LBB30_335
; %bb.334:                              ;   in Loop: Header=BB30_14 Depth=1
	v_mad_u64_u32 v[2:3], s[36:37], v190, s42, v[94:95]
	v_ashrrev_i32_e32 v3, 31, v2
	v_lshl_add_u64 v[2:3], v[2:3], 3, v[160:161]
	global_load_dwordx2 v[4:5], v[2:3], off
	s_waitcnt vmcnt(0)
	v_cvt_pk_f16_f32 v1, v4, v5
	global_load_dwordx2 v[2:3], v[2:3], off offset:512
	v_pk_mul_f16 v1, v1, v250
	s_waitcnt vmcnt(0)
	v_cvt_pk_f16_f32 v2, v2, v3
	v_pk_mul_f16 v2, v2, v250
	ds_write2st64_b32 v241, v1, v2 offset1:1
.LBB30_335:                             ;   in Loop: Header=BB30_14 Depth=1
	s_or_b64 exec, exec, s[4:5]
	v_add_u32_e32 v209, v192, v238
	v_cmp_le_i32_e32 vcc, s80, v209
	s_and_saveexec_b64 s[4:5], vcc
	s_xor_b64 s[4:5], exec, s[4:5]
; %bb.336:                              ;   in Loop: Header=BB30_14 Depth=1
	v_add_u32_e32 v1, v198, v245
	v_add_u32_e32 v1, 0x80, v1
	ds_write2st64_b32 v1, v97, v97 offset0:82 offset1:83
; %bb.337:                              ;   in Loop: Header=BB30_14 Depth=1
	s_andn2_saveexec_b64 s[4:5], s[4:5]
	s_cbranch_execz .LBB30_339
; %bb.338:                              ;   in Loop: Header=BB30_14 Depth=1
	v_mad_u64_u32 v[2:3], s[36:37], v209, s42, v[94:95]
	v_ashrrev_i32_e32 v3, 31, v2
	v_lshl_add_u64 v[2:3], v[2:3], 3, v[160:161]
	global_load_dwordx2 v[4:5], v[2:3], off
	s_waitcnt vmcnt(0)
	v_cvt_pk_f16_f32 v1, v4, v5
	global_load_dwordx2 v[2:3], v[2:3], off offset:512
	v_pk_mul_f16 v1, v1, v250
	s_waitcnt vmcnt(0)
	v_cvt_pk_f16_f32 v2, v2, v3
	v_pk_mul_f16 v2, v2, v250
	ds_write2st64_b32 v240, v1, v2 offset1:1
.LBB30_339:                             ;   in Loop: Header=BB30_14 Depth=1
	s_or_b64 exec, exec, s[4:5]
	v_add_u32_e32 v120, v99, v238
	v_cmp_le_i32_e32 vcc, s80, v120
	s_and_saveexec_b64 s[4:5], vcc
	s_xor_b64 s[4:5], exec, s[4:5]
; %bb.340:                              ;   in Loop: Header=BB30_14 Depth=1
	v_add_u32_e32 v1, v198, v245
	ds_write2st64_b32 v1, v97, v97 offset0:99 offset1:100
; %bb.341:                              ;   in Loop: Header=BB30_14 Depth=1
	s_andn2_saveexec_b64 s[4:5], s[4:5]
	s_cbranch_execz .LBB30_343
; %bb.342:                              ;   in Loop: Header=BB30_14 Depth=1
	v_mad_u64_u32 v[2:3], s[36:37], v120, s42, v[94:95]
	v_ashrrev_i32_e32 v3, 31, v2
	v_lshl_add_u64 v[2:3], v[2:3], 3, v[160:161]
	global_load_dwordx2 v[4:5], v[2:3], off
	s_waitcnt vmcnt(0)
	v_cvt_pk_f16_f32 v1, v4, v5
	global_load_dwordx2 v[2:3], v[2:3], off offset:512
	v_pk_mul_f16 v1, v1, v250
	s_waitcnt vmcnt(0)
	v_cvt_pk_f16_f32 v2, v2, v3
	v_pk_mul_f16 v2, v2, v250
	ds_write2st64_b32 v221, v1, v2 offset1:1
.LBB30_343:                             ;   in Loop: Header=BB30_14 Depth=1
	s_or_b64 exec, exec, s[4:5]
	v_add_u32_e32 v121, v95, v238
	v_cmp_le_i32_e32 vcc, s80, v121
	s_and_saveexec_b64 s[4:5], vcc
	s_xor_b64 s[4:5], exec, s[4:5]
; %bb.344:                              ;   in Loop: Header=BB30_14 Depth=1
	v_add_u32_e32 v1, v198, v245
	v_add_u32_e32 v1, 0x80, v1
	ds_write2st64_b32 v1, v97, v97 offset0:115 offset1:116
                                        ; implicit-def: $vgpr160_vgpr161
; %bb.345:                              ;   in Loop: Header=BB30_14 Depth=1
	s_andn2_saveexec_b64 s[4:5], s[4:5]
	s_cbranch_execz .LBB30_347
; %bb.346:                              ;   in Loop: Header=BB30_14 Depth=1
	v_mad_u64_u32 v[2:3], s[36:37], v121, s42, v[94:95]
	v_ashrrev_i32_e32 v3, 31, v2
	v_lshl_add_u64 v[2:3], v[2:3], 3, v[160:161]
	global_load_dwordx2 v[4:5], v[2:3], off
	s_nop 0
	global_load_dwordx2 v[2:3], v[2:3], off offset:512
	s_waitcnt vmcnt(1)
	v_cvt_pk_f16_f32 v1, v4, v5
	s_waitcnt vmcnt(0)
	v_cvt_pk_f16_f32 v2, v2, v3
	v_pk_mul_f16 v1, v1, v250
	v_pk_mul_f16 v2, v2, v250
	ds_write2st64_b32 v222, v1, v2 offset1:1
.LBB30_347:                             ;   in Loop: Header=BB30_14 Depth=1
	s_or_b64 exec, exec, s[4:5]
	s_waitcnt lgkmcnt(0)
	s_barrier
	ds_read2_b64 v[30:33], v199 offset1:4
	ds_read2_b64 v[26:29], v199 offset0:8 offset1:12
	ds_read2_b64 v[22:25], v199 offset0:16 offset1:20
	;; [unrolled: 1-line block ×7, first 2 shown]
	s_cmp_lt_i32 s87, 2
	v_cmp_ne_u64_e64 s[36:37], 0, v[148:149]
	s_waitcnt lgkmcnt(0)
	s_barrier
	s_cbranch_scc1 .LBB30_392
; %bb.348:                              ;   in Loop: Header=BB30_14 Depth=1
	v_mul_hi_u32 v36, s98, v236
	v_mul_hi_u32 v37, s98, v190
	v_add_u32_e32 v36, v236, v36
	v_add_u32_e32 v37, v190, v37
	v_lshrrev_b32_e32 v36, s99, v36
	v_lshrrev_b32_e32 v37, s99, v37
	v_mul_lo_u32 v36, v36, s80
	v_mul_lo_u32 v37, v37, s80
	v_readlane_b32 s4, v255, 59
	v_sub_u32_e32 v36, v236, v36
	v_sub_u32_e32 v37, v190, v37
	v_readlane_b32 s5, v255, 60
	s_mov_b32 s40, s4
	v_mad_i64_i32 v[168:169], s[4:5], s40, v36, v[148:149]
	v_mad_i64_i32 v[170:171], s[4:5], s40, v37, v[148:149]
	scratch_load_dwordx2 v[36:37], off, off offset:16 ; 8-byte Folded Reload
	v_mul_hi_u32 v34, s98, v210
	v_mul_hi_u32 v35, s98, v197
	v_add_u32_e32 v34, v210, v34
	v_add_u32_e32 v35, v197, v35
	v_lshrrev_b32_e32 v34, s99, v34
	v_lshrrev_b32_e32 v35, s99, v35
	v_mul_lo_u32 v34, v34, s80
	v_mul_lo_u32 v35, v35, s80
	v_sub_u32_e32 v34, v210, v34
	v_sub_u32_e32 v35, v197, v35
	v_mad_i64_i32 v[164:165], s[4:5], s40, v34, v[148:149]
	v_mad_i64_i32 v[166:167], s[4:5], s40, v35, v[148:149]
	v_lshl_add_u64 v[34:35], v[152:153], 0, v[154:155]
	v_and_b32_e32 v41, 64, v249
	v_add_u32_e32 v41, 64, v41
	v_xor_b32_e32 v42, 32, v249
	v_mul_hi_u32 v1, s98, v237
	v_mul_hi_u32 v38, s98, v209
	;; [unrolled: 1-line block ×4, first 2 shown]
	v_cmp_lt_i32_e32 vcc, v42, v41
	v_add_u32_e32 v1, v237, v1
	v_add_u32_e32 v38, v209, v38
	;; [unrolled: 1-line block ×4, first 2 shown]
	v_cndmask_b32_e32 v42, v249, v42, vcc
	v_lshrrev_b32_e32 v1, s99, v1
	v_lshrrev_b32_e32 v38, s99, v38
	;; [unrolled: 1-line block ×4, first 2 shown]
	v_lshlrev_b32_e32 v96, 2, v42
	v_xor_b32_e32 v42, 16, v249
	v_mul_lo_u32 v1, v1, s80
	v_mul_lo_u32 v38, v38, s80
	;; [unrolled: 1-line block ×4, first 2 shown]
	v_cmp_lt_i32_e32 vcc, v42, v41
	s_add_i32 s38, s87, -1
	v_sub_u32_e32 v1, v237, v1
	v_sub_u32_e32 v38, v209, v38
	;; [unrolled: 1-line block ×4, first 2 shown]
	v_cndmask_b32_e32 v41, v249, v42, vcc
	v_lshlrev_b32_e32 v124, 2, v41
	v_mov_b32_e32 v160, v146
	v_mov_b32_e32 v161, v146
	v_mad_i64_i32 v[162:163], s[4:5], s40, v1, v[148:149]
	v_mad_i64_i32 v[172:173], s[4:5], s40, v38, v[148:149]
	;; [unrolled: 1-line block ×4, first 2 shown]
	v_mov_b32_e32 v125, 0
	v_mov_b32_e32 v80, 0xfeffffff
	;; [unrolled: 1-line block ×3, first 2 shown]
	s_mov_b32 s39, s38
	v_mov_b32_e32 v127, 0
	v_mov_b32_e32 v91, 0
	;; [unrolled: 1-line block ×19, first 2 shown]
	s_waitcnt vmcnt(0)
	v_lshl_add_u64 v[152:153], v[36:37], 0, v[34:35]
	scratch_load_dwordx2 v[36:37], off, off offset:24 ; 8-byte Folded Reload
	v_mov_b32_e32 v55, 0
	v_mov_b32_e32 v54, 0
	;; [unrolled: 1-line block ×12, first 2 shown]
	s_waitcnt vmcnt(0)
	v_lshl_add_u64 v[154:155], v[36:37], 0, v[34:35]
	scratch_load_dwordx2 v[36:37], off, off offset:32 ; 8-byte Folded Reload
	s_waitcnt vmcnt(0)
	v_lshl_add_u64 v[178:179], v[36:37], 0, v[34:35]
	scratch_load_dwordx2 v[36:37], off, off offset:40 ; 8-byte Folded Reload
	;; [unrolled: 3-line block ×3, first 2 shown]
	v_lshl_add_u64 v[34:35], v[156:157], 0, v[158:159]
	v_lshl_add_u64 v[184:185], v[138:139], 0, v[34:35]
	s_waitcnt vmcnt(0)
	v_lshl_add_u64 v[156:157], v[36:37], 0, v[34:35]
	scratch_load_dwordx2 v[36:37], off, off offset:56 ; 8-byte Folded Reload
	s_waitcnt vmcnt(0)
	v_lshl_add_u64 v[158:159], v[36:37], 0, v[34:35]
	scratch_load_dwordx2 v[36:37], off, off offset:64 ; 8-byte Folded Reload
	s_waitcnt vmcnt(0)
	v_lshl_add_u64 v[182:183], v[36:37], 0, v[34:35]
	s_andn2_b64 vcc, exec, s[36:37]
	s_cbranch_vccnz .LBB30_354
.LBB30_349:                             ;   in Loop: Header=BB30_14 Depth=1
	s_and_saveexec_b64 s[4:5], s[0:1]
	s_xor_b64 s[4:5], exec, s[4:5]
	s_cbranch_execz .LBB30_351
; %bb.350:                              ;   in Loop: Header=BB30_14 Depth=1
	v_add_u32_e32 v1, v251, v252
	ds_write_b16 v1, v97 offset:33792
	ds_write_b16 v1, v97 offset:34944
	;; [unrolled: 1-line block ×4, first 2 shown]
.LBB30_351:                             ;   in Loop: Header=BB30_14 Depth=1
	s_or_saveexec_b64 s[4:5], s[4:5]
	v_mov_b32_e32 v1, 0
	v_mov_b32_e32 v34, 0
	;; [unrolled: 1-line block ×4, first 2 shown]
	s_xor_b64 exec, exec, s[4:5]
	s_cbranch_execz .LBB30_353
; %bb.352:                              ;   in Loop: Header=BB30_14 Depth=1
	v_lshl_add_u64 v[34:35], v[162:163], 0, v[116:117]
	global_load_ushort v1, v[34:35], off
	v_lshl_add_u64 v[34:35], v[164:165], 0, v[116:117]
	global_load_ushort v36, v[34:35], off
	;; [unrolled: 2-line block ×4, first 2 shown]
	v_add_u32_e32 v35, v251, v252
	s_waitcnt vmcnt(3)
	ds_write_b16 v35, v1 offset:33792
	s_waitcnt vmcnt(2)
	ds_write_b16 v35, v36 offset:34944
	;; [unrolled: 2-line block ×4, first 2 shown]
	v_lshl_add_u64 v[34:35], v[170:171], 0, v[116:117]
	global_load_ushort v1, v[34:35], off
	v_lshl_add_u64 v[34:35], v[172:173], 0, v[116:117]
	v_lshl_add_u64 v[36:37], v[174:175], 0, v[116:117]
	global_load_ushort v34, v[34:35], off
	s_nop 0
	global_load_ushort v35, v[36:37], off
	v_lshl_add_u64 v[36:37], v[176:177], 0, v[116:117]
	global_load_ushort v36, v[36:37], off
.LBB30_353:                             ;   in Loop: Header=BB30_14 Depth=1
	s_or_b64 exec, exec, s[4:5]
	v_add_u32_e32 v37, v251, v252
	s_waitcnt vmcnt(3)
	ds_write_b16 v37, v1 offset:38400
	s_waitcnt vmcnt(2)
	ds_write_b16 v37, v34 offset:39552
	;; [unrolled: 2-line block ×4, first 2 shown]
.LBB30_354:                             ;   Parent Loop BB30_14 Depth=1
                                        ; =>  This Inner Loop Header: Depth=2
	v_mov_b32_e32 v1, s31
	v_lshl_add_u64 v[36:37], v[158:159], 0, v[118:119]
	v_lshl_add_u64 v[34:35], v[156:157], 0, v[118:119]
	v_cndmask_b32_e64 v39, v1, v37, s[8:9]
	v_cndmask_b32_e64 v38, v211, v36, s[8:9]
	v_lshl_add_u64 v[36:37], v[182:183], 0, v[118:119]
	v_cndmask_b32_e64 v35, v1, v35, s[52:53]
	v_cndmask_b32_e64 v34, v211, v34, s[52:53]
	;; [unrolled: 1-line block ×4, first 2 shown]
	v_lshl_add_u64 v[36:37], v[184:185], 0, v[118:119]
	scratch_store_dwordx4 off, v[130:133], off
	v_cndmask_b32_e64 v43, v1, v37, s[12:13]
	v_cndmask_b32_e64 v42, v211, v36, s[12:13]
	flat_load_dwordx4 v[34:37], v[34:35]
	v_add_u32_e32 v1, 0x4000, v202
	s_waitcnt vmcnt(0) lgkmcnt(0)
	ds_write_b128 v201, v[34:37]
	flat_load_dwordx4 v[34:37], v[38:39]
	s_waitcnt vmcnt(0) lgkmcnt(0)
	ds_write_b128 v254, v[34:37]
	flat_load_dwordx4 v[34:37], v[40:41]
	;; [unrolled: 3-line block ×3, first 2 shown]
	s_waitcnt vmcnt(0) lgkmcnt(0)
	ds_write_b128 v246, v[34:37]
	s_waitcnt lgkmcnt(0)
	s_barrier
	ds_read2_b64 v[34:37], v202 offset1:4
	s_waitcnt lgkmcnt(0)
	v_mfma_f32_16x16x16_f16 v[38:41], v[34:35], v[30:31], 0
	v_mfma_f32_16x16x16_f16 v[34:37], v[36:37], v[32:33], v[38:41]
	s_nop 6
	ds_read2_b64 v[38:41], v202 offset0:8 offset1:12
	s_waitcnt lgkmcnt(0)
	v_mfma_f32_16x16x16_f16 v[34:37], v[38:39], v[26:27], v[34:37]
	v_mfma_f32_16x16x16_f16 v[34:37], v[40:41], v[28:29], v[34:37]
	ds_read2_b64 v[38:41], v202 offset0:16 offset1:20
	s_waitcnt lgkmcnt(0)
	v_mfma_f32_16x16x16_f16 v[34:37], v[38:39], v[22:23], v[34:37]
	v_mfma_f32_16x16x16_f16 v[34:37], v[40:41], v[24:25], v[34:37]
	;; [unrolled: 4-line block ×7, first 2 shown]
	ds_read2_b64 v[38:41], v1 offset0:64 offset1:68
	s_waitcnt lgkmcnt(0)
	v_mfma_f32_16x16x16_f16 v[42:45], v[38:39], v[30:31], 0
	s_nop 4
	v_cmp_nlt_f32_e64 s[4:5], |v34|, s2
	v_mfma_f32_16x16x16_f16 v[38:41], v[40:41], v[32:33], v[42:45]
	s_nop 2
	ds_read2_b64 v[42:45], v1 offset0:72 offset1:76
	s_waitcnt lgkmcnt(0)
	v_mfma_f32_16x16x16_f16 v[38:41], v[42:43], v[26:27], v[38:41]
	v_mfma_f32_16x16x16_f16 v[38:41], v[44:45], v[28:29], v[38:41]
	ds_read2_b64 v[42:45], v1 offset0:80 offset1:84
	s_waitcnt lgkmcnt(0)
	v_mfma_f32_16x16x16_f16 v[38:41], v[42:43], v[22:23], v[38:41]
	v_mfma_f32_16x16x16_f16 v[38:41], v[44:45], v[24:25], v[38:41]
	;; [unrolled: 4-line block ×6, first 2 shown]
	ds_read2_b64 v[42:45], v1 offset0:120 offset1:124
	s_waitcnt lgkmcnt(0)
	s_barrier
	v_mfma_f32_16x16x16_f16 v[38:41], v[42:43], v[2:3], v[38:41]
                                        ; implicit-def: $vgpr1
	v_mfma_f32_16x16x16_f16 v[38:41], v[44:45], v[4:5], v[38:41]
	s_and_saveexec_b64 s[40:41], s[4:5]
	s_xor_b64 s[4:5], exec, s[40:41]
	s_cbranch_execz .LBB30_356
; %bb.355:                              ;   in Loop: Header=BB30_354 Depth=2
	v_add_f32_e64 v1, |v34|, |v34|
	v_mul_f32_e32 v42, 0x3fb8aa3b, v1
	v_rndne_f32_e32 v43, v42
	v_sub_f32_e32 v44, v42, v43
	v_fma_f32 v42, v1, s3, -v42
	v_fmac_f32_e32 v42, 0x32a5705f, v1
	v_add_f32_e32 v42, v44, v42
	v_cvt_i32_f32_e32 v43, v43
	v_exp_f32_e32 v42, v42
	v_cmp_ngt_f32_e32 vcc, s30, v1
	v_ldexp_f32 v42, v42, v43
	s_nop 0
	v_cndmask_b32_e32 v42, 0, v42, vcc
	v_cmp_nlt_f32_e32 vcc, s81, v1
	s_nop 1
	v_cndmask_b32_e32 v1, v213, v42, vcc
	v_add_f32_e32 v1, 1.0, v1
	v_rcp_f32_e32 v1, v1
	s_nop 0
	v_fma_f32 v1, v1, -2.0, 1.0
.LBB30_356:                             ;   in Loop: Header=BB30_354 Depth=2
	s_andn2_saveexec_b64 s[4:5], s[4:5]
; %bb.357:                              ;   in Loop: Header=BB30_354 Depth=2
	v_mul_f32_e32 v1, v34, v34
	v_fmamk_f32 v42, v1, 0xbbbac73d, v214
	v_fmaak_f32 v42, v1, v42, 0xbd5c1c4e
	v_fmaak_f32 v42, v1, v42, 0x3e088382
	;; [unrolled: 1-line block ×3, first 2 shown]
	v_mul_f32_e64 v42, |v34|, v42
	v_fma_f32 v1, v1, v42, |v34|
; %bb.358:                              ;   in Loop: Header=BB30_354 Depth=2
	s_or_b64 exec, exec, s[4:5]
	v_cmp_nlt_f32_e64 s[4:5], |v35|, s2
                                        ; implicit-def: $vgpr42
	s_and_saveexec_b64 s[40:41], s[4:5]
	s_xor_b64 s[4:5], exec, s[40:41]
	s_cbranch_execz .LBB30_360
; %bb.359:                              ;   in Loop: Header=BB30_354 Depth=2
	v_add_f32_e64 v42, |v35|, |v35|
	v_mul_f32_e32 v43, 0x3fb8aa3b, v42
	v_rndne_f32_e32 v44, v43
	v_sub_f32_e32 v45, v43, v44
	v_fma_f32 v43, v42, s3, -v43
	v_fmac_f32_e32 v43, 0x32a5705f, v42
	v_add_f32_e32 v43, v45, v43
	v_cvt_i32_f32_e32 v44, v44
	v_exp_f32_e32 v43, v43
	v_cmp_ngt_f32_e32 vcc, s30, v42
	v_ldexp_f32 v43, v43, v44
	s_nop 0
	v_cndmask_b32_e32 v43, 0, v43, vcc
	v_cmp_nlt_f32_e32 vcc, s81, v42
	s_nop 1
	v_cndmask_b32_e32 v42, v213, v43, vcc
	v_add_f32_e32 v42, 1.0, v42
	v_rcp_f32_e32 v42, v42
	s_nop 0
	v_fma_f32 v42, v42, -2.0, 1.0
.LBB30_360:                             ;   in Loop: Header=BB30_354 Depth=2
	s_andn2_saveexec_b64 s[4:5], s[4:5]
; %bb.361:                              ;   in Loop: Header=BB30_354 Depth=2
	v_mul_f32_e32 v42, v35, v35
	v_fmamk_f32 v43, v42, 0xbbbac73d, v214
	v_fmaak_f32 v43, v42, v43, 0xbd5c1c4e
	v_fmaak_f32 v43, v42, v43, 0x3e088382
	v_fmaak_f32 v43, v42, v43, 0xbeaaaa99
	v_mul_f32_e64 v43, |v35|, v43
	v_fma_f32 v42, v42, v43, |v35|
; %bb.362:                              ;   in Loop: Header=BB30_354 Depth=2
	s_or_b64 exec, exec, s[4:5]
	v_cmp_nlt_f32_e64 s[4:5], |v36|, s2
                                        ; implicit-def: $vgpr43
	s_and_saveexec_b64 s[40:41], s[4:5]
	s_xor_b64 s[4:5], exec, s[40:41]
	s_cbranch_execz .LBB30_364
; %bb.363:                              ;   in Loop: Header=BB30_354 Depth=2
	v_add_f32_e64 v43, |v36|, |v36|
	v_mul_f32_e32 v44, 0x3fb8aa3b, v43
	v_rndne_f32_e32 v45, v44
	v_sub_f32_e32 v46, v44, v45
	v_fma_f32 v44, v43, s3, -v44
	v_fmac_f32_e32 v44, 0x32a5705f, v43
	v_add_f32_e32 v44, v46, v44
	v_cvt_i32_f32_e32 v45, v45
	v_exp_f32_e32 v44, v44
	v_cmp_ngt_f32_e32 vcc, s30, v43
	v_ldexp_f32 v44, v44, v45
	s_nop 0
	v_cndmask_b32_e32 v44, 0, v44, vcc
	v_cmp_nlt_f32_e32 vcc, s81, v43
	s_nop 1
	v_cndmask_b32_e32 v43, v213, v44, vcc
	v_add_f32_e32 v43, 1.0, v43
	v_rcp_f32_e32 v43, v43
	s_nop 0
	v_fma_f32 v43, v43, -2.0, 1.0
.LBB30_364:                             ;   in Loop: Header=BB30_354 Depth=2
	s_andn2_saveexec_b64 s[4:5], s[4:5]
; %bb.365:                              ;   in Loop: Header=BB30_354 Depth=2
	v_mul_f32_e32 v43, v36, v36
	v_fmamk_f32 v44, v43, 0xbbbac73d, v214
	v_fmaak_f32 v44, v43, v44, 0xbd5c1c4e
	v_fmaak_f32 v44, v43, v44, 0x3e088382
	;; [unrolled: 1-line block ×3, first 2 shown]
	v_mul_f32_e64 v44, |v36|, v44
	v_fma_f32 v43, v43, v44, |v36|
; %bb.366:                              ;   in Loop: Header=BB30_354 Depth=2
	s_or_b64 exec, exec, s[4:5]
	v_cmp_nlt_f32_e64 s[4:5], |v37|, s2
                                        ; implicit-def: $vgpr44
	s_and_saveexec_b64 s[40:41], s[4:5]
	s_xor_b64 s[4:5], exec, s[40:41]
	s_cbranch_execz .LBB30_368
; %bb.367:                              ;   in Loop: Header=BB30_354 Depth=2
	v_add_f32_e64 v44, |v37|, |v37|
	v_mul_f32_e32 v45, 0x3fb8aa3b, v44
	v_rndne_f32_e32 v46, v45
	v_sub_f32_e32 v47, v45, v46
	v_fma_f32 v45, v44, s3, -v45
	v_fmac_f32_e32 v45, 0x32a5705f, v44
	v_add_f32_e32 v45, v47, v45
	v_cvt_i32_f32_e32 v46, v46
	v_exp_f32_e32 v45, v45
	v_cmp_ngt_f32_e32 vcc, s30, v44
	v_ldexp_f32 v45, v45, v46
	s_nop 0
	v_cndmask_b32_e32 v45, 0, v45, vcc
	v_cmp_nlt_f32_e32 vcc, s81, v44
	s_nop 1
	v_cndmask_b32_e32 v44, v213, v45, vcc
	v_add_f32_e32 v44, 1.0, v44
	v_rcp_f32_e32 v44, v44
	s_nop 0
	v_fma_f32 v44, v44, -2.0, 1.0
.LBB30_368:                             ;   in Loop: Header=BB30_354 Depth=2
	s_andn2_saveexec_b64 s[4:5], s[4:5]
; %bb.369:                              ;   in Loop: Header=BB30_354 Depth=2
	v_mul_f32_e32 v44, v37, v37
	v_fmamk_f32 v45, v44, 0xbbbac73d, v214
	v_fmaak_f32 v45, v44, v45, 0xbd5c1c4e
	v_fmaak_f32 v45, v44, v45, 0x3e088382
	;; [unrolled: 1-line block ×3, first 2 shown]
	v_mul_f32_e64 v45, |v37|, v45
	v_fma_f32 v44, v44, v45, |v37|
; %bb.370:                              ;   in Loop: Header=BB30_354 Depth=2
	s_or_b64 exec, exec, s[4:5]
	v_cmp_nlt_f32_e64 s[4:5], |v38|, s2
                                        ; implicit-def: $vgpr45
	s_and_saveexec_b64 s[40:41], s[4:5]
	s_xor_b64 s[4:5], exec, s[40:41]
	s_cbranch_execz .LBB30_372
; %bb.371:                              ;   in Loop: Header=BB30_354 Depth=2
	v_add_f32_e64 v45, |v38|, |v38|
	v_mul_f32_e32 v46, 0x3fb8aa3b, v45
	v_rndne_f32_e32 v47, v46
	v_sub_f32_e32 v48, v46, v47
	v_fma_f32 v46, v45, s3, -v46
	v_fmac_f32_e32 v46, 0x32a5705f, v45
	v_add_f32_e32 v46, v48, v46
	v_cvt_i32_f32_e32 v47, v47
	v_exp_f32_e32 v46, v46
	v_cmp_ngt_f32_e32 vcc, s30, v45
	v_ldexp_f32 v46, v46, v47
	s_nop 0
	v_cndmask_b32_e32 v46, 0, v46, vcc
	v_cmp_nlt_f32_e32 vcc, s81, v45
	s_nop 1
	v_cndmask_b32_e32 v45, v213, v46, vcc
	v_add_f32_e32 v45, 1.0, v45
	v_rcp_f32_e32 v45, v45
	s_nop 0
	v_fma_f32 v45, v45, -2.0, 1.0
.LBB30_372:                             ;   in Loop: Header=BB30_354 Depth=2
	s_andn2_saveexec_b64 s[4:5], s[4:5]
; %bb.373:                              ;   in Loop: Header=BB30_354 Depth=2
	v_mul_f32_e32 v45, v38, v38
	v_fmamk_f32 v46, v45, 0xbbbac73d, v214
	v_fmaak_f32 v46, v45, v46, 0xbd5c1c4e
	v_fmaak_f32 v46, v45, v46, 0x3e088382
	;; [unrolled: 1-line block ×3, first 2 shown]
	v_mul_f32_e64 v46, |v38|, v46
	v_fma_f32 v45, v45, v46, |v38|
; %bb.374:                              ;   in Loop: Header=BB30_354 Depth=2
	s_or_b64 exec, exec, s[4:5]
	v_cmp_nlt_f32_e64 s[4:5], |v39|, s2
                                        ; implicit-def: $vgpr47
	s_and_saveexec_b64 s[40:41], s[4:5]
	s_xor_b64 s[4:5], exec, s[40:41]
	s_cbranch_execz .LBB30_376
; %bb.375:                              ;   in Loop: Header=BB30_354 Depth=2
	v_add_f32_e64 v46, |v39|, |v39|
	v_mul_f32_e32 v47, 0x3fb8aa3b, v46
	v_rndne_f32_e32 v48, v47
	v_sub_f32_e32 v49, v47, v48
	v_fma_f32 v47, v46, s3, -v47
	v_fmac_f32_e32 v47, 0x32a5705f, v46
	v_add_f32_e32 v47, v49, v47
	v_cvt_i32_f32_e32 v48, v48
	v_exp_f32_e32 v47, v47
	v_cmp_ngt_f32_e32 vcc, s30, v46
	v_ldexp_f32 v47, v47, v48
	s_nop 0
	v_cndmask_b32_e32 v47, 0, v47, vcc
	v_cmp_nlt_f32_e32 vcc, s81, v46
	s_nop 1
	v_cndmask_b32_e32 v46, v213, v47, vcc
	v_add_f32_e32 v46, 1.0, v46
	v_rcp_f32_e32 v46, v46
	s_nop 0
	v_fma_f32 v47, v46, -2.0, 1.0
.LBB30_376:                             ;   in Loop: Header=BB30_354 Depth=2
	s_andn2_saveexec_b64 s[4:5], s[4:5]
; %bb.377:                              ;   in Loop: Header=BB30_354 Depth=2
	v_mul_f32_e32 v46, v39, v39
	v_fmamk_f32 v47, v46, 0xbbbac73d, v214
	v_fmaak_f32 v47, v46, v47, 0xbd5c1c4e
	v_fmaak_f32 v47, v46, v47, 0x3e088382
	;; [unrolled: 1-line block ×3, first 2 shown]
	v_mul_f32_e64 v47, |v39|, v47
	v_fma_f32 v47, v46, v47, |v39|
; %bb.378:                              ;   in Loop: Header=BB30_354 Depth=2
	s_or_b64 exec, exec, s[4:5]
	v_cmp_nlt_f32_e64 s[4:5], |v40|, s2
                                        ; implicit-def: $vgpr48
	s_and_saveexec_b64 s[40:41], s[4:5]
	s_xor_b64 s[4:5], exec, s[40:41]
	s_cbranch_execz .LBB30_380
; %bb.379:                              ;   in Loop: Header=BB30_354 Depth=2
	v_add_f32_e64 v46, |v40|, |v40|
	v_mul_f32_e32 v48, 0x3fb8aa3b, v46
	v_rndne_f32_e32 v49, v48
	v_sub_f32_e32 v50, v48, v49
	v_fma_f32 v48, v46, s3, -v48
	v_fmac_f32_e32 v48, 0x32a5705f, v46
	v_add_f32_e32 v48, v50, v48
	v_cvt_i32_f32_e32 v49, v49
	v_exp_f32_e32 v48, v48
	v_cmp_ngt_f32_e32 vcc, s30, v46
	v_ldexp_f32 v48, v48, v49
	s_nop 0
	v_cndmask_b32_e32 v48, 0, v48, vcc
	v_cmp_nlt_f32_e32 vcc, s81, v46
	s_nop 1
	v_cndmask_b32_e32 v46, v213, v48, vcc
	v_add_f32_e32 v46, 1.0, v46
	v_rcp_f32_e32 v46, v46
	s_nop 0
	v_fma_f32 v48, v46, -2.0, 1.0
.LBB30_380:                             ;   in Loop: Header=BB30_354 Depth=2
	s_andn2_saveexec_b64 s[4:5], s[4:5]
; %bb.381:                              ;   in Loop: Header=BB30_354 Depth=2
	v_mul_f32_e32 v46, v40, v40
	v_fmamk_f32 v48, v46, 0xbbbac73d, v214
	v_fmaak_f32 v48, v46, v48, 0xbd5c1c4e
	v_fmaak_f32 v48, v46, v48, 0x3e088382
	;; [unrolled: 1-line block ×3, first 2 shown]
	v_mul_f32_e64 v48, |v40|, v48
	v_fma_f32 v48, v46, v48, |v40|
; %bb.382:                              ;   in Loop: Header=BB30_354 Depth=2
	s_or_b64 exec, exec, s[4:5]
	v_cmp_nlt_f32_e64 s[4:5], |v41|, s2
                                        ; implicit-def: $vgpr49
	s_and_saveexec_b64 s[40:41], s[4:5]
	s_xor_b64 s[4:5], exec, s[40:41]
	s_cbranch_execz .LBB30_384
; %bb.383:                              ;   in Loop: Header=BB30_354 Depth=2
	v_add_f32_e64 v46, |v41|, |v41|
	v_mul_f32_e32 v49, 0x3fb8aa3b, v46
	v_rndne_f32_e32 v50, v49
	v_sub_f32_e32 v51, v49, v50
	v_fma_f32 v49, v46, s3, -v49
	v_fmac_f32_e32 v49, 0x32a5705f, v46
	v_add_f32_e32 v49, v51, v49
	v_cvt_i32_f32_e32 v50, v50
	v_exp_f32_e32 v49, v49
	v_cmp_ngt_f32_e32 vcc, s30, v46
	v_ldexp_f32 v49, v49, v50
	s_nop 0
	v_cndmask_b32_e32 v49, 0, v49, vcc
	v_cmp_nlt_f32_e32 vcc, s81, v46
	s_nop 1
	v_cndmask_b32_e32 v46, v213, v49, vcc
	v_add_f32_e32 v46, 1.0, v46
	v_rcp_f32_e32 v46, v46
	s_nop 0
	v_fma_f32 v49, v46, -2.0, 1.0
.LBB30_384:                             ;   in Loop: Header=BB30_354 Depth=2
	s_andn2_saveexec_b64 s[4:5], s[4:5]
; %bb.385:                              ;   in Loop: Header=BB30_354 Depth=2
	v_mul_f32_e32 v46, v41, v41
	v_fmamk_f32 v49, v46, 0xbbbac73d, v214
	v_fmaak_f32 v49, v46, v49, 0xbd5c1c4e
	v_fmaak_f32 v49, v46, v49, 0x3e088382
	;; [unrolled: 1-line block ×3, first 2 shown]
	v_mul_f32_e64 v49, |v41|, v49
	v_fma_f32 v49, v46, v49, |v41|
; %bb.386:                              ;   in Loop: Header=BB30_354 Depth=2
	s_or_b64 exec, exec, s[4:5]
	v_bfi_b32 v1, s86, v1, v34
	v_mul_f32_e32 v50, s93, v1
	v_bfi_b32 v1, s86, v42, v35
	v_bfi_b32 v38, s86, v45, v38
	v_mul_f32_e32 v51, s93, v1
	v_bfi_b32 v1, s86, v43, v36
	v_mul_f32_e32 v46, s93, v38
	;; [unrolled: 2-line block ×6, first 2 shown]
	v_mul_f32_e32 v49, s93, v1
	s_and_b64 vcc, exec, s[36:37]
	s_cbranch_vccz .LBB30_391
; %bb.387:                              ;   in Loop: Header=BB30_354 Depth=2
	v_add_u32_e32 v1, 0x8400, v226
	ds_read2_b32 v[34:35], v1 offset1:1
	ds_read_b32 v1, v228 offset:33792
	ds_read_b32 v38, v230 offset:33792
	v_mov_b32_e32 v147, v146
	s_waitcnt lgkmcnt(2)
	v_cvt_f32_f16_e32 v36, v34
	v_cvt_f32_f16_sdwa v37, v34 dst_sel:DWORD dst_unused:UNUSED_PAD src0_sel:WORD_1
	v_cvt_f32_f16_e32 v34, v35
	v_cvt_f32_f16_sdwa v35, v35 dst_sel:DWORD dst_unused:UNUSED_PAD src0_sel:WORD_1
	s_waitcnt lgkmcnt(1)
	v_cvt_f32_f16_sdwa v41, v1 dst_sel:DWORD dst_unused:UNUSED_PAD src0_sel:WORD_1
	s_waitcnt lgkmcnt(0)
	v_cvt_f32_f16_sdwa v43, v38 dst_sel:DWORD dst_unused:UNUSED_PAD src0_sel:WORD_1
	v_cvt_f32_f16_e32 v42, v38
	v_cvt_f32_f16_e32 v40, v1
	v_pk_fma_f32 v[38:39], v[146:147], v[34:35], v[52:53]
	v_pk_fma_f32 v[36:37], v[160:161], v[36:37], v[50:51]
	;; [unrolled: 1-line block ×4, first 2 shown]
	s_cbranch_execnz .LBB30_389
.LBB30_388:                             ;   in Loop: Header=BB30_354 Depth=2
	v_mov_b64_e32 v[42:43], v[46:47]
	v_mov_b64_e32 v[36:37], v[50:51]
	;; [unrolled: 1-line block ×4, first 2 shown]
.LBB30_389:                             ;   in Loop: Header=BB30_354 Depth=2
	v_add_f32_e32 v1, 0x40051340, v36
	v_max_f32_e32 v34, v80, v80
	v_max_f32_e32 v1, v34, v1
	v_cndmask_b32_e64 v1, v80, v1, s[14:15]
	v_add_f32_e32 v34, 0x40051340, v37
	v_max_f32_e32 v35, v1, v1
	v_max_f32_e32 v34, v35, v34
	v_cndmask_b32_e64 v1, v1, v34, s[16:17]
	;; [unrolled: 4-line block ×8, first 2 shown]
	ds_bpermute_b32 v34, v96, v1
	v_max_f32_e32 v1, v1, v1
	scratch_store_dwordx4 off, v[130:133], off
	v_lshl_add_u64 v[46:47], v[180:181], 0, v[118:119]
	v_cndmask_b32_e64 v46, v211, v46, s[12:13]
	s_waitcnt lgkmcnt(0)
	v_max_f32_e32 v34, v34, v34
	v_max_f32_e32 v1, v1, v34
	ds_bpermute_b32 v34, v124, v1
	s_add_i32 s39, s39, -1
	v_lshl_add_u64 v[162:163], v[162:163], 0, s[88:89]
	v_lshl_add_u64 v[164:165], v[164:165], 0, s[88:89]
	;; [unrolled: 1-line block ×3, first 2 shown]
	s_waitcnt lgkmcnt(0)
	v_max_f32_e32 v34, v34, v34
	v_max_f32_e32 v147, v1, v34
	v_sub_f32_e32 v1, v36, v147
	v_mul_f32_e32 v34, 0x3fb8aa3b, v1
	v_fma_f32 v35, v1, s3, -v34
	v_rndne_f32_e32 v36, v34
	v_fmac_f32_e32 v35, 0x32a5705f, v1
	v_sub_f32_e32 v34, v34, v36
	v_add_f32_e32 v34, v34, v35
	v_exp_f32_e32 v34, v34
	v_cvt_i32_f32_e32 v35, v36
	v_cmp_ngt_f32_e32 vcc, s30, v1
	v_lshl_add_u64 v[168:169], v[168:169], 0, s[88:89]
	v_lshl_add_u64 v[170:171], v[170:171], 0, s[88:89]
	v_ldexp_f32 v34, v34, v35
	v_cndmask_b32_e32 v34, 0, v34, vcc
	v_cmp_nlt_f32_e32 vcc, s81, v1
	v_lshl_add_u64 v[172:173], v[172:173], 0, s[88:89]
	v_lshl_add_u64 v[174:175], v[174:175], 0, s[88:89]
	v_cndmask_b32_e32 v1, v213, v34, vcc
	v_cndmask_b32_e64 v36, 0, v1, s[14:15]
	v_sub_f32_e32 v1, v37, v147
	v_mul_f32_e32 v34, 0x3fb8aa3b, v1
	v_fma_f32 v35, v1, s3, -v34
	v_rndne_f32_e32 v37, v34
	v_fmac_f32_e32 v35, 0x32a5705f, v1
	v_sub_f32_e32 v34, v34, v37
	v_add_f32_e32 v34, v34, v35
	v_exp_f32_e32 v34, v34
	v_cvt_i32_f32_e32 v35, v37
	v_cmp_ngt_f32_e32 vcc, s30, v1
	v_lshl_add_u64 v[176:177], v[176:177], 0, s[88:89]
	v_lshl_add_u64 v[180:181], v[180:181], 0, s[34:35]
	v_ldexp_f32 v34, v34, v35
	v_cndmask_b32_e32 v34, 0, v34, vcc
	v_cmp_nlt_f32_e32 vcc, s81, v1
	v_mov_b32_e32 v1, s95
	v_lshl_add_u64 v[156:157], v[156:157], 0, s[90:91]
	v_cndmask_b32_e32 v34, v213, v34, vcc
	v_add_f32_e32 v37, v34, v36
	v_cndmask_b32_e64 v35, v1, v34, s[16:17]
	v_sub_f32_e32 v34, v38, v147
	v_cndmask_b32_e64 v1, v36, v37, s[16:17]
	v_mul_f32_e32 v37, 0x3fb8aa3b, v34
	v_fma_f32 v38, v34, s3, -v37
	v_rndne_f32_e32 v40, v37
	v_fmac_f32_e32 v38, 0x32a5705f, v34
	v_sub_f32_e32 v37, v37, v40
	v_add_f32_e32 v37, v37, v38
	v_exp_f32_e32 v37, v37
	v_cvt_i32_f32_e32 v38, v40
	v_cmp_ngt_f32_e32 vcc, s30, v34
	v_lshl_add_u64 v[158:159], v[158:159], 0, s[90:91]
	v_lshl_add_u64 v[182:183], v[182:183], 0, s[90:91]
	v_ldexp_f32 v37, v37, v38
	v_cndmask_b32_e32 v37, 0, v37, vcc
	v_cmp_nlt_f32_e32 vcc, s81, v34
	v_mov_b32_e32 v34, s95
	v_lshl_add_u64 v[184:185], v[184:185], 0, s[90:91]
	v_cndmask_b32_e32 v37, v213, v37, vcc
	v_cndmask_b32_e64 v40, v34, v37, s[18:19]
	v_sub_f32_e32 v34, v39, v147
	v_add_f32_e32 v38, v1, v37
	v_mul_f32_e32 v37, 0x3fb8aa3b, v34
	v_cndmask_b32_e64 v1, v1, v38, s[18:19]
	v_fma_f32 v38, v34, s3, -v37
	v_rndne_f32_e32 v39, v37
	v_fmac_f32_e32 v38, 0x32a5705f, v34
	v_sub_f32_e32 v37, v37, v39
	v_add_f32_e32 v37, v37, v38
	v_exp_f32_e32 v37, v37
	v_cvt_i32_f32_e32 v38, v39
	v_cmp_ngt_f32_e32 vcc, s30, v34
	s_cmp_lg_u32 s39, 0
	v_ldexp_f32 v37, v37, v38
	v_cndmask_b32_e32 v37, 0, v37, vcc
	v_cmp_nlt_f32_e32 vcc, s81, v34
	s_nop 1
	v_cndmask_b32_e32 v34, v213, v37, vcc
	v_mov_b32_e32 v37, s95
	v_add_f32_e32 v38, v1, v34
	v_cndmask_b32_e64 v76, v37, v34, s[20:21]
	v_sub_f32_e32 v34, v42, v147
	v_mul_f32_e32 v37, 0x3fb8aa3b, v34
	v_cndmask_b32_e64 v1, v1, v38, s[20:21]
	v_fma_f32 v38, v34, s3, -v37
	v_rndne_f32_e32 v39, v37
	v_fmac_f32_e32 v38, 0x32a5705f, v34
	v_sub_f32_e32 v37, v37, v39
	v_add_f32_e32 v37, v37, v38
	v_exp_f32_e32 v37, v37
	v_cvt_i32_f32_e32 v38, v39
	v_cmp_ngt_f32_e32 vcc, s30, v34
	v_ldexp_f32 v37, v37, v38
	s_nop 0
	v_cndmask_b32_e32 v37, 0, v37, vcc
	v_cmp_nlt_f32_e32 vcc, s81, v34
	v_mov_b32_e32 v34, s95
	s_nop 0
	v_cndmask_b32_e32 v37, v213, v37, vcc
	v_add_f32_e32 v38, v37, v1
	v_cndmask_b32_e64 v34, v34, v37, s[22:23]
	v_cndmask_b32_e64 v37, v1, v38, s[22:23]
	v_sub_f32_e32 v1, v43, v147
	v_mul_f32_e32 v38, 0x3fb8aa3b, v1
	v_fma_f32 v39, v1, s3, -v38
	v_rndne_f32_e32 v41, v38
	v_fmac_f32_e32 v39, 0x32a5705f, v1
	v_sub_f32_e32 v38, v38, v41
	v_add_f32_e32 v38, v38, v39
	v_exp_f32_e32 v38, v38
	v_cvt_i32_f32_e32 v39, v41
	v_cmp_ngt_f32_e32 vcc, s30, v1
	v_ldexp_f32 v38, v38, v39
	s_nop 0
	v_cndmask_b32_e32 v38, 0, v38, vcc
	v_cmp_nlt_f32_e32 vcc, s81, v1
	v_mov_b32_e32 v1, s95
	s_nop 0
	v_cndmask_b32_e32 v38, v213, v38, vcc
	v_add_f32_e32 v39, v38, v37
	v_cndmask_b32_e64 v1, v1, v38, s[24:25]
	v_sub_f32_e32 v38, v44, v147
	v_cndmask_b32_e64 v37, v37, v39, s[24:25]
	v_mul_f32_e32 v39, 0x3fb8aa3b, v38
	v_fma_f32 v41, v38, s3, -v39
	v_rndne_f32_e32 v42, v39
	v_fmac_f32_e32 v41, 0x32a5705f, v38
	v_sub_f32_e32 v39, v39, v42
	v_add_f32_e32 v39, v39, v41
	v_exp_f32_e32 v39, v39
	v_cvt_i32_f32_e32 v41, v42
	v_cmp_ngt_f32_e32 vcc, s30, v38
	v_ldexp_f32 v39, v39, v41
	s_nop 0
	v_cndmask_b32_e32 v39, 0, v39, vcc
	v_cmp_nlt_f32_e32 vcc, s81, v38
	v_mov_b32_e32 v38, s95
	s_nop 0
	v_cndmask_b32_e32 v39, v213, v39, vcc
	v_add_f32_e32 v41, v39, v37
	v_cndmask_b32_e64 v38, v38, v39, s[26:27]
	v_cndmask_b32_e64 v39, v37, v41, s[26:27]
	v_sub_f32_e32 v37, v45, v147
	v_mul_f32_e32 v41, 0x3fb8aa3b, v37
	v_fma_f32 v42, v37, s3, -v41
	v_rndne_f32_e32 v43, v41
	v_fmac_f32_e32 v42, 0x32a5705f, v37
	v_sub_f32_e32 v41, v41, v43
	v_add_f32_e32 v41, v41, v42
	v_exp_f32_e32 v41, v41
	v_cvt_i32_f32_e32 v42, v43
	v_cmp_ngt_f32_e32 vcc, s30, v37
	v_ldexp_f32 v41, v41, v42
	s_nop 0
	v_cndmask_b32_e32 v41, 0, v41, vcc
	v_cmp_nlt_f32_e32 vcc, s81, v37
	v_mov_b32_e32 v37, s95
	s_nop 0
	v_cndmask_b32_e32 v41, v213, v41, vcc
	v_add_f32_e32 v42, v41, v39
	v_cndmask_b32_e64 v191, v39, v42, s[28:29]
	v_sub_f32_e32 v39, v80, v147
	v_cndmask_b32_e64 v37, v37, v41, s[28:29]
	v_mul_f32_e32 v41, 0x3fb8aa3b, v39
	v_fma_f32 v42, v39, s3, -v41
	v_rndne_f32_e32 v43, v41
	v_fmac_f32_e32 v42, 0x32a5705f, v39
	v_sub_f32_e32 v41, v41, v43
	v_add_f32_e32 v41, v41, v42
	v_exp_f32_e32 v41, v41
	v_cvt_i32_f32_e32 v42, v43
	v_cmp_ngt_f32_e32 vcc, s30, v39
	v_ldexp_f32 v41, v41, v42
	s_nop 0
	v_cndmask_b32_e32 v41, 0, v41, vcc
	v_cmp_nlt_f32_e32 vcc, s81, v39
	s_nop 1
	v_cndmask_b32_e32 v41, v213, v41, vcc
	v_cmp_le_f32_e32 vcc, s7, v39
	s_nop 1
	v_cndmask_b32_e32 v39, 0, v41, vcc
	v_fmac_f32_e32 v191, v77, v39
	v_cvt_f16_f32_e32 v39, v39
	v_mul_u32_u24_e32 v42, 0x10001, v39
	v_pk_mul_f16 v73, v73, v42
	v_pk_mul_f16 v72, v72, v42
	;; [unrolled: 1-line block ×32, first 2 shown]
	v_lshl_add_u64 v[42:43], v[152:153], 0, v[118:119]
	v_mov_b32_e32 v60, s31
	v_cndmask_b32_e64 v45, v60, v43, s[52:53]
	v_cndmask_b32_e64 v44, v211, v42, s[52:53]
	flat_load_dwordx4 v[186:189], v[44:45]
	v_lshl_add_u64 v[42:43], v[154:155], 0, v[118:119]
	v_cndmask_b32_e64 v57, v60, v43, s[8:9]
	v_cndmask_b32_e64 v56, v211, v42, s[8:9]
	v_lshl_add_u64 v[42:43], v[178:179], 0, v[118:119]
	v_cndmask_b32_e64 v43, v60, v43, s[10:11]
	v_cndmask_b32_e64 v42, v211, v42, s[10:11]
	;; [unrolled: 1-line block ×3, first 2 shown]
	v_cvt_f32_f16_e32 v134, v49
	v_cvt_f32_f16_sdwa v135, v49 dst_sel:DWORD dst_unused:UNUSED_PAD src0_sel:WORD_1
	v_cvt_f32_f16_e32 v136, v48
	v_cvt_f32_f16_sdwa v137, v48 dst_sel:DWORD dst_unused:UNUSED_PAD src0_sel:WORD_1
	v_lshl_add_u64 v[152:153], v[152:153], 0, s[34:35]
	v_lshl_add_u64 v[154:155], v[154:155], 0, s[34:35]
	;; [unrolled: 1-line block ×3, first 2 shown]
	s_waitcnt vmcnt(0) lgkmcnt(0)
	ds_write_b128 v201, v[186:189]
	flat_load_dwordx4 v[186:189], v[56:57]
	s_waitcnt vmcnt(0) lgkmcnt(0)
	ds_write_b128 v254, v[186:189]
	flat_load_dwordx4 v[42:45], v[42:43]
	v_cvt_pk_f16_f32 v189, v40, v76
	v_cvt_pk_f16_f32 v188, v36, v35
	;; [unrolled: 1-line block ×4, first 2 shown]
	s_waitcnt vmcnt(0) lgkmcnt(0)
	ds_write_b128 v248, v[42:45]
	flat_load_dwordx4 v[42:45], v[46:47]
	s_waitcnt vmcnt(0) lgkmcnt(0)
	ds_write_b128 v246, v[42:45]
	s_waitcnt lgkmcnt(0)
	s_barrier
	ds_read_u16 v46, v204 offset:528
	ds_read_u16 v47, v204 offset:1056
	ds_read_u16 v56, v205
	ds_read_u16 v57, v205 offset:32
	v_cvt_f32_f16_e32 v42, v73
	v_cvt_f32_f16_sdwa v43, v73 dst_sel:DWORD dst_unused:UNUSED_PAD src0_sel:WORD_1
	v_cvt_f32_f16_e32 v44, v72
	s_waitcnt lgkmcnt(1)
	v_perm_b32 v47, v56, v47, s84
	ds_read_u16 v56, v204
	ds_read_u16 v60, v204 offset:32
	v_cvt_f32_f16_sdwa v45, v72 dst_sel:DWORD dst_unused:UNUSED_PAD src0_sel:WORD_1
	s_waitcnt lgkmcnt(1)
	v_perm_b32 v46, v46, v56, s84
	s_nop 1
	v_mfma_f32_16x16x16_f16 v[42:45], v[46:47], v[188:189], v[42:45]
	ds_read_u16 v46, v204 offset:16896
	ds_read_u16 v56, v204 offset:17424
	;; [unrolled: 1-line block ×6, first 2 shown]
	s_nop 1
	v_cvt_f16_f32_e32 v35, v42
	v_cvt_f16_f32_e32 v36, v43
	;; [unrolled: 1-line block ×4, first 2 shown]
	s_waitcnt lgkmcnt(2)
	v_perm_b32 v47, v61, v47, s84
	v_perm_b32 v46, v56, v46, s84
	v_cvt_f32_f16_e32 v42, v35
	v_cvt_f32_f16_e32 v43, v36
	v_cvt_f32_f16_e32 v44, v40
	v_cvt_f32_f16_e32 v45, v45
	v_cvt_f32_f16_e32 v40, v41
	v_cvt_f32_f16_sdwa v41, v41 dst_sel:DWORD dst_unused:UNUSED_PAD src0_sel:WORD_1
	v_mfma_f32_16x16x16_f16 v[34:37], v[46:47], v[186:187], v[42:45]
	s_nop 2
	v_cvt_f32_f16_e32 v42, v39
	v_cvt_f32_f16_sdwa v43, v39 dst_sel:DWORD dst_unused:UNUSED_PAD src0_sel:WORD_1
	s_waitcnt lgkmcnt(0)
	v_perm_b32 v39, v57, v38, s84
	v_perm_b32 v38, v1, v60, s84
	s_nop 1
	v_mfma_f32_16x16x16_f16 v[38:41], v[38:39], v[188:189], v[40:43]
	s_nop 2
	ds_read_u16 v42, v204 offset:16928
	ds_read_u16 v44, v204 offset:17456
	ds_read_u16 v43, v204 offset:17984
	ds_read_u16 v45, v205 offset:16928
	s_nop 0
	v_cvt_f16_f32_e32 v1, v38
	v_cvt_f16_f32_e32 v39, v39
	;; [unrolled: 1-line block ×4, first 2 shown]
	v_cvt_f32_f16_e32 v38, v1
	ds_read_u16 v1, v204 offset:64
	ds_read_u16 v46, v204 offset:592
	;; [unrolled: 1-line block ×4, first 2 shown]
	s_waitcnt lgkmcnt(4)
	v_perm_b32 v43, v45, v43, s84
	v_perm_b32 v42, v44, v42, s84
	v_cvt_f32_f16_e32 v39, v39
	v_cvt_f32_f16_e32 v40, v40
	;; [unrolled: 1-line block ×3, first 2 shown]
	s_waitcnt lgkmcnt(0)
	v_perm_b32 v47, v56, v47, s84
	v_perm_b32 v46, v46, v1, s84
	v_mfma_f32_16x16x16_f16 v[38:41], v[42:43], v[186:187], v[38:41]
	v_cvt_f32_f16_e32 v42, v53
	v_cvt_f32_f16_sdwa v43, v53 dst_sel:DWORD dst_unused:UNUSED_PAD src0_sel:WORD_1
	v_cvt_f32_f16_e32 v44, v52
	v_cvt_f32_f16_sdwa v45, v52 dst_sel:DWORD dst_unused:UNUSED_PAD src0_sel:WORD_1
	s_nop 1
	v_mfma_f32_16x16x16_f16 v[42:45], v[46:47], v[188:189], v[42:45]
	ds_read_u16 v46, v204 offset:16960
	ds_read_u16 v52, v204 offset:17488
	;; [unrolled: 1-line block ×4, first 2 shown]
	s_nop 3
	v_cvt_f16_f32_e32 v1, v42
	v_cvt_f16_f32_e32 v43, v43
	;; [unrolled: 1-line block ×4, first 2 shown]
	s_waitcnt lgkmcnt(0)
	v_perm_b32 v47, v53, v47, s84
	v_perm_b32 v46, v52, v46, s84
	v_cvt_f32_f16_e32 v42, v1
	v_cvt_f32_f16_e32 v43, v43
	;; [unrolled: 1-line block ×4, first 2 shown]
	s_nop 1
	v_mfma_f32_16x16x16_f16 v[42:45], v[46:47], v[186:187], v[42:45]
	ds_read_u16 v1, v204 offset:96
	ds_read_u16 v46, v204 offset:624
	;; [unrolled: 1-line block ×4, first 2 shown]
	s_waitcnt lgkmcnt(2)
	v_perm_b32 v46, v46, v1, s84
	s_waitcnt lgkmcnt(0)
	v_perm_b32 v47, v52, v47, s84
	ds_read_u16 v52, v204 offset:16992
	ds_read_u16 v56, v204 offset:17520
	ds_read_u16 v53, v204 offset:18048
	ds_read_u16 v57, v205 offset:16992
	v_mfma_f32_16x16x16_f16 v[46:49], v[46:47], v[188:189], v[134:137]
	s_waitcnt lgkmcnt(0)
	v_perm_b32 v53, v57, v53, s84
	v_perm_b32 v52, v56, v52, s84
	v_cvt_f32_f16_e32 v134, v51
	s_nop 3
	v_cvt_f16_f32_e32 v1, v46
	v_cvt_f16_f32_e32 v47, v47
	v_cvt_f16_f32_e32 v48, v48
	v_cvt_f16_f32_e32 v49, v49
	v_cvt_f32_f16_e32 v46, v1
	v_cvt_f32_f16_e32 v47, v47
	v_cvt_f32_f16_e32 v48, v48
	v_cvt_f32_f16_e32 v49, v49
	v_cvt_f32_f16_sdwa v135, v51 dst_sel:DWORD dst_unused:UNUSED_PAD src0_sel:WORD_1
	v_cvt_f32_f16_e32 v136, v50
	v_mfma_f32_16x16x16_f16 v[46:49], v[52:53], v[186:187], v[46:49]
	ds_read_u16 v1, v204 offset:128
	ds_read_u16 v52, v204 offset:656
	ds_read_u16 v53, v204 offset:1184
	ds_read_u16 v56, v205 offset:128
	v_cvt_f32_f16_sdwa v137, v50 dst_sel:DWORD dst_unused:UNUSED_PAD src0_sel:WORD_1
	s_waitcnt lgkmcnt(2)
	v_perm_b32 v50, v52, v1, s84
	s_waitcnt lgkmcnt(0)
	v_perm_b32 v51, v56, v53, s84
	ds_read_u16 v56, v204 offset:17024
	ds_read_u16 v60, v204 offset:17552
	ds_read_u16 v57, v204 offset:18080
	ds_read_u16 v61, v205 offset:17024
	v_mfma_f32_16x16x16_f16 v[50:53], v[50:51], v[188:189], v[134:137]
	s_waitcnt lgkmcnt(0)
	v_perm_b32 v57, v61, v57, s84
	v_perm_b32 v56, v60, v56, s84
	v_cvt_f32_f16_e32 v134, v55
	s_nop 3
	v_cvt_f16_f32_e32 v1, v50
	v_cvt_f16_f32_e32 v51, v51
	v_cvt_f16_f32_e32 v52, v52
	v_cvt_f16_f32_e32 v53, v53
	v_cvt_f32_f16_e32 v50, v1
	v_cvt_f32_f16_e32 v51, v51
	v_cvt_f32_f16_e32 v52, v52
	v_cvt_f32_f16_e32 v53, v53
	v_cvt_f32_f16_sdwa v135, v55 dst_sel:DWORD dst_unused:UNUSED_PAD src0_sel:WORD_1
	v_cvt_f32_f16_e32 v136, v54
	v_mfma_f32_16x16x16_f16 v[50:53], v[56:57], v[186:187], v[50:53]
	ds_read_u16 v1, v204 offset:160
	ds_read_u16 v56, v204 offset:688
	ds_read_u16 v57, v204 offset:1216
	ds_read_u16 v60, v205 offset:160
	v_cvt_f32_f16_sdwa v137, v54 dst_sel:DWORD dst_unused:UNUSED_PAD src0_sel:WORD_1
	;; [unrolled: 30-line block ×3, first 2 shown]
	s_waitcnt lgkmcnt(2)
	v_perm_b32 v58, v60, v1, s84
	s_nop 0
	v_cvt_pk_f16_f32 v55, v54, v55
	s_waitcnt lgkmcnt(0)
	v_perm_b32 v59, v64, v61, s84
	ds_read_u16 v64, v204 offset:17088
	ds_read_u16 v68, v204 offset:17616
	;; [unrolled: 1-line block ×4, first 2 shown]
	v_mfma_f32_16x16x16_f16 v[58:61], v[58:59], v[188:189], v[134:137]
	s_waitcnt lgkmcnt(0)
	v_perm_b32 v65, v69, v65, s84
	v_perm_b32 v64, v68, v64, s84
	v_cvt_f32_f16_e32 v134, v63
	s_nop 3
	v_cvt_f16_f32_e32 v1, v58
	v_cvt_f16_f32_e32 v59, v59
	;; [unrolled: 1-line block ×4, first 2 shown]
	v_cvt_f32_f16_e32 v58, v1
	v_cvt_f32_f16_e32 v59, v59
	;; [unrolled: 1-line block ×4, first 2 shown]
	v_cvt_f32_f16_sdwa v135, v63 dst_sel:DWORD dst_unused:UNUSED_PAD src0_sel:WORD_1
	v_cvt_f32_f16_e32 v136, v62
	v_mfma_f32_16x16x16_f16 v[58:61], v[64:65], v[186:187], v[58:61]
	ds_read_u16 v1, v204 offset:224
	ds_read_u16 v64, v204 offset:752
	;; [unrolled: 1-line block ×4, first 2 shown]
	v_cvt_f32_f16_sdwa v137, v62 dst_sel:DWORD dst_unused:UNUSED_PAD src0_sel:WORD_1
	v_cvt_pk_f16_f32 v54, v56, v57
	s_waitcnt lgkmcnt(2)
	v_perm_b32 v62, v64, v1, s84
	v_cvt_pk_f16_f32 v59, v58, v59
	s_waitcnt lgkmcnt(0)
	v_perm_b32 v63, v68, v65, s84
	v_cvt_pk_f16_f32 v58, v60, v61
	v_cvt_pk_f16_f32 v57, v50, v51
	v_mfma_f32_16x16x16_f16 v[62:65], v[62:63], v[188:189], v[134:137]
	v_cvt_pk_f16_f32 v56, v52, v53
	v_cvt_pk_f16_f32 v61, v46, v47
	;; [unrolled: 1-line block ×3, first 2 shown]
	s_nop 4
	v_cvt_f16_f32_e32 v1, v62
	v_cvt_f16_f32_e32 v62, v63
	v_cvt_f16_f32_e32 v63, v64
	v_cvt_f16_f32_e32 v64, v65
	ds_read_u16 v65, v204 offset:17120
	ds_read_u16 v68, v204 offset:17648
	;; [unrolled: 1-line block ×4, first 2 shown]
	v_cvt_f32_f16_e32 v134, v1
	v_cvt_f32_f16_e32 v135, v62
	;; [unrolled: 1-line block ×3, first 2 shown]
	s_waitcnt lgkmcnt(2)
	v_perm_b32 v62, v68, v65, s84
	s_waitcnt lgkmcnt(0)
	v_perm_b32 v63, v72, v69, s84
	ds_read_u16 v1, v204 offset:256
	ds_read_u16 v68, v204 offset:784
	;; [unrolled: 1-line block ×4, first 2 shown]
	v_cvt_f32_f16_e32 v137, v64
	s_nop 1
	v_mfma_f32_16x16x16_f16 v[62:65], v[62:63], v[186:187], v[134:137]
	s_nop 2
	v_cvt_f32_f16_e32 v134, v67
	v_cvt_f32_f16_sdwa v135, v67 dst_sel:DWORD dst_unused:UNUSED_PAD src0_sel:WORD_1
	v_cvt_f32_f16_e32 v136, v66
	v_cvt_f32_f16_sdwa v137, v66 dst_sel:DWORD dst_unused:UNUSED_PAD src0_sel:WORD_1
	s_waitcnt lgkmcnt(0)
	v_perm_b32 v67, v72, v69, s84
	v_perm_b32 v66, v68, v1, s84
	ds_read_u16 v72, v204 offset:17152
	ds_read_u16 v76, v204 offset:17680
	ds_read_u16 v73, v204 offset:18208
	ds_read_u16 v77, v205 offset:17152
	v_mfma_f32_16x16x16_f16 v[66:69], v[66:67], v[188:189], v[134:137]
	s_waitcnt lgkmcnt(0)
	v_perm_b32 v73, v77, v73, s84
	v_perm_b32 v72, v76, v72, s84
	v_cvt_f32_f16_e32 v134, v71
	s_nop 3
	v_cvt_f16_f32_e32 v1, v66
	v_cvt_f16_f32_e32 v67, v67
	v_cvt_f16_f32_e32 v68, v68
	v_cvt_f16_f32_e32 v69, v69
	v_cvt_f32_f16_e32 v66, v1
	v_cvt_f32_f16_e32 v67, v67
	v_cvt_f32_f16_e32 v68, v68
	v_cvt_f32_f16_e32 v69, v69
	v_cvt_f32_f16_sdwa v135, v71 dst_sel:DWORD dst_unused:UNUSED_PAD src0_sel:WORD_1
	v_cvt_f32_f16_e32 v136, v70
	v_mfma_f32_16x16x16_f16 v[66:69], v[72:73], v[186:187], v[66:69]
	ds_read_u16 v1, v204 offset:288
	ds_read_u16 v72, v204 offset:816
	ds_read_u16 v73, v204 offset:1344
	ds_read_u16 v76, v205 offset:288
	v_cvt_f32_f16_sdwa v137, v70 dst_sel:DWORD dst_unused:UNUSED_PAD src0_sel:WORD_1
	v_cvt_pk_f16_f32 v63, v62, v63
	s_waitcnt lgkmcnt(2)
	v_perm_b32 v70, v72, v1, s84
	v_cvt_pk_f16_f32 v67, v66, v67
	s_waitcnt lgkmcnt(0)
	v_perm_b32 v71, v76, v73, s84
	ds_read_u16 v76, v204 offset:17184
	ds_read_u16 v80, v204 offset:17712
	ds_read_u16 v77, v204 offset:18240
	ds_read_u16 v81, v205 offset:17184
	v_mfma_f32_16x16x16_f16 v[70:73], v[70:71], v[188:189], v[134:137]
	s_waitcnt lgkmcnt(0)
	v_perm_b32 v77, v81, v77, s84
	v_perm_b32 v76, v80, v76, s84
	v_cvt_f32_f16_e32 v134, v75
	s_nop 3
	v_cvt_f16_f32_e32 v1, v70
	v_cvt_f16_f32_e32 v71, v71
	v_cvt_f16_f32_e32 v72, v72
	v_cvt_f16_f32_e32 v73, v73
	v_cvt_f32_f16_e32 v70, v1
	v_cvt_f32_f16_e32 v71, v71
	v_cvt_f32_f16_e32 v72, v72
	v_cvt_f32_f16_e32 v73, v73
	v_cvt_f32_f16_sdwa v135, v75 dst_sel:DWORD dst_unused:UNUSED_PAD src0_sel:WORD_1
	v_cvt_f32_f16_e32 v136, v74
	v_mfma_f32_16x16x16_f16 v[70:73], v[76:77], v[186:187], v[70:73]
	ds_read_u16 v1, v204 offset:320
	ds_read_u16 v76, v204 offset:848
	ds_read_u16 v77, v204 offset:1376
	ds_read_u16 v80, v205 offset:320
	v_cvt_f32_f16_sdwa v137, v74 dst_sel:DWORD dst_unused:UNUSED_PAD src0_sel:WORD_1
	v_cvt_pk_f16_f32 v66, v68, v69
	s_waitcnt lgkmcnt(2)
	v_perm_b32 v74, v76, v1, s84
	v_cvt_pk_f16_f32 v71, v70, v71
	s_waitcnt lgkmcnt(0)
	;; [unrolled: 32-line block ×6, first 2 shown]
	v_perm_b32 v91, v127, v93, s84
	v_cvt_pk_f16_f32 v86, v88, v89
	v_cvt_pk_f16_f32 v62, v64, v65
	v_mfma_f32_16x16x16_f16 v[90:93], v[90:91], v[188:189], v[134:137]
	ds_read_u16 v127, v204 offset:17344
	ds_read_u16 v128, v204 offset:17872
	;; [unrolled: 1-line block ×4, first 2 shown]
	v_cvt_f32_f16_sdwa v135, v126 dst_sel:DWORD dst_unused:UNUSED_PAD src0_sel:WORD_1
	v_cvt_f32_f16_e32 v136, v125
	s_nop 1
	v_cvt_f16_f32_e32 v1, v90
	v_cvt_f16_f32_e32 v91, v91
	;; [unrolled: 1-line block ×4, first 2 shown]
	s_waitcnt lgkmcnt(0)
	v_perm_b32 v129, v134, v129, s84
	v_perm_b32 v128, v128, v127, s84
	v_cvt_f32_f16_e32 v90, v1
	v_cvt_f32_f16_e32 v91, v91
	;; [unrolled: 1-line block ×5, first 2 shown]
	v_cvt_f32_f16_sdwa v137, v125 dst_sel:DWORD dst_unused:UNUSED_PAD src0_sel:WORD_1
	v_mfma_f32_16x16x16_f16 v[90:93], v[128:129], v[186:187], v[90:93]
	ds_read_u16 v1, v204 offset:480
	ds_read_u16 v128, v204 offset:1008
	;; [unrolled: 1-line block ×4, first 2 shown]
	v_cvt_pk_f16_f32 v65, v42, v43
	v_cvt_pk_f16_f32 v64, v44, v45
	s_waitcnt lgkmcnt(2)
	v_perm_b32 v126, v128, v1, s84
	v_cvt_pk_f16_f32 v91, v90, v91
	s_waitcnt lgkmcnt(0)
	v_perm_b32 v127, v129, v127, s84
	v_cvt_pk_f16_f32 v90, v92, v93
	v_cvt_pk_f16_f32 v69, v38, v39
	v_mfma_f32_16x16x16_f16 v[126:129], v[126:127], v[188:189], v[134:137]
	v_cvt_pk_f16_f32 v68, v40, v41
	v_cvt_pk_f16_f32 v73, v34, v35
	v_cvt_pk_f16_f32 v72, v36, v37
	s_nop 4
	v_cvt_f16_f32_e32 v188, v128
	v_cvt_f16_f32_e32 v189, v129
	ds_read_u16 v1, v204 offset:17376
	ds_read_u16 v125, v204 offset:17904
	ds_read_u16 v128, v204 offset:18432
	ds_read_u16 v129, v205 offset:17376
	v_cvt_f16_f32_e32 v126, v126
	v_cvt_f16_f32_e32 v127, v127
	v_cvt_f32_f16_e32 v136, v188
	v_cvt_f32_f16_e32 v137, v189
	;; [unrolled: 1-line block ×4, first 2 shown]
	s_waitcnt lgkmcnt(0)
	v_perm_b32 v127, v129, v128, s84
	v_perm_b32 v126, v125, v1, s84
	s_barrier
	s_nop 0
	v_mfma_f32_16x16x16_f16 v[126:129], v[126:127], v[186:187], v[134:137]
	s_nop 7
	v_cvt_pk_f16_f32 v125, v126, v127
	v_cvt_pk_f16_f32 v127, v128, v129
	s_cbranch_scc0 .LBB30_393
; %bb.390:                              ;   in Loop: Header=BB30_354 Depth=2
	v_mov_b32_e32 v77, v191
	v_mov_b32_e32 v80, v147
	s_andn2_b64 vcc, exec, s[36:37]
	s_cbranch_vccz .LBB30_349
	s_branch .LBB30_354
.LBB30_391:                             ;   in Loop: Header=BB30_354 Depth=2
                                        ; implicit-def: $vgpr36_vgpr37_vgpr38_vgpr39
                                        ; implicit-def: $vgpr42_vgpr43_vgpr44_vgpr45
	s_branch .LBB30_388
.LBB30_392:                             ;   in Loop: Header=BB30_14 Depth=1
	v_mov_b32_e32 v147, 0xfeffffff
	s_mov_b32 s94, 0
	v_mov_b32_e32 v191, 0
	v_mov_b32_e32 v72, 0
	;; [unrolled: 1-line block ×33, first 2 shown]
	s_branch .LBB30_394
.LBB30_393:                             ;   in Loop: Header=BB30_14 Depth=1
	s_lshl_b32 s94, s38, 6
.LBB30_394:                             ;   in Loop: Header=BB30_14 Depth=1
	v_cmp_eq_u64_e32 vcc, 0, v[148:149]
	v_readlane_b32 s4, v255, 3
	s_sub_i32 s60, s4, s94
	v_readlane_b32 s5, v255, 4
	s_cbranch_vccnz .LBB30_404
; %bb.395:                              ;   in Loop: Header=BB30_14 Depth=1
	v_cmp_le_i32_e32 vcc, s60, v94
	v_add_u32_e32 v1, v251, v252
	s_and_saveexec_b64 s[4:5], vcc
	s_xor_b64 s[4:5], exec, s[4:5]
	s_cbranch_execz .LBB30_397
; %bb.396:                              ;   in Loop: Header=BB30_14 Depth=1
	ds_write_b16 v1, v97 offset:33792
	ds_write_b16 v1, v97 offset:34944
                                        ; implicit-def: $vgpr237
                                        ; implicit-def: $vgpr210
                                        ; implicit-def: $vgpr197
                                        ; implicit-def: $vgpr236
.LBB30_397:                             ;   in Loop: Header=BB30_14 Depth=1
	s_or_saveexec_b64 s[4:5], s[4:5]
	s_lshl_b64 s[38:39], s[94:95], 1
	v_lshl_add_u64 v[34:35], v[148:149], 0, s[38:39]
	v_lshlrev_b32_e32 v96, 1, v94
	v_lshl_add_u64 v[34:35], v[34:35], 0, v[96:97]
	v_mov_b32_e32 v36, 0
	v_mov_b32_e32 v37, 0
	s_xor_b64 exec, exec, s[4:5]
	s_cbranch_execz .LBB30_399
; %bb.398:                              ;   in Loop: Header=BB30_14 Depth=1
	v_mul_hi_u32 v36, s98, v237
	v_add_u32_e32 v36, v237, v36
	v_lshrrev_b32_e32 v36, s99, v36
	v_mul_lo_u32 v36, v36, s80
	v_sub_u32_e32 v36, v237, v36
	v_mad_i64_i32 v[36:37], s[38:39], v36, s62, 0
	v_lshl_add_u64 v[36:37], v[36:37], 1, v[34:35]
	global_load_ushort v38, v[36:37], off
	v_mul_hi_u32 v36, s98, v210
	v_add_u32_e32 v36, v210, v36
	v_lshrrev_b32_e32 v36, s99, v36
	v_mul_lo_u32 v36, v36, s80
	v_sub_u32_e32 v36, v210, v36
	v_mad_i64_i32 v[36:37], s[38:39], v36, s62, 0
	v_lshl_add_u64 v[36:37], v[36:37], 1, v[34:35]
	global_load_ushort v36, v[36:37], off
	s_waitcnt vmcnt(1)
	ds_write_b16 v1, v38 offset:33792
	s_waitcnt vmcnt(0)
	ds_write_b16 v1, v36 offset:34944
	v_mul_hi_u32 v36, s98, v197
	v_add_u32_e32 v36, v197, v36
	v_lshrrev_b32_e32 v36, s99, v36
	v_mul_lo_u32 v36, v36, s80
	v_sub_u32_e32 v36, v197, v36
	v_mad_i64_i32 v[36:37], s[38:39], v36, s62, 0
	v_lshl_add_u64 v[36:37], v[36:37], 1, v[34:35]
	global_load_ushort v36, v[36:37], off
	v_mul_hi_u32 v37, s98, v236
	v_add_u32_e32 v37, v236, v37
	v_lshrrev_b32_e32 v37, s99, v37
	v_mul_lo_u32 v37, v37, s80
	v_sub_u32_e32 v37, v236, v37
	v_mad_i64_i32 v[38:39], s[38:39], v37, s62, 0
	v_lshl_add_u64 v[38:39], v[38:39], 1, v[34:35]
	global_load_ushort v37, v[38:39], off
.LBB30_399:                             ;   in Loop: Header=BB30_14 Depth=1
	s_or_b64 exec, exec, s[4:5]
	s_waitcnt vmcnt(1)
	ds_write_b16 v1, v36 offset:36096
	s_waitcnt vmcnt(0)
	ds_write_b16 v1, v37 offset:37248
	s_and_saveexec_b64 s[4:5], vcc
	s_xor_b64 s[4:5], exec, s[4:5]
	s_cbranch_execz .LBB30_401
; %bb.400:                              ;   in Loop: Header=BB30_14 Depth=1
	ds_write_b16 v1, v97 offset:38400
	ds_write_b16 v1, v97 offset:39552
                                        ; implicit-def: $vgpr190
                                        ; implicit-def: $vgpr34_vgpr35
                                        ; implicit-def: $vgpr209
                                        ; implicit-def: $vgpr120
                                        ; implicit-def: $vgpr121
.LBB30_401:                             ;   in Loop: Header=BB30_14 Depth=1
	s_or_saveexec_b64 s[4:5], s[4:5]
	v_mov_b32_e32 v36, 0
	v_mov_b32_e32 v37, 0
	s_xor_b64 exec, exec, s[4:5]
	s_cbranch_execz .LBB30_403
; %bb.402:                              ;   in Loop: Header=BB30_14 Depth=1
	v_mul_hi_u32 v36, s98, v190
	v_add_u32_e32 v36, v190, v36
	v_lshrrev_b32_e32 v36, s99, v36
	v_mul_lo_u32 v36, v36, s80
	v_sub_u32_e32 v36, v190, v36
	v_mad_i64_i32 v[36:37], s[38:39], v36, s62, 0
	v_lshl_add_u64 v[36:37], v[36:37], 1, v[34:35]
	global_load_ushort v38, v[36:37], off
	v_mul_hi_u32 v36, s98, v209
	v_add_u32_e32 v36, v209, v36
	v_lshrrev_b32_e32 v36, s99, v36
	v_mul_lo_u32 v36, v36, s80
	v_sub_u32_e32 v36, v209, v36
	v_mad_i64_i32 v[36:37], s[38:39], v36, s62, 0
	v_lshl_add_u64 v[36:37], v[36:37], 1, v[34:35]
	global_load_ushort v36, v[36:37], off
	s_waitcnt vmcnt(1)
	ds_write_b16 v1, v38 offset:38400
	s_waitcnt vmcnt(0)
	ds_write_b16 v1, v36 offset:39552
	v_mul_hi_u32 v36, s98, v120
	v_add_u32_e32 v36, v120, v36
	v_lshrrev_b32_e32 v36, s99, v36
	v_mul_lo_u32 v36, v36, s80
	v_sub_u32_e32 v36, v120, v36
	v_mad_i64_i32 v[36:37], s[38:39], v36, s62, 0
	v_lshl_add_u64 v[36:37], v[36:37], 1, v[34:35]
	global_load_ushort v36, v[36:37], off
	v_mul_hi_u32 v37, s98, v121
	v_add_u32_e32 v37, v121, v37
	v_lshrrev_b32_e32 v37, s99, v37
	v_mul_lo_u32 v37, v37, s80
	v_sub_u32_e32 v37, v121, v37
	v_mad_i64_i32 v[38:39], s[38:39], v37, s62, 0
	v_lshl_add_u64 v[34:35], v[38:39], 1, v[34:35]
	global_load_ushort v37, v[34:35], off
.LBB30_403:                             ;   in Loop: Header=BB30_14 Depth=1
	s_or_b64 exec, exec, s[4:5]
	s_waitcnt vmcnt(1)
	ds_write_b16 v1, v36 offset:40704
	s_waitcnt vmcnt(0)
	ds_write_b16 v1, v37 offset:41856
.LBB30_404:                             ;   in Loop: Header=BB30_14 Depth=1
	s_mul_i32 s4, s94, s97
	s_mul_hi_u32 s5, s94, s96
	s_add_i32 s5, s5, s4
	s_mul_i32 s4, s94, s96
	s_lshl_b64 s[4:5], s[4:5], 2
	v_lshl_add_u64 v[34:35], v[150:151], 0, s[4:5]
	v_lshl_add_u64 v[36:37], v[100:101], 2, v[34:35]
	v_lshlrev_b32_e32 v96, 2, v98
	v_cmp_gt_i32_e64 s[38:39], s60, v200
	v_lshl_add_u64 v[36:37], v[36:37], 0, v[96:97]
	v_mov_b32_e32 v1, s31
	v_lshl_add_u64 v[38:39], v[102:103], 2, v[34:35]
	v_lshl_add_u64 v[40:41], v[104:105], 2, v[34:35]
	;; [unrolled: 1-line block ×3, first 2 shown]
	v_cndmask_b32_e64 v37, v1, v37, s[38:39]
	v_cndmask_b32_e64 v36, v211, v36, s[38:39]
	v_cmp_gt_i32_e64 s[44:45], s60, v247
	v_lshl_add_u64 v[34:35], v[34:35], 0, v[96:97]
	scratch_store_dwordx4 off, v[130:133], off
	v_cndmask_b32_e64 v43, v1, v35, s[44:45]
	v_cndmask_b32_e64 v42, v211, v34, s[44:45]
	flat_load_dwordx4 v[34:37], v[36:37]
	v_cmp_gt_i32_e64 s[40:41], s60, v253
	v_lshl_add_u64 v[38:39], v[38:39], 0, v[96:97]
	v_cmp_gt_i32_e64 s[42:43], s60, v219
	v_cndmask_b32_e64 v39, v1, v39, s[40:41]
	v_cndmask_b32_e64 v38, v211, v38, s[40:41]
	v_lshl_add_u64 v[40:41], v[40:41], 0, v[96:97]
	v_cndmask_b32_e64 v41, v1, v41, s[42:43]
	v_cndmask_b32_e64 v40, v211, v40, s[42:43]
	v_add_u32_e32 v1, 0x4000, v202
	s_waitcnt vmcnt(0) lgkmcnt(0)
	ds_write_b128 v201, v[34:37]
	flat_load_dwordx4 v[34:37], v[38:39]
	s_waitcnt vmcnt(0) lgkmcnt(0)
	ds_write_b128 v254, v[34:37]
	flat_load_dwordx4 v[34:37], v[40:41]
	;; [unrolled: 3-line block ×3, first 2 shown]
	s_waitcnt vmcnt(0) lgkmcnt(0)
	ds_write_b128 v246, v[34:37]
	s_waitcnt lgkmcnt(0)
	s_barrier
	ds_read2_b64 v[34:37], v202 offset1:4
	s_waitcnt lgkmcnt(0)
	v_mfma_f32_16x16x16_f16 v[38:41], v[34:35], v[30:31], 0
	v_mfma_f32_16x16x16_f16 v[34:37], v[36:37], v[32:33], v[38:41]
	s_nop 6
	ds_read2_b64 v[38:41], v202 offset0:8 offset1:12
	s_waitcnt lgkmcnt(0)
	v_mfma_f32_16x16x16_f16 v[34:37], v[38:39], v[26:27], v[34:37]
	v_mfma_f32_16x16x16_f16 v[34:37], v[40:41], v[28:29], v[34:37]
	ds_read2_b64 v[38:41], v202 offset0:16 offset1:20
	s_waitcnt lgkmcnt(0)
	v_mfma_f32_16x16x16_f16 v[34:37], v[38:39], v[22:23], v[34:37]
	v_mfma_f32_16x16x16_f16 v[34:37], v[40:41], v[24:25], v[34:37]
	;; [unrolled: 4-line block ×7, first 2 shown]
	ds_read2_b64 v[38:41], v1 offset0:64 offset1:68
	s_waitcnt lgkmcnt(0)
	v_mfma_f32_16x16x16_f16 v[42:45], v[38:39], v[30:31], 0
	s_nop 4
	v_cmp_nlt_f32_e64 s[4:5], |v34|, s2
	v_mfma_f32_16x16x16_f16 v[30:33], v[40:41], v[32:33], v[42:45]
	ds_read2_b64 v[38:41], v1 offset0:72 offset1:76
	s_waitcnt lgkmcnt(0)
	v_mfma_f32_16x16x16_f16 v[30:33], v[38:39], v[26:27], v[30:33]
	v_mfma_f32_16x16x16_f16 v[26:29], v[40:41], v[28:29], v[30:33]
	s_nop 6
	ds_read2_b64 v[30:33], v1 offset0:80 offset1:84
	s_waitcnt lgkmcnt(0)
	v_mfma_f32_16x16x16_f16 v[26:29], v[30:31], v[22:23], v[26:29]
	v_mfma_f32_16x16x16_f16 v[22:25], v[32:33], v[24:25], v[26:29]
	s_nop 6
	;; [unrolled: 5-line block ×6, first 2 shown]
	ds_read2_b64 v[10:13], v1 offset0:120 offset1:124
	s_waitcnt lgkmcnt(0)
	v_mfma_f32_16x16x16_f16 v[6:9], v[10:11], v[2:3], v[6:9]
	s_barrier
	v_mfma_f32_16x16x16_f16 v[2:5], v[12:13], v[4:5], v[6:9]
                                        ; implicit-def: $vgpr1
	s_and_saveexec_b64 s[46:47], s[4:5]
	s_xor_b64 s[4:5], exec, s[46:47]
	s_cbranch_execz .LBB30_406
; %bb.405:                              ;   in Loop: Header=BB30_14 Depth=1
	v_add_f32_e64 v1, |v34|, |v34|
	s_nop 1
	v_mul_f32_e32 v6, 0x3fb8aa3b, v1
	v_rndne_f32_e32 v7, v6
	v_sub_f32_e32 v8, v6, v7
	v_fma_f32 v6, v1, s3, -v6
	v_fmac_f32_e32 v6, 0x32a5705f, v1
	v_add_f32_e32 v6, v8, v6
	v_cvt_i32_f32_e32 v7, v7
	v_exp_f32_e32 v6, v6
	v_cmp_ngt_f32_e32 vcc, s30, v1
	v_ldexp_f32 v6, v6, v7
	s_nop 0
	v_cndmask_b32_e32 v6, 0, v6, vcc
	v_cmp_nlt_f32_e32 vcc, s81, v1
	s_nop 1
	v_cndmask_b32_e32 v1, v213, v6, vcc
	v_add_f32_e32 v1, 1.0, v1
	v_rcp_f32_e32 v1, v1
	s_nop 0
	v_fma_f32 v1, v1, -2.0, 1.0
.LBB30_406:                             ;   in Loop: Header=BB30_14 Depth=1
	s_andn2_saveexec_b64 s[4:5], s[4:5]
; %bb.407:                              ;   in Loop: Header=BB30_14 Depth=1
	v_mul_f32_e32 v1, v34, v34
	s_nop 0
	v_fmamk_f32 v6, v1, 0xbbbac73d, v214
	v_fmaak_f32 v6, v1, v6, 0xbd5c1c4e
	v_fmaak_f32 v6, v1, v6, 0x3e088382
	;; [unrolled: 1-line block ×3, first 2 shown]
	v_mul_f32_e64 v6, |v34|, v6
	v_fma_f32 v1, v1, v6, |v34|
; %bb.408:                              ;   in Loop: Header=BB30_14 Depth=1
	s_or_b64 exec, exec, s[4:5]
	v_cmp_nlt_f32_e64 s[4:5], |v35|, s2
                                        ; implicit-def: $vgpr6
	s_and_saveexec_b64 s[46:47], s[4:5]
	s_xor_b64 s[4:5], exec, s[46:47]
	s_cbranch_execz .LBB30_410
; %bb.409:                              ;   in Loop: Header=BB30_14 Depth=1
	v_add_f32_e64 v6, |v35|, |v35|
	v_mul_f32_e32 v7, 0x3fb8aa3b, v6
	v_rndne_f32_e32 v8, v7
	v_sub_f32_e32 v9, v7, v8
	v_fma_f32 v7, v6, s3, -v7
	v_fmac_f32_e32 v7, 0x32a5705f, v6
	v_add_f32_e32 v7, v9, v7
	v_cvt_i32_f32_e32 v8, v8
	v_exp_f32_e32 v7, v7
	v_cmp_ngt_f32_e32 vcc, s30, v6
	v_ldexp_f32 v7, v7, v8
	s_nop 0
	v_cndmask_b32_e32 v7, 0, v7, vcc
	v_cmp_nlt_f32_e32 vcc, s81, v6
	s_nop 1
	v_cndmask_b32_e32 v6, v213, v7, vcc
	v_add_f32_e32 v6, 1.0, v6
	v_rcp_f32_e32 v6, v6
	s_nop 0
	v_fma_f32 v6, v6, -2.0, 1.0
.LBB30_410:                             ;   in Loop: Header=BB30_14 Depth=1
	s_andn2_saveexec_b64 s[4:5], s[4:5]
; %bb.411:                              ;   in Loop: Header=BB30_14 Depth=1
	v_mul_f32_e32 v6, v35, v35
	v_fmamk_f32 v7, v6, 0xbbbac73d, v214
	v_fmaak_f32 v7, v6, v7, 0xbd5c1c4e
	v_fmaak_f32 v7, v6, v7, 0x3e088382
	;; [unrolled: 1-line block ×3, first 2 shown]
	v_mul_f32_e64 v7, |v35|, v7
	v_fma_f32 v6, v6, v7, |v35|
; %bb.412:                              ;   in Loop: Header=BB30_14 Depth=1
	s_or_b64 exec, exec, s[4:5]
	v_cmp_nlt_f32_e64 s[4:5], |v36|, s2
                                        ; implicit-def: $vgpr7
	s_and_saveexec_b64 s[46:47], s[4:5]
	s_xor_b64 s[4:5], exec, s[46:47]
	s_cbranch_execz .LBB30_414
; %bb.413:                              ;   in Loop: Header=BB30_14 Depth=1
	v_add_f32_e64 v7, |v36|, |v36|
	v_mul_f32_e32 v8, 0x3fb8aa3b, v7
	v_rndne_f32_e32 v9, v8
	v_sub_f32_e32 v10, v8, v9
	v_fma_f32 v8, v7, s3, -v8
	v_fmac_f32_e32 v8, 0x32a5705f, v7
	v_add_f32_e32 v8, v10, v8
	v_cvt_i32_f32_e32 v9, v9
	v_exp_f32_e32 v8, v8
	v_cmp_ngt_f32_e32 vcc, s30, v7
	v_ldexp_f32 v8, v8, v9
	s_nop 0
	v_cndmask_b32_e32 v8, 0, v8, vcc
	v_cmp_nlt_f32_e32 vcc, s81, v7
	s_nop 1
	v_cndmask_b32_e32 v7, v213, v8, vcc
	v_add_f32_e32 v7, 1.0, v7
	v_rcp_f32_e32 v7, v7
	s_nop 0
	v_fma_f32 v7, v7, -2.0, 1.0
.LBB30_414:                             ;   in Loop: Header=BB30_14 Depth=1
	s_andn2_saveexec_b64 s[4:5], s[4:5]
; %bb.415:                              ;   in Loop: Header=BB30_14 Depth=1
	v_mul_f32_e32 v7, v36, v36
	v_fmamk_f32 v8, v7, 0xbbbac73d, v214
	v_fmaak_f32 v8, v7, v8, 0xbd5c1c4e
	v_fmaak_f32 v8, v7, v8, 0x3e088382
	;; [unrolled: 1-line block ×3, first 2 shown]
	v_mul_f32_e64 v8, |v36|, v8
	v_fma_f32 v7, v7, v8, |v36|
; %bb.416:                              ;   in Loop: Header=BB30_14 Depth=1
	s_or_b64 exec, exec, s[4:5]
	v_cmp_nlt_f32_e64 s[4:5], |v37|, s2
                                        ; implicit-def: $vgpr8
	s_and_saveexec_b64 s[46:47], s[4:5]
	s_xor_b64 s[4:5], exec, s[46:47]
	s_cbranch_execz .LBB30_418
; %bb.417:                              ;   in Loop: Header=BB30_14 Depth=1
	v_add_f32_e64 v8, |v37|, |v37|
	v_mul_f32_e32 v9, 0x3fb8aa3b, v8
	v_rndne_f32_e32 v10, v9
	v_sub_f32_e32 v11, v9, v10
	v_fma_f32 v9, v8, s3, -v9
	v_fmac_f32_e32 v9, 0x32a5705f, v8
	v_add_f32_e32 v9, v11, v9
	v_cvt_i32_f32_e32 v10, v10
	v_exp_f32_e32 v9, v9
	v_cmp_ngt_f32_e32 vcc, s30, v8
	v_ldexp_f32 v9, v9, v10
	s_nop 0
	v_cndmask_b32_e32 v9, 0, v9, vcc
	v_cmp_nlt_f32_e32 vcc, s81, v8
	s_nop 1
	v_cndmask_b32_e32 v8, v213, v9, vcc
	v_add_f32_e32 v8, 1.0, v8
	v_rcp_f32_e32 v8, v8
	s_nop 0
	v_fma_f32 v8, v8, -2.0, 1.0
.LBB30_418:                             ;   in Loop: Header=BB30_14 Depth=1
	s_andn2_saveexec_b64 s[4:5], s[4:5]
; %bb.419:                              ;   in Loop: Header=BB30_14 Depth=1
	v_mul_f32_e32 v8, v37, v37
	v_fmamk_f32 v9, v8, 0xbbbac73d, v214
	v_fmaak_f32 v9, v8, v9, 0xbd5c1c4e
	v_fmaak_f32 v9, v8, v9, 0x3e088382
	;; [unrolled: 1-line block ×3, first 2 shown]
	v_mul_f32_e64 v9, |v37|, v9
	v_fma_f32 v8, v8, v9, |v37|
; %bb.420:                              ;   in Loop: Header=BB30_14 Depth=1
	s_or_b64 exec, exec, s[4:5]
	v_cmp_nlt_f32_e64 s[4:5], |v2|, s2
                                        ; implicit-def: $vgpr9
	s_and_saveexec_b64 s[46:47], s[4:5]
	s_xor_b64 s[4:5], exec, s[46:47]
	s_cbranch_execz .LBB30_422
; %bb.421:                              ;   in Loop: Header=BB30_14 Depth=1
	v_add_f32_e64 v9, |v2|, |v2|
	v_mul_f32_e32 v10, 0x3fb8aa3b, v9
	v_rndne_f32_e32 v11, v10
	v_sub_f32_e32 v12, v10, v11
	v_fma_f32 v10, v9, s3, -v10
	v_fmac_f32_e32 v10, 0x32a5705f, v9
	v_add_f32_e32 v10, v12, v10
	v_cvt_i32_f32_e32 v11, v11
	v_exp_f32_e32 v10, v10
	v_cmp_ngt_f32_e32 vcc, s30, v9
	v_ldexp_f32 v10, v10, v11
	s_nop 0
	v_cndmask_b32_e32 v10, 0, v10, vcc
	v_cmp_nlt_f32_e32 vcc, s81, v9
	s_nop 1
	v_cndmask_b32_e32 v9, v213, v10, vcc
	v_add_f32_e32 v9, 1.0, v9
	v_rcp_f32_e32 v9, v9
	s_nop 0
	v_fma_f32 v9, v9, -2.0, 1.0
.LBB30_422:                             ;   in Loop: Header=BB30_14 Depth=1
	s_andn2_saveexec_b64 s[4:5], s[4:5]
; %bb.423:                              ;   in Loop: Header=BB30_14 Depth=1
	v_mul_f32_e32 v9, v2, v2
	v_fmamk_f32 v10, v9, 0xbbbac73d, v214
	v_fmaak_f32 v10, v9, v10, 0xbd5c1c4e
	v_fmaak_f32 v10, v9, v10, 0x3e088382
	;; [unrolled: 1-line block ×3, first 2 shown]
	v_mul_f32_e64 v10, |v2|, v10
	v_fma_f32 v9, v9, v10, |v2|
; %bb.424:                              ;   in Loop: Header=BB30_14 Depth=1
	s_or_b64 exec, exec, s[4:5]
	v_cmp_nlt_f32_e64 s[4:5], |v3|, s2
                                        ; implicit-def: $vgpr11
	s_and_saveexec_b64 s[46:47], s[4:5]
	s_xor_b64 s[4:5], exec, s[46:47]
	s_cbranch_execz .LBB30_426
; %bb.425:                              ;   in Loop: Header=BB30_14 Depth=1
	v_add_f32_e64 v10, |v3|, |v3|
	v_mul_f32_e32 v11, 0x3fb8aa3b, v10
	v_rndne_f32_e32 v12, v11
	v_sub_f32_e32 v13, v11, v12
	v_fma_f32 v11, v10, s3, -v11
	v_fmac_f32_e32 v11, 0x32a5705f, v10
	v_add_f32_e32 v11, v13, v11
	v_cvt_i32_f32_e32 v12, v12
	v_exp_f32_e32 v11, v11
	v_cmp_ngt_f32_e32 vcc, s30, v10
	v_ldexp_f32 v11, v11, v12
	s_nop 0
	v_cndmask_b32_e32 v11, 0, v11, vcc
	v_cmp_nlt_f32_e32 vcc, s81, v10
	s_nop 1
	v_cndmask_b32_e32 v10, v213, v11, vcc
	v_add_f32_e32 v10, 1.0, v10
	v_rcp_f32_e32 v10, v10
	s_nop 0
	v_fma_f32 v11, v10, -2.0, 1.0
.LBB30_426:                             ;   in Loop: Header=BB30_14 Depth=1
	s_andn2_saveexec_b64 s[4:5], s[4:5]
; %bb.427:                              ;   in Loop: Header=BB30_14 Depth=1
	v_mul_f32_e32 v10, v3, v3
	v_fmamk_f32 v11, v10, 0xbbbac73d, v214
	v_fmaak_f32 v11, v10, v11, 0xbd5c1c4e
	v_fmaak_f32 v11, v10, v11, 0x3e088382
	;; [unrolled: 1-line block ×3, first 2 shown]
	v_mul_f32_e64 v11, |v3|, v11
	v_fma_f32 v11, v10, v11, |v3|
; %bb.428:                              ;   in Loop: Header=BB30_14 Depth=1
	s_or_b64 exec, exec, s[4:5]
	v_cmp_nlt_f32_e64 s[4:5], |v4|, s2
                                        ; implicit-def: $vgpr12
	s_and_saveexec_b64 s[46:47], s[4:5]
	s_xor_b64 s[4:5], exec, s[46:47]
	s_cbranch_execz .LBB30_430
; %bb.429:                              ;   in Loop: Header=BB30_14 Depth=1
	v_add_f32_e64 v10, |v4|, |v4|
	v_mul_f32_e32 v12, 0x3fb8aa3b, v10
	v_rndne_f32_e32 v13, v12
	v_sub_f32_e32 v14, v12, v13
	v_fma_f32 v12, v10, s3, -v12
	v_fmac_f32_e32 v12, 0x32a5705f, v10
	v_add_f32_e32 v12, v14, v12
	v_cvt_i32_f32_e32 v13, v13
	v_exp_f32_e32 v12, v12
	v_cmp_ngt_f32_e32 vcc, s30, v10
	v_ldexp_f32 v12, v12, v13
	s_nop 0
	v_cndmask_b32_e32 v12, 0, v12, vcc
	v_cmp_nlt_f32_e32 vcc, s81, v10
	s_nop 1
	v_cndmask_b32_e32 v10, v213, v12, vcc
	v_add_f32_e32 v10, 1.0, v10
	v_rcp_f32_e32 v10, v10
	s_nop 0
	v_fma_f32 v12, v10, -2.0, 1.0
.LBB30_430:                             ;   in Loop: Header=BB30_14 Depth=1
	s_andn2_saveexec_b64 s[4:5], s[4:5]
; %bb.431:                              ;   in Loop: Header=BB30_14 Depth=1
	v_mul_f32_e32 v10, v4, v4
	v_fmamk_f32 v12, v10, 0xbbbac73d, v214
	v_fmaak_f32 v12, v10, v12, 0xbd5c1c4e
	v_fmaak_f32 v12, v10, v12, 0x3e088382
	;; [unrolled: 1-line block ×3, first 2 shown]
	v_mul_f32_e64 v12, |v4|, v12
	v_fma_f32 v12, v10, v12, |v4|
; %bb.432:                              ;   in Loop: Header=BB30_14 Depth=1
	s_or_b64 exec, exec, s[4:5]
	v_cmp_nlt_f32_e64 s[4:5], |v5|, s2
                                        ; implicit-def: $vgpr13
	s_and_saveexec_b64 s[46:47], s[4:5]
	s_xor_b64 s[4:5], exec, s[46:47]
	s_cbranch_execz .LBB30_434
; %bb.433:                              ;   in Loop: Header=BB30_14 Depth=1
	v_add_f32_e64 v10, |v5|, |v5|
	v_mul_f32_e32 v13, 0x3fb8aa3b, v10
	v_rndne_f32_e32 v14, v13
	v_sub_f32_e32 v15, v13, v14
	v_fma_f32 v13, v10, s3, -v13
	v_fmac_f32_e32 v13, 0x32a5705f, v10
	v_add_f32_e32 v13, v15, v13
	v_cvt_i32_f32_e32 v14, v14
	v_exp_f32_e32 v13, v13
	v_cmp_ngt_f32_e32 vcc, s30, v10
	v_ldexp_f32 v13, v13, v14
	s_nop 0
	v_cndmask_b32_e32 v13, 0, v13, vcc
	v_cmp_nlt_f32_e32 vcc, s81, v10
	s_nop 1
	v_cndmask_b32_e32 v10, v213, v13, vcc
	v_add_f32_e32 v10, 1.0, v10
	v_rcp_f32_e32 v10, v10
	s_nop 0
	v_fma_f32 v13, v10, -2.0, 1.0
.LBB30_434:                             ;   in Loop: Header=BB30_14 Depth=1
	s_andn2_saveexec_b64 s[4:5], s[4:5]
; %bb.435:                              ;   in Loop: Header=BB30_14 Depth=1
	v_mul_f32_e32 v10, v5, v5
	v_fmamk_f32 v13, v10, 0xbbbac73d, v214
	v_fmaak_f32 v13, v10, v13, 0xbd5c1c4e
	v_fmaak_f32 v13, v10, v13, 0x3e088382
	;; [unrolled: 1-line block ×3, first 2 shown]
	v_mul_f32_e64 v13, |v5|, v13
	v_fma_f32 v13, v10, v13, |v5|
; %bb.436:                              ;   in Loop: Header=BB30_14 Depth=1
	s_or_b64 exec, exec, s[4:5]
	v_bfi_b32 v1, s86, v1, v34
	v_mul_f32_e32 v14, s93, v1
	v_bfi_b32 v1, s86, v6, v35
	v_bfi_b32 v2, s86, v9, v2
	v_mul_f32_e32 v15, s93, v1
	v_bfi_b32 v1, s86, v7, v36
	v_mul_f32_e32 v10, s93, v2
	;; [unrolled: 2-line block ×6, first 2 shown]
	v_mul_f32_e32 v13, s93, v1
	s_and_b64 vcc, exec, s[36:37]
	s_cbranch_vccz .LBB30_606
; %bb.437:                              ;   in Loop: Header=BB30_14 Depth=1
	v_add_u32_e32 v1, 0x8400, v226
	ds_read2_b32 v[2:3], v1 offset1:1
	ds_read_b32 v1, v228 offset:33792
	ds_read_b32 v4, v230 offset:33792
	s_waitcnt lgkmcnt(2)
	v_cvt_f32_f16_e32 v6, v2
	v_cvt_f32_f16_sdwa v7, v2 dst_sel:DWORD dst_unused:UNUSED_PAD src0_sel:WORD_1
	v_cvt_f32_f16_e32 v2, v3
	v_cvt_f32_f16_sdwa v3, v3 dst_sel:DWORD dst_unused:UNUSED_PAD src0_sel:WORD_1
	s_waitcnt lgkmcnt(1)
	v_cvt_f32_f16_sdwa v19, v1 dst_sel:DWORD dst_unused:UNUSED_PAD src0_sel:WORD_1
	s_waitcnt lgkmcnt(0)
	v_cvt_f32_f16_sdwa v9, v4 dst_sel:DWORD dst_unused:UNUSED_PAD src0_sel:WORD_1
	v_cvt_f32_f16_e32 v8, v4
	v_cvt_f32_f16_e32 v18, v1
	v_pk_fma_f32 v[4:5], v[146:147], v[2:3], v[16:17] op_sel_hi:[0,1,1]
	v_pk_fma_f32 v[2:3], v[146:147], v[6:7], v[14:15] op_sel_hi:[0,1,1]
	;; [unrolled: 1-line block ×4, first 2 shown]
	s_cbranch_execnz .LBB30_439
.LBB30_438:                             ;   in Loop: Header=BB30_14 Depth=1
	v_mov_b64_e32 v[6:7], v[10:11]
	v_mov_b64_e32 v[2:3], v[14:15]
	;; [unrolled: 1-line block ×4, first 2 shown]
.LBB30_439:                             ;   in Loop: Header=BB30_14 Depth=1
	v_add_f32_e32 v1, 0x40051340, v2
	v_max_f32_e32 v10, v147, v147
	v_cmp_gt_u32_e64 s[54:55], s60, v203
	v_max_f32_e32 v1, v10, v1
	v_add_f32_e32 v10, 0x40051340, v3
	v_cndmask_b32_e64 v1, v147, v1, s[54:55]
	v_max_f32_e32 v11, v1, v1
	v_cmp_gt_u32_e64 s[56:57], s60, v220
	v_max_f32_e32 v10, v11, v10
	v_cmp_gt_u32_e64 s[58:59], s60, v218
	v_cndmask_b32_e64 v1, v1, v10, s[56:57]
	v_add_f32_e32 v10, 0x40051340, v4
	v_max_f32_e32 v11, v1, v1
	v_max_f32_e32 v10, v11, v10
	v_cndmask_b32_e64 v1, v1, v10, s[58:59]
	v_add_f32_e32 v10, 0x40051340, v5
	v_max_f32_e32 v11, v1, v1
	v_cmp_gt_u32_e64 s[50:51], s60, v217
	v_max_f32_e32 v10, v11, v10
	v_cmp_gt_u32_e64 s[48:49], s60, v227
	v_cndmask_b32_e64 v1, v1, v10, s[50:51]
	v_add_f32_e32 v10, 0x40051340, v6
	v_max_f32_e32 v11, v1, v1
	v_max_f32_e32 v10, v11, v10
	v_cndmask_b32_e64 v1, v1, v10, s[48:49]
	v_add_f32_e32 v10, 0x40051340, v7
	;; [unrolled: 10-line block ×3, first 2 shown]
	v_max_f32_e32 v11, v1, v1
	v_cmp_gt_u32_e32 vcc, s60, v239
	v_max_f32_e32 v10, v11, v10
	v_xor_b32_e32 v11, 32, v249
	v_cndmask_b32_e32 v1, v1, v10, vcc
	v_and_b32_e32 v10, 64, v249
	v_add_u32_e32 v10, 64, v10
	v_cmp_lt_i32_e64 s[60:61], v11, v10
	s_mul_i32 s4, s94, s83
	s_mul_hi_u32 s5, s94, s82
	v_cndmask_b32_e64 v11, v249, v11, s[60:61]
	v_lshlrev_b32_e32 v37, 2, v11
	ds_bpermute_b32 v11, v37, v1
	v_max_f32_e32 v1, v1, v1
	s_add_i32 s5, s5, s4
	s_mul_i32 s4, s94, s82
	s_lshl_b64 s[4:5], s[4:5], 2
	s_waitcnt lgkmcnt(0)
	v_max_f32_e32 v11, v11, v11
	v_max_f32_e32 v1, v1, v11
	v_xor_b32_e32 v11, 16, v249
	v_cmp_lt_i32_e64 s[60:61], v11, v10
	v_mov_b32_e32 v47, s31
	scratch_store_dwordx4 off, v[130:133], off
	v_cndmask_b32_e64 v10, v249, v11, s[60:61]
	v_lshlrev_b32_e32 v40, 2, v10
	ds_bpermute_b32 v10, v40, v1
	s_waitcnt lgkmcnt(0)
	v_max_f32_e32 v10, v10, v10
	v_max_f32_e32 v36, v1, v10
	v_sub_f32_e32 v1, v2, v36
	v_mul_f32_e32 v2, 0x3fb8aa3b, v1
	v_fma_f32 v10, v1, s3, -v2
	v_rndne_f32_e32 v11, v2
	v_fmac_f32_e32 v10, 0x32a5705f, v1
	v_sub_f32_e32 v2, v2, v11
	v_add_f32_e32 v2, v2, v10
	v_exp_f32_e32 v2, v2
	v_cvt_i32_f32_e32 v10, v11
	v_cmp_ngt_f32_e64 s[60:61], s30, v1
	v_sub_f32_e32 v4, v4, v36
	v_sub_f32_e32 v6, v6, v36
	v_ldexp_f32 v2, v2, v10
	v_cndmask_b32_e64 v2, 0, v2, s[60:61]
	v_cmp_nlt_f32_e64 s[60:61], s81, v1
	v_sub_f32_e32 v8, v8, v36
	s_nop 0
	v_cndmask_b32_e64 v1, v213, v2, s[60:61]
	v_cndmask_b32_e64 v2, 0, v1, s[54:55]
	v_sub_f32_e32 v1, v3, v36
	v_mul_f32_e32 v3, 0x3fb8aa3b, v1
	v_fma_f32 v10, v1, s3, -v3
	v_rndne_f32_e32 v11, v3
	v_fmac_f32_e32 v10, 0x32a5705f, v1
	v_sub_f32_e32 v3, v3, v11
	v_add_f32_e32 v3, v3, v10
	v_exp_f32_e32 v3, v3
	v_cvt_i32_f32_e32 v10, v11
	v_cmp_ngt_f32_e64 s[54:55], s30, v1
	v_ldexp_f32 v3, v3, v10
	s_nop 0
	v_cndmask_b32_e64 v3, 0, v3, s[54:55]
	v_cmp_nlt_f32_e64 s[54:55], s81, v1
	v_mov_b32_e32 v1, s95
	s_nop 0
	v_cndmask_b32_e64 v3, v213, v3, s[54:55]
	v_add_f32_e32 v10, v3, v2
	v_cndmask_b32_e64 v1, v1, v3, s[56:57]
	v_cndmask_b32_e64 v3, v2, v10, s[56:57]
	v_mul_f32_e32 v10, 0x3fb8aa3b, v4
	v_fma_f32 v11, v4, s3, -v10
	v_rndne_f32_e32 v12, v10
	v_fmac_f32_e32 v11, 0x32a5705f, v4
	v_sub_f32_e32 v10, v10, v12
	v_add_f32_e32 v10, v10, v11
	v_exp_f32_e32 v10, v10
	v_cvt_i32_f32_e32 v11, v12
	v_cmp_ngt_f32_e64 s[54:55], s30, v4
	v_ldexp_f32 v10, v10, v11
	s_nop 0
	v_cndmask_b32_e64 v10, 0, v10, s[54:55]
	v_cmp_nlt_f32_e64 s[54:55], s81, v4
	v_mov_b32_e32 v4, s95
	s_nop 0
	v_cndmask_b32_e64 v10, v213, v10, s[54:55]
	v_add_f32_e32 v11, v3, v10
	v_cndmask_b32_e64 v4, v4, v10, s[58:59]
	v_cndmask_b32_e64 v10, v3, v11, s[58:59]
	v_sub_f32_e32 v3, v5, v36
	v_mul_f32_e32 v5, 0x3fb8aa3b, v3
	v_fma_f32 v11, v3, s3, -v5
	v_rndne_f32_e32 v12, v5
	v_fmac_f32_e32 v11, 0x32a5705f, v3
	v_sub_f32_e32 v5, v5, v12
	v_add_f32_e32 v5, v5, v11
	v_exp_f32_e32 v5, v5
	v_cvt_i32_f32_e32 v11, v12
	v_cmp_ngt_f32_e64 s[54:55], s30, v3
	v_ldexp_f32 v5, v5, v11
	s_nop 0
	v_cndmask_b32_e64 v5, 0, v5, s[54:55]
	v_cmp_nlt_f32_e64 s[54:55], s81, v3
	v_mov_b32_e32 v3, s95
	s_nop 0
	v_cndmask_b32_e64 v5, v213, v5, s[54:55]
	v_add_f32_e32 v11, v10, v5
	v_cndmask_b32_e64 v5, v3, v5, s[50:51]
	v_cndmask_b32_e64 v3, v10, v11, s[50:51]
	v_mul_f32_e32 v10, 0x3fb8aa3b, v6
	v_fma_f32 v11, v6, s3, -v10
	v_rndne_f32_e32 v12, v10
	v_fmac_f32_e32 v11, 0x32a5705f, v6
	v_sub_f32_e32 v10, v10, v12
	v_add_f32_e32 v10, v10, v11
	v_exp_f32_e32 v10, v10
	v_cvt_i32_f32_e32 v11, v12
	v_cmp_ngt_f32_e64 s[50:51], s30, v6
	v_ldexp_f32 v10, v10, v11
	s_nop 0
	v_cndmask_b32_e64 v10, 0, v10, s[50:51]
	v_cmp_nlt_f32_e64 s[50:51], s81, v6
	v_mov_b32_e32 v6, s95
	s_nop 0
	v_cndmask_b32_e64 v10, v213, v10, s[50:51]
	v_add_f32_e32 v11, v10, v3
	;; [unrolled: 39-line block ×3, first 2 shown]
	v_cndmask_b32_e64 v8, v8, v10, s[36:37]
	v_cndmask_b32_e64 v10, v7, v11, s[36:37]
	v_sub_f32_e32 v7, v9, v36
	v_mul_f32_e32 v9, 0x3fb8aa3b, v7
	v_fma_f32 v11, v7, s3, -v9
	v_rndne_f32_e32 v12, v9
	v_fmac_f32_e32 v11, 0x32a5705f, v7
	v_sub_f32_e32 v9, v9, v12
	v_add_f32_e32 v9, v9, v11
	v_exp_f32_e32 v9, v9
	v_cvt_i32_f32_e32 v11, v12
	v_cmp_ngt_f32_e64 s[36:37], s30, v7
	v_ldexp_f32 v9, v9, v11
	s_nop 0
	v_cndmask_b32_e64 v9, 0, v9, s[36:37]
	v_cmp_nlt_f32_e64 s[36:37], s81, v7
	v_mov_b32_e32 v7, s95
	s_nop 0
	v_cndmask_b32_e64 v9, v213, v9, s[36:37]
	v_add_f32_e32 v11, v9, v10
	v_cndmask_b32_e32 v7, v7, v9, vcc
	v_sub_f32_e32 v9, v147, v36
	v_cndmask_b32_e32 v41, v10, v11, vcc
	v_mul_f32_e32 v10, 0x3fb8aa3b, v9
	v_fma_f32 v11, v9, s3, -v10
	v_rndne_f32_e32 v12, v10
	v_fmac_f32_e32 v11, 0x32a5705f, v9
	v_sub_f32_e32 v10, v10, v12
	v_add_f32_e32 v10, v10, v11
	v_exp_f32_e32 v10, v10
	v_cvt_i32_f32_e32 v11, v12
	v_cmp_ngt_f32_e32 vcc, s30, v9
	v_ldexp_f32 v10, v10, v11
	s_nop 0
	v_cndmask_b32_e32 v10, 0, v10, vcc
	v_cmp_nlt_f32_e32 vcc, s81, v9
	s_nop 1
	v_cndmask_b32_e32 v10, v213, v10, vcc
	v_cmp_le_f32_e32 vcc, s7, v9
	s_nop 1
	v_cndmask_b32_e32 v9, 0, v10, vcc
	v_fmac_f32_e32 v41, v191, v9
	v_cvt_f16_f32_e32 v9, v9
	v_cmp_ne_u64_e32 vcc, 0, v[142:143]
	v_mul_u32_u24_e32 v10, 0x10001, v9
	v_pk_mul_f16 v35, v73, v10
	v_pk_mul_f16 v34, v72, v10
	;; [unrolled: 1-line block ×32, first 2 shown]
	v_lshl_add_u64 v[10:11], v[144:145], 0, s[4:5]
	v_lshl_add_u64 v[14:15], v[110:111], 2, v[10:11]
	;; [unrolled: 1-line block ×5, first 2 shown]
	v_cndmask_b32_e64 v39, v47, v15, s[40:41]
	v_cndmask_b32_e64 v38, v211, v14, s[40:41]
	v_lshl_add_u64 v[14:15], v[112:113], 2, v[10:11]
	v_lshl_add_u64 v[10:11], v[114:115], 2, v[10:11]
	v_cndmask_b32_e64 v13, v47, v13, s[38:39]
	v_cndmask_b32_e64 v12, v211, v12, s[38:39]
	v_lshl_add_u64 v[14:15], v[14:15], 0, v[96:97]
	v_lshl_add_u64 v[10:11], v[10:11], 0, v[96:97]
	v_cndmask_b32_e64 v17, v47, v15, s[42:43]
	v_cndmask_b32_e64 v16, v211, v14, s[42:43]
	v_cndmask_b32_e64 v15, v47, v11, s[44:45]
	v_cndmask_b32_e64 v14, v211, v10, s[44:45]
	flat_load_dwordx4 v[10:13], v[12:13]
	v_cvt_f32_f16_e32 v72, v19
	v_cvt_f32_f16_sdwa v73, v19 dst_sel:DWORD dst_unused:UNUSED_PAD src0_sel:WORD_1
	v_cvt_f32_f16_e32 v74, v18
	v_cvt_f32_f16_sdwa v75, v18 dst_sel:DWORD dst_unused:UNUSED_PAD src0_sel:WORD_1
	;; [unrolled: 2-line block ×9, first 2 shown]
	v_cvt_f32_f16_sdwa v91, v42 dst_sel:DWORD dst_unused:UNUSED_PAD src0_sel:WORD_1
	v_readlane_b32 s44, v255, 38
	v_readlane_b32 s45, v255, 39
	s_and_b64 s[36:37], s[44:45], vcc
	s_waitcnt vmcnt(0) lgkmcnt(0)
	ds_write_b128 v201, v[10:13]
	flat_load_dwordx4 v[10:13], v[38:39]
	v_cvt_pk_f16_f32 v39, v4, v5
	v_cvt_pk_f16_f32 v38, v2, v1
	s_waitcnt vmcnt(0) lgkmcnt(0)
	ds_write_b128 v254, v[10:13]
	flat_load_dwordx4 v[10:13], v[16:17]
	s_waitcnt vmcnt(0) lgkmcnt(0)
	ds_write_b128 v248, v[10:13]
	flat_load_dwordx4 v[10:13], v[14:15]
	s_waitcnt vmcnt(0) lgkmcnt(0)
	ds_write_b128 v246, v[10:13]
	s_waitcnt lgkmcnt(0)
	s_barrier
	ds_read_u16 v14, v204 offset:528
	ds_read_u16 v15, v204 offset:1056
	ds_read_u16 v16, v205
	ds_read_u16 v17, v205 offset:32
	v_cvt_f32_f16_e32 v10, v35
	v_cvt_f32_f16_sdwa v11, v35 dst_sel:DWORD dst_unused:UNUSED_PAD src0_sel:WORD_1
	v_cvt_f32_f16_e32 v12, v34
	s_waitcnt lgkmcnt(1)
	v_perm_b32 v15, v16, v15, s84
	ds_read_u16 v16, v204
	ds_read_u16 v55, v204 offset:32
	v_cvt_f32_f16_sdwa v13, v34 dst_sel:DWORD dst_unused:UNUSED_PAD src0_sel:WORD_1
	v_cvt_pk_f16_f32 v35, v8, v7
	v_cvt_f32_f16_sdwa v7, v48 dst_sel:DWORD dst_unused:UNUSED_PAD src0_sel:WORD_1
	s_waitcnt lgkmcnt(1)
	v_perm_b32 v14, v14, v16, s84
	s_nop 1
	v_mfma_f32_16x16x16_f16 v[10:13], v[14:15], v[38:39], v[10:13]
	ds_read_u16 v14, v204 offset:16896
	ds_read_u16 v15, v204 offset:17424
	;; [unrolled: 1-line block ×4, first 2 shown]
	s_nop 3
	v_cvt_f16_f32_e32 v4, v12
	v_cvt_f16_f32_e32 v5, v13
	;; [unrolled: 1-line block ×4, first 2 shown]
	v_cvt_f32_f16_e32 v12, v4
	v_cvt_f32_f16_e32 v13, v5
	s_waitcnt lgkmcnt(0)
	v_perm_b32 v5, v34, v16, s84
	v_perm_b32 v4, v15, v14, s84
	v_cvt_f32_f16_e32 v10, v1
	v_cvt_f32_f16_e32 v11, v2
	v_cvt_pk_f16_f32 v34, v6, v3
	v_cvt_f32_f16_e32 v6, v48
	s_nop 0
	v_mfma_f32_16x16x16_f16 v[2:5], v[4:5], v[34:35], v[10:13]
	s_nop 7
	v_cvt_f16_f32_e32 v1, v4
	v_cvt_f16_f32_e32 v4, v5
	v_cvt_f32_f16_sdwa v5, v69 dst_sel:DWORD dst_unused:UNUSED_PAD src0_sel:WORD_1
	v_cvt_f16_f32_e32 v53, v2
	v_cvt_f16_f32_e32 v54, v3
	v_perm_b32 v47, v4, v1, s84
	ds_read_u16 v1, v204 offset:560
	ds_read_u16 v8, v204 offset:1088
	v_cvt_f32_f16_e32 v4, v69
	v_perm_b32 v53, v54, v53, s84
	s_waitcnt lgkmcnt(1)
	v_perm_b32 v10, v1, v55, s84
	s_waitcnt lgkmcnt(0)
	v_perm_b32 v11, v17, v8, s84
	s_nop 1
	v_mfma_f32_16x16x16_f16 v[4:7], v[10:11], v[38:39], v[4:7]
	ds_read_u16 v8, v204 offset:16928
	ds_read_u16 v10, v204 offset:17456
	;; [unrolled: 1-line block ×4, first 2 shown]
	s_nop 3
	v_cvt_f16_f32_e32 v1, v4
	v_cvt_f16_f32_e32 v5, v5
	;; [unrolled: 1-line block ×4, first 2 shown]
	s_waitcnt lgkmcnt(0)
	v_perm_b32 v11, v12, v11, s84
	v_perm_b32 v10, v10, v8, s84
	v_cvt_f32_f16_e32 v4, v1
	v_cvt_f32_f16_e32 v5, v5
	;; [unrolled: 1-line block ×5, first 2 shown]
	v_cvt_f32_f16_sdwa v9, v9 dst_sel:DWORD dst_unused:UNUSED_PAD src0_sel:WORD_1
	v_mfma_f32_16x16x16_f16 v[4:7], v[10:11], v[34:35], v[4:7]
	s_nop 7
	v_cvt_f16_f32_e32 v1, v6
	v_cvt_f16_f32_e32 v6, v7
	v_cvt_f32_f16_sdwa v7, v51 dst_sel:DWORD dst_unused:UNUSED_PAD src0_sel:WORD_1
	v_cvt_f16_f32_e32 v55, v4
	v_cvt_f16_f32_e32 v56, v5
	v_perm_b32 v48, v6, v1, s84
	ds_read_u16 v1, v204 offset:64
	ds_read_u16 v10, v204 offset:592
	ds_read_u16 v11, v204 offset:1120
	ds_read_u16 v12, v205 offset:64
	v_cvt_f32_f16_e32 v6, v51
	v_perm_b32 v55, v56, v55, s84
	s_waitcnt lgkmcnt(2)
	v_perm_b32 v10, v10, v1, s84
	s_waitcnt lgkmcnt(0)
	v_perm_b32 v11, v12, v11, s84
	s_nop 1
	v_mfma_f32_16x16x16_f16 v[6:9], v[10:11], v[38:39], v[6:9]
	ds_read_u16 v10, v204 offset:16960
	ds_read_u16 v12, v204 offset:17488
	ds_read_u16 v11, v204 offset:18016
	ds_read_u16 v13, v205 offset:16960
	s_nop 3
	v_cvt_f16_f32_e32 v1, v6
	v_cvt_f16_f32_e32 v7, v7
	v_cvt_f16_f32_e32 v8, v8
	v_cvt_f16_f32_e32 v9, v9
	s_waitcnt lgkmcnt(0)
	v_perm_b32 v11, v13, v11, s84
	v_perm_b32 v10, v12, v10, s84
	v_cvt_f32_f16_e32 v6, v1
	v_cvt_f32_f16_e32 v7, v7
	v_cvt_f32_f16_e32 v8, v8
	v_cvt_f32_f16_e32 v9, v9
	s_nop 1
	v_mfma_f32_16x16x16_f16 v[6:9], v[10:11], v[34:35], v[6:9]
	v_cvt_f32_f16_e32 v10, v60
	v_cvt_f32_f16_sdwa v11, v60 dst_sel:DWORD dst_unused:UNUSED_PAD src0_sel:WORD_1
	s_nop 5
	v_cvt_f16_f32_e32 v1, v8
	v_cvt_f16_f32_e32 v8, v9
	v_cvt_f32_f16_sdwa v9, v61 dst_sel:DWORD dst_unused:UNUSED_PAD src0_sel:WORD_1
	v_cvt_f16_f32_e32 v58, v6
	v_cvt_f16_f32_e32 v59, v7
	v_perm_b32 v51, v8, v1, s84
	ds_read_u16 v1, v204 offset:96
	ds_read_u16 v12, v204 offset:624
	ds_read_u16 v13, v204 offset:1152
	ds_read_u16 v14, v205 offset:96
	v_cvt_f32_f16_e32 v8, v61
	v_perm_b32 v58, v59, v58, s84
	s_waitcnt lgkmcnt(2)
	v_perm_b32 v12, v12, v1, s84
	s_waitcnt lgkmcnt(0)
	v_perm_b32 v13, v14, v13, s84
	s_nop 1
	v_mfma_f32_16x16x16_f16 v[8:11], v[12:13], v[38:39], v[8:11]
	ds_read_u16 v12, v204 offset:16992
	ds_read_u16 v14, v204 offset:17520
	ds_read_u16 v13, v204 offset:18048
	ds_read_u16 v15, v205 offset:16992
	s_nop 3
	v_cvt_f16_f32_e32 v1, v8
	v_cvt_f16_f32_e32 v9, v9
	v_cvt_f16_f32_e32 v10, v10
	v_cvt_f16_f32_e32 v11, v11
	s_waitcnt lgkmcnt(0)
	v_perm_b32 v13, v15, v13, s84
	v_perm_b32 v12, v14, v12, s84
	v_cvt_f32_f16_e32 v8, v1
	v_cvt_f32_f16_e32 v9, v9
	v_cvt_f32_f16_e32 v10, v10
	v_cvt_f32_f16_e32 v11, v11
	s_nop 1
	v_mfma_f32_16x16x16_f16 v[8:11], v[12:13], v[34:35], v[8:11]
	v_cvt_f32_f16_e32 v12, v50
	v_cvt_f32_f16_sdwa v13, v50 dst_sel:DWORD dst_unused:UNUSED_PAD src0_sel:WORD_1
	;; [unrolled: 39-line block ×4, first 2 shown]
	s_nop 5
	v_cvt_f16_f32_e32 v1, v14
	v_cvt_f16_f32_e32 v14, v15
	v_cvt_f32_f16_sdwa v15, v45 dst_sel:DWORD dst_unused:UNUSED_PAD src0_sel:WORD_1
	v_cvt_f16_f32_e32 v67, v12
	v_cvt_f16_f32_e32 v68, v13
	v_perm_b32 v61, v14, v1, s84
	ds_read_u16 v1, v204 offset:192
	ds_read_u16 v46, v204 offset:720
	;; [unrolled: 1-line block ×4, first 2 shown]
	v_cvt_f32_f16_e32 v14, v45
	v_perm_b32 v67, v68, v67, s84
	s_waitcnt lgkmcnt(2)
	v_perm_b32 v44, v46, v1, s84
	s_waitcnt lgkmcnt(0)
	v_perm_b32 v45, v50, v49, s84
	s_nop 1
	v_mfma_f32_16x16x16_f16 v[14:17], v[44:45], v[38:39], v[14:17]
	ds_read_u16 v44, v204 offset:17088
	ds_read_u16 v46, v204 offset:17616
	;; [unrolled: 1-line block ×4, first 2 shown]
	s_nop 3
	v_cvt_f16_f32_e32 v1, v14
	v_cvt_f16_f32_e32 v15, v15
	;; [unrolled: 1-line block ×4, first 2 shown]
	s_waitcnt lgkmcnt(0)
	v_perm_b32 v45, v49, v45, s84
	v_perm_b32 v44, v46, v44, s84
	v_cvt_f32_f16_e32 v14, v1
	v_cvt_f32_f16_e32 v15, v15
	;; [unrolled: 1-line block ×4, first 2 shown]
	s_nop 1
	v_mfma_f32_16x16x16_f16 v[14:17], v[44:45], v[34:35], v[14:17]
	s_nop 7
	v_cvt_f16_f32_e32 v1, v16
	v_cvt_f16_f32_e32 v16, v17
	;; [unrolled: 1-line block ×4, first 2 shown]
	v_perm_b32 v64, v16, v1, s84
	ds_read_u16 v1, v204 offset:224
	ds_read_u16 v16, v204 offset:752
	;; [unrolled: 1-line block ×4, first 2 shown]
	v_perm_b32 v69, v70, v69, s84
	s_waitcnt lgkmcnt(2)
	v_perm_b32 v16, v16, v1, s84
	s_waitcnt lgkmcnt(0)
	v_perm_b32 v17, v44, v17, s84
	s_nop 1
	v_mfma_f32_16x16x16_f16 v[16:19], v[16:17], v[38:39], v[72:75]
	s_nop 7
	v_cvt_f16_f32_e32 v1, v16
	v_cvt_f16_f32_e32 v16, v17
	;; [unrolled: 1-line block ×4, first 2 shown]
	ds_read_u16 v19, v204 offset:17120
	ds_read_u16 v44, v204 offset:17648
	;; [unrolled: 1-line block ×4, first 2 shown]
	v_cvt_f32_f16_e32 v73, v16
	v_cvt_f32_f16_e32 v74, v17
	s_waitcnt lgkmcnt(2)
	v_perm_b32 v16, v44, v19, s84
	v_cvt_f32_f16_e32 v72, v1
	s_waitcnt lgkmcnt(0)
	v_perm_b32 v17, v46, v45, s84
	v_cvt_f32_f16_e32 v75, v18
	s_nop 1
	v_mfma_f32_16x16x16_f16 v[16:19], v[16:17], v[34:35], v[72:75]
	s_nop 7
	v_cvt_f16_f32_e32 v1, v18
	v_cvt_f16_f32_e32 v18, v19
	;; [unrolled: 1-line block ×4, first 2 shown]
	v_perm_b32 v73, v18, v1, s84
	ds_read_u16 v1, v204 offset:256
	ds_read_u16 v18, v204 offset:784
	;; [unrolled: 1-line block ×4, first 2 shown]
	v_perm_b32 v74, v75, v74, s84
	s_waitcnt lgkmcnt(2)
	v_perm_b32 v18, v18, v1, s84
	s_waitcnt lgkmcnt(0)
	v_perm_b32 v19, v44, v19, s84
	ds_read_u16 v44, v204 offset:17152
	ds_read_u16 v46, v204 offset:17680
	;; [unrolled: 1-line block ×4, first 2 shown]
	v_mfma_f32_16x16x16_f16 v[18:21], v[18:19], v[38:39], v[76:79]
	s_waitcnt lgkmcnt(0)
	v_perm_b32 v45, v49, v45, s84
	v_perm_b32 v44, v46, v44, s84
	v_cvt_f32_f16_e32 v78, v23
	s_nop 3
	v_cvt_f16_f32_e32 v1, v18
	v_cvt_f16_f32_e32 v19, v19
	;; [unrolled: 1-line block ×4, first 2 shown]
	v_cvt_f32_f16_e32 v18, v1
	v_cvt_f32_f16_e32 v19, v19
	;; [unrolled: 1-line block ×4, first 2 shown]
	v_cvt_f32_f16_sdwa v79, v23 dst_sel:DWORD dst_unused:UNUSED_PAD src0_sel:WORD_1
	s_nop 0
	v_mfma_f32_16x16x16_f16 v[18:21], v[44:45], v[34:35], v[18:21]
	s_nop 7
	v_cvt_f16_f32_e32 v1, v20
	v_cvt_f16_f32_e32 v20, v21
	v_cvt_f16_f32_e32 v72, v18
	v_cvt_f16_f32_e32 v76, v19
	v_perm_b32 v1, v20, v1, s84
	ds_read_u16 v20, v204 offset:288
	ds_read_u16 v44, v204 offset:816
	;; [unrolled: 1-line block ×4, first 2 shown]
	v_perm_b32 v72, v76, v72, s84
	s_waitcnt lgkmcnt(2)
	v_perm_b32 v20, v44, v20, s84
	s_waitcnt lgkmcnt(0)
	v_perm_b32 v21, v45, v21, s84
	ds_read_u16 v44, v204 offset:17184
	ds_read_u16 v46, v204 offset:17712
	;; [unrolled: 1-line block ×4, first 2 shown]
	v_mfma_f32_16x16x16_f16 v[20:23], v[20:21], v[38:39], v[78:81]
	s_waitcnt lgkmcnt(0)
	v_perm_b32 v45, v49, v45, s84
	v_perm_b32 v44, v46, v44, s84
	v_cvt_f32_f16_e32 v78, v25
	s_nop 3
	v_cvt_f16_f32_e32 v20, v20
	v_cvt_f16_f32_e32 v21, v21
	;; [unrolled: 1-line block ×4, first 2 shown]
	v_cvt_f32_f16_e32 v20, v20
	v_cvt_f32_f16_e32 v21, v21
	;; [unrolled: 1-line block ×4, first 2 shown]
	v_cvt_f32_f16_sdwa v79, v25 dst_sel:DWORD dst_unused:UNUSED_PAD src0_sel:WORD_1
	v_cvt_f32_f16_e32 v80, v24
	v_mfma_f32_16x16x16_f16 v[20:23], v[44:45], v[34:35], v[20:23]
	v_cvt_f32_f16_sdwa v81, v24 dst_sel:DWORD dst_unused:UNUSED_PAD src0_sel:WORD_1
	s_nop 6
	v_cvt_f16_f32_e32 v22, v22
	v_cvt_f16_f32_e32 v23, v23
	v_cvt_f16_f32_e32 v71, v20
	v_cvt_f16_f32_e32 v77, v21
	v_perm_b32 v44, v23, v22, s84
	ds_read_u16 v22, v204 offset:320
	ds_read_u16 v45, v204 offset:848
	;; [unrolled: 1-line block ×4, first 2 shown]
	v_perm_b32 v71, v77, v71, s84
	s_waitcnt lgkmcnt(2)
	v_perm_b32 v22, v45, v22, s84
	s_waitcnt lgkmcnt(0)
	v_perm_b32 v23, v46, v23, s84
	ds_read_u16 v45, v204 offset:17216
	ds_read_u16 v46, v204 offset:17744
	;; [unrolled: 1-line block ×4, first 2 shown]
	v_mfma_f32_16x16x16_f16 v[22:25], v[22:23], v[38:39], v[78:81]
	s_waitcnt lgkmcnt(0)
	s_nop 1
	v_perm_b32 v79, v50, v49, s84
	v_perm_b32 v78, v46, v45, s84
	v_cvt_f32_f16_e32 v80, v27
	s_nop 1
	v_cvt_f16_f32_e32 v22, v22
	v_cvt_f16_f32_e32 v23, v23
	;; [unrolled: 1-line block ×4, first 2 shown]
	v_cvt_f32_f16_e32 v22, v22
	v_cvt_f32_f16_e32 v23, v23
	;; [unrolled: 1-line block ×4, first 2 shown]
	v_cvt_f32_f16_sdwa v81, v27 dst_sel:DWORD dst_unused:UNUSED_PAD src0_sel:WORD_1
	s_nop 0
	v_mfma_f32_16x16x16_f16 v[22:25], v[78:79], v[34:35], v[22:25]
	s_nop 7
	v_cvt_f16_f32_e32 v24, v24
	v_cvt_f16_f32_e32 v25, v25
	;; [unrolled: 1-line block ×4, first 2 shown]
	v_perm_b32 v45, v25, v24, s84
	ds_read_u16 v24, v204 offset:352
	ds_read_u16 v46, v204 offset:880
	;; [unrolled: 1-line block ×4, first 2 shown]
	s_waitcnt lgkmcnt(2)
	v_perm_b32 v24, v46, v24, s84
	s_waitcnt lgkmcnt(0)
	v_perm_b32 v25, v49, v25, s84
	ds_read_u16 v46, v204 offset:17248
	ds_read_u16 v49, v204 offset:17776
	;; [unrolled: 1-line block ×4, first 2 shown]
	v_mfma_f32_16x16x16_f16 v[24:27], v[24:25], v[38:39], v[80:83]
	s_waitcnt lgkmcnt(0)
	s_nop 1
	v_perm_b32 v81, v52, v50, s84
	v_perm_b32 v80, v49, v46, s84
	v_cvt_f32_f16_e32 v82, v29
	s_nop 1
	v_cvt_f16_f32_e32 v24, v24
	v_cvt_f16_f32_e32 v25, v25
	;; [unrolled: 1-line block ×4, first 2 shown]
	v_cvt_f32_f16_e32 v24, v24
	v_cvt_f32_f16_e32 v25, v25
	;; [unrolled: 1-line block ×4, first 2 shown]
	v_cvt_f32_f16_sdwa v83, v29 dst_sel:DWORD dst_unused:UNUSED_PAD src0_sel:WORD_1
	s_nop 0
	v_mfma_f32_16x16x16_f16 v[24:27], v[80:81], v[34:35], v[24:27]
	s_nop 7
	v_cvt_f16_f32_e32 v26, v26
	v_cvt_f16_f32_e32 v27, v27
	;; [unrolled: 1-line block ×4, first 2 shown]
	v_perm_b32 v46, v27, v26, s84
	ds_read_u16 v26, v204 offset:384
	ds_read_u16 v49, v204 offset:912
	;; [unrolled: 1-line block ×4, first 2 shown]
	s_waitcnt lgkmcnt(2)
	v_perm_b32 v26, v49, v26, s84
	s_waitcnt lgkmcnt(0)
	v_perm_b32 v27, v50, v27, s84
	s_nop 1
	v_mfma_f32_16x16x16_f16 v[26:29], v[26:27], v[38:39], v[82:85]
	ds_read_u16 v49, v204 offset:17280
	ds_read_u16 v50, v204 offset:17808
	;; [unrolled: 1-line block ×4, first 2 shown]
	v_cvt_f32_f16_e32 v84, v31
	v_cvt_f32_f16_sdwa v85, v31 dst_sel:DWORD dst_unused:UNUSED_PAD src0_sel:WORD_1
	s_nop 1
	v_cvt_f16_f32_e32 v26, v26
	v_cvt_f16_f32_e32 v27, v27
	;; [unrolled: 1-line block ×4, first 2 shown]
	s_waitcnt lgkmcnt(0)
	v_perm_b32 v83, v82, v52, s84
	v_perm_b32 v82, v50, v49, s84
	v_cvt_f32_f16_e32 v26, v26
	v_cvt_f32_f16_e32 v27, v27
	;; [unrolled: 1-line block ×4, first 2 shown]
	s_nop 1
	v_mfma_f32_16x16x16_f16 v[26:29], v[82:83], v[34:35], v[26:29]
	s_nop 7
	v_cvt_f16_f32_e32 v28, v28
	v_cvt_f16_f32_e32 v29, v29
	v_cvt_f16_f32_e32 v82, v26
	v_cvt_f16_f32_e32 v83, v27
	v_perm_b32 v49, v29, v28, s84
	ds_read_u16 v28, v204 offset:416
	ds_read_u16 v50, v204 offset:944
	;; [unrolled: 1-line block ×4, first 2 shown]
	s_waitcnt lgkmcnt(2)
	v_perm_b32 v28, v50, v28, s84
	s_waitcnt lgkmcnt(0)
	v_perm_b32 v29, v52, v29, s84
	s_nop 1
	v_mfma_f32_16x16x16_f16 v[28:31], v[28:29], v[38:39], v[84:87]
	ds_read_u16 v50, v204 offset:17312
	ds_read_u16 v52, v204 offset:17840
	s_nop 0
	ds_read_u16 v84, v204 offset:18368
	ds_read_u16 v85, v205 offset:17312
	v_cvt_f32_f16_e32 v86, v33
	v_cvt_f32_f16_sdwa v87, v33 dst_sel:DWORD dst_unused:UNUSED_PAD src0_sel:WORD_1
	s_nop 0
	v_cvt_f16_f32_e32 v28, v28
	v_cvt_f16_f32_e32 v29, v29
	;; [unrolled: 1-line block ×4, first 2 shown]
	s_waitcnt lgkmcnt(0)
	v_perm_b32 v85, v85, v84, s84
	v_perm_b32 v84, v52, v50, s84
	v_cvt_f32_f16_e32 v28, v28
	v_cvt_f32_f16_e32 v29, v29
	;; [unrolled: 1-line block ×4, first 2 shown]
	s_nop 1
	v_mfma_f32_16x16x16_f16 v[28:31], v[84:85], v[34:35], v[28:31]
	s_nop 7
	v_cvt_f16_f32_e32 v30, v30
	v_cvt_f16_f32_e32 v31, v31
	;; [unrolled: 1-line block ×4, first 2 shown]
	v_perm_b32 v50, v31, v30, s84
	ds_read_u16 v30, v204 offset:448
	ds_read_u16 v52, v204 offset:976
	;; [unrolled: 1-line block ×4, first 2 shown]
	s_waitcnt lgkmcnt(2)
	v_perm_b32 v30, v52, v30, s84
	s_waitcnt lgkmcnt(0)
	v_perm_b32 v31, v90, v31, s84
	v_cvt_f32_f16_e32 v90, v42
	s_nop 0
	v_mfma_f32_16x16x16_f16 v[30:33], v[30:31], v[38:39], v[86:89]
	ds_read_u16 v52, v204 offset:17344
	s_nop 1
	ds_read_u16 v86, v204 offset:17872
	ds_read_u16 v87, v204 offset:18400
	;; [unrolled: 1-line block ×3, first 2 shown]
	v_cvt_f32_f16_sdwa v89, v43 dst_sel:DWORD dst_unused:UNUSED_PAD src0_sel:WORD_1
	s_nop 0
	v_cvt_f16_f32_e32 v30, v30
	v_cvt_f16_f32_e32 v31, v31
	;; [unrolled: 1-line block ×4, first 2 shown]
	s_waitcnt lgkmcnt(0)
	v_perm_b32 v87, v88, v87, s84
	v_perm_b32 v86, v86, v52, s84
	v_cvt_f32_f16_e32 v30, v30
	v_cvt_f32_f16_e32 v31, v31
	;; [unrolled: 1-line block ×5, first 2 shown]
	s_nop 0
	v_mfma_f32_16x16x16_f16 v[30:33], v[86:87], v[34:35], v[30:33]
	s_nop 7
	v_cvt_f16_f32_e32 v32, v32
	v_cvt_f16_f32_e32 v33, v33
	;; [unrolled: 1-line block ×4, first 2 shown]
	v_perm_b32 v52, v33, v32, s84
	ds_read_u16 v32, v204 offset:480
	ds_read_u16 v92, v204 offset:1008
	;; [unrolled: 1-line block ×4, first 2 shown]
	s_waitcnt lgkmcnt(2)
	v_perm_b32 v32, v92, v32, s84
	s_waitcnt lgkmcnt(0)
	v_perm_b32 v33, v93, v33, s84
	s_nop 1
	v_mfma_f32_16x16x16_f16 v[88:91], v[32:33], v[38:39], v[88:91]
	s_nop 7
	v_cvt_f16_f32_e32 v38, v88
	v_cvt_f16_f32_e32 v39, v89
	ds_read_u16 v32, v204 offset:17376
	ds_read_u16 v33, v204 offset:17904
	;; [unrolled: 1-line block ×4, first 2 shown]
	v_cvt_f16_f32_e32 v42, v90
	v_cvt_f16_f32_e32 v43, v91
	v_cvt_f32_f16_e32 v90, v38
	v_cvt_f32_f16_e32 v91, v39
	s_waitcnt lgkmcnt(0)
	v_perm_b32 v39, v89, v88, s84
	v_perm_b32 v38, v33, v32, s84
	v_cvt_f32_f16_e32 v92, v42
	v_cvt_f32_f16_e32 v93, v43
	v_perm_b32 v42, v81, v80, s84
	v_perm_b32 v43, v79, v78, s84
	v_mfma_f32_16x16x16_f16 v[32:35], v[38:39], v[34:35], v[90:93]
	s_barrier
	s_nop 6
	v_cvt_f16_f32_e32 v34, v34
	v_cvt_f16_f32_e32 v35, v35
	;; [unrolled: 1-line block ×4, first 2 shown]
	v_perm_b32 v34, v35, v34, s84
	ds_bpermute_b32 v35, v37, v41
	s_waitcnt lgkmcnt(0)
	v_add_f32_e32 v35, v41, v35
	ds_bpermute_b32 v37, v40, v35
	v_perm_b32 v41, v83, v82, s84
	s_waitcnt lgkmcnt(0)
	v_add_f32_e32 v37, v35, v37
	v_perm_b32 v35, v39, v38, s84
	v_perm_b32 v38, v87, v86, s84
	;; [unrolled: 1-line block ×3, first 2 shown]
	s_and_saveexec_b64 s[4:5], s[36:37]
	s_cbranch_execz .LBB30_441
; %bb.440:                              ;   in Loop: Header=BB30_14 Depth=1
	global_load_dword v35, v[142:143], off
	v_cvt_pk_f16_f32 v38, v2, v3
	v_max_f32_e32 v2, v36, v36
	v_cvt_pk_f16_f32 v4, v4, v5
	v_cvt_pk_f16_f32 v5, v6, v7
	;; [unrolled: 1-line block ×13, first 2 shown]
	s_waitcnt vmcnt(0)
	v_max_f32_e32 v3, v35, v35
	v_max_f32_e32 v2, v2, v3
	v_sub_f32_e32 v3, v36, v2
	v_sub_f32_e32 v17, v35, v2
	v_mul_f32_e32 v18, 0x3fb8aa3b, v3
	v_mul_f32_e32 v19, 0x3fb8aa3b, v17
	v_fma_f32 v20, v3, s3, -v18
	v_rndne_f32_e32 v21, v18
	v_fma_f32 v22, v17, s3, -v19
	v_rndne_f32_e32 v23, v19
	v_fmac_f32_e32 v20, 0x32a5705f, v3
	v_sub_f32_e32 v18, v18, v21
	v_fmac_f32_e32 v22, 0x32a5705f, v17
	v_sub_f32_e32 v19, v19, v23
	v_add_f32_e32 v18, v18, v20
	v_cvt_i32_f32_e32 v21, v21
	v_add_f32_e32 v19, v19, v22
	v_exp_f32_e32 v18, v18
	v_cvt_i32_f32_e32 v23, v23
	v_exp_f32_e32 v19, v19
	v_cmp_ngt_f32_e32 vcc, s30, v3
	v_ldexp_f32 v18, v18, v21
	v_cvt_pk_f16_f32 v20, v30, v31
	v_ldexp_f32 v19, v19, v23
	v_cndmask_b32_e32 v18, 0, v18, vcc
	v_cmp_ngt_f32_e32 vcc, s30, v17
	v_cvt_pk_f16_f32 v22, v32, v33
	s_nop 0
	v_cndmask_b32_e32 v19, 0, v19, vcc
	v_cmp_nlt_f32_e32 vcc, s81, v3
	s_nop 1
	v_cndmask_b32_e32 v18, v213, v18, vcc
	v_cmp_le_f32_e32 vcc, s7, v3
	s_nop 1
	v_cndmask_b32_e32 v18, 0, v18, vcc
	v_cvt_f16_f32_e32 v21, v18
	v_cmp_nlt_f32_e32 vcc, s81, v17
	v_mul_u32_u24_e32 v17, 0x10001, v21
	s_nop 0
	v_cndmask_b32_e32 v3, v213, v19, vcc
	v_fmac_f32_e32 v3, v37, v18
	v_pk_mul_f16 v53, v38, v17
	v_pk_mul_f16 v47, v47, v17
	;; [unrolled: 1-line block ×32, first 2 shown]
	v_mov_b64_e32 v[36:37], v[2:3]
.LBB30_441:                             ;   in Loop: Header=BB30_14 Depth=1
	s_or_b64 exec, exec, s[4:5]
	s_mov_b64 s[4:5], exec
	v_readlane_b32 s36, v255, 55
	v_readlane_b32 s37, v255, 56
	s_and_b64 s[36:37], s[4:5], s[36:37]
	s_mov_b32 s42, s63
	v_readlane_b32 s94, v255, 43
	s_movk_i32 s43, 0x47
	s_mov_b64 exec, s[36:37]
; %bb.442:                              ;   in Loop: Header=BB30_14 Depth=1
	v_add_u32_e32 v2, 0, v231
	ds_write2_b32 v2, v36, v37 offset0:64 offset1:65
; %bb.443:                              ;   in Loop: Header=BB30_14 Depth=1
	s_or_b64 exec, exec, s[4:5]
	s_waitcnt lgkmcnt(0)
	s_barrier
	s_mov_b64 s[4:5], exec
	v_readlane_b32 s36, v255, 40
	v_readlane_b32 s37, v255, 41
	s_and_b64 s[36:37], s[4:5], s[36:37]
	s_xor_b64 s[4:5], s[36:37], s[4:5]
	s_mov_b64 exec, s[36:37]
	s_cbranch_execz .LBB30_445
; %bb.444:                              ;   in Loop: Header=BB30_14 Depth=1
	s_barrier
                                        ; implicit-def: $vgpr40
.LBB30_445:                             ;   in Loop: Header=BB30_14 Depth=1
	s_andn2_saveexec_b64 s[4:5], s[4:5]
	s_cbranch_execz .LBB30_449
; %bb.446:                              ;   in Loop: Header=BB30_14 Depth=1
	v_add_u32_e32 v4, 0, v232
	ds_read_b64 v[2:3], v4 offset:256
	s_waitcnt lgkmcnt(0)
	s_barrier
	ds_bpermute_b32 v5, v40, v2
	v_max_f32_e32 v6, v2, v2
	s_waitcnt lgkmcnt(0)
	v_max_f32_e32 v5, v5, v5
	v_max_f32_e32 v5, v6, v5
	v_sub_f32_e32 v2, v2, v5
	v_mul_f32_e32 v5, 0x3fb8aa3b, v2
	v_fma_f32 v6, v2, s3, -v5
	v_rndne_f32_e32 v7, v5
	v_fmac_f32_e32 v6, 0x32a5705f, v2
	v_sub_f32_e32 v5, v5, v7
	v_add_f32_e32 v5, v5, v6
	v_cvt_i32_f32_e32 v7, v7
	v_exp_f32_e32 v5, v5
	v_cmp_ngt_f32_e32 vcc, s30, v2
	v_ldexp_f32 v5, v5, v7
	s_nop 0
	v_cndmask_b32_e32 v5, 0, v5, vcc
	v_cmp_nlt_f32_e32 vcc, s81, v2
	s_nop 1
	v_cndmask_b32_e32 v2, v213, v5, vcc
	v_mul_f32_e32 v3, v3, v2
	ds_bpermute_b32 v5, v40, v3
	s_mov_b64 s[36:37], exec
	v_readlane_b32 s38, v255, 57
	v_readlane_b32 s39, v255, 58
	s_and_b64 s[38:39], s[36:37], s[38:39]
	s_mov_b64 exec, s[38:39]
	s_cbranch_execz .LBB30_448
; %bb.447:                              ;   in Loop: Header=BB30_14 Depth=1
	s_waitcnt lgkmcnt(0)
	v_add_f32_e32 v3, v3, v5
	ds_write_b64 v4, v[2:3] offset:256
.LBB30_448:                             ;   in Loop: Header=BB30_14 Depth=1
	s_or_b64 exec, exec, s[36:37]
.LBB30_449:                             ;   in Loop: Header=BB30_14 Depth=1
	s_or_b64 exec, exec, s[4:5]
	ds_write2_b32 v206, v53, v47 offset1:1
	ds_write2_b32 v206, v55, v48 offset0:8 offset1:9
	ds_write2_b32 v206, v58, v51 offset0:16 offset1:17
	;; [unrolled: 1-line block ×7, first 2 shown]
	s_waitcnt lgkmcnt(0)
	s_barrier
	s_and_saveexec_b64 s[36:37], s[44:45]
	s_cbranch_execz .LBB30_527
; %bb.450:                              ;   in Loop: Header=BB30_14 Depth=1
	v_add_u32_e32 v2, v207, v238
	v_cmp_gt_i32_e32 vcc, s80, v2
	v_mov_b32_e32 v3, 0x47
	s_and_saveexec_b64 s[4:5], vcc
	s_cbranch_execz .LBB30_452
; %bb.451:                              ;   in Loop: Header=BB30_14 Depth=1
	v_add_u32_e32 v3, 0, v233
	v_add_u32_e32 v6, v198, v233
	ds_read2_b32 v[4:5], v3 offset0:64 offset1:65
	ds_read2st64_b32 v[6:7], v6 offset1:17
	ds_read_b32 v8, v3 offset:4608
	v_readlane_b32 s38, v255, 49
	s_waitcnt lgkmcnt(1)
	v_cvt_f32_f16_e32 v10, v6
	v_cvt_f32_f16_sdwa v11, v6 dst_sel:DWORD dst_unused:UNUSED_PAD src0_sel:WORD_1
	v_cvt_f32_f16_e32 v6, v7
	v_cvt_f32_f16_sdwa v7, v7 dst_sel:DWORD dst_unused:UNUSED_PAD src0_sel:WORD_1
	v_mad_u64_u32 v[2:3], s[38:39], v2, s38, v[94:95]
	v_pk_fma_f32 v[10:11], v[4:5], v[10:11], 0 op_sel_hi:[0,1,0]
	s_waitcnt lgkmcnt(0)
	v_pk_fma_f32 v[6:7], v[8:9], v[6:7], v[10:11] op_sel_hi:[0,1,1]
	v_div_scale_f32 v4, s[38:39], v5, v5, v7
	v_rcp_f32_e32 v8, v4
	v_ashrrev_i32_e32 v3, 31, v2
	v_lshl_add_u64 v[2:3], v[2:3], 3, v[140:141]
	v_fma_f32 v9, -v4, v8, 1.0
	v_fmac_f32_e32 v8, v9, v8
	v_div_scale_f32 v9, vcc, v7, v5, v7
	v_mul_f32_e32 v10, v9, v8
	v_fma_f32 v11, -v4, v10, v9
	v_fmac_f32_e32 v10, v11, v8
	v_fma_f32 v4, -v4, v10, v9
	v_div_fmas_f32 v4, v4, v8, v10
	v_div_fixup_f32 v7, v4, v5, v7
	v_div_scale_f32 v4, s[38:39], v5, v5, v6
	v_rcp_f32_e32 v8, v4
	s_nop 0
	v_fma_f32 v9, -v4, v8, 1.0
	v_fmac_f32_e32 v8, v9, v8
	v_div_scale_f32 v9, vcc, v6, v5, v6
	v_mul_f32_e32 v10, v9, v8
	v_fma_f32 v11, -v4, v10, v9
	v_fmac_f32_e32 v10, v11, v8
	v_fma_f32 v4, -v4, v10, v9
	v_div_fmas_f32 v4, v4, v8, v10
	v_div_fixup_f32 v6, v4, v5, v6
	global_store_dwordx2 v[2:3], v[6:7], off
	v_mov_b32_e32 v3, 0
.LBB30_452:                             ;   in Loop: Header=BB30_14 Depth=1
	s_or_b64 exec, exec, s[4:5]
	v_cmp_gt_i32_e32 vcc, s43, v3
	s_mov_b64 s[4:5], -1
	s_and_saveexec_b64 s[38:39], vcc
; %bb.453:                              ;   in Loop: Header=BB30_14 Depth=1
	v_cmp_eq_u32_e32 vcc, 0, v3
	s_orn2_b64 s[4:5], vcc, exec
; %bb.454:                              ;   in Loop: Header=BB30_14 Depth=1
	s_or_b64 exec, exec, s[38:39]
	s_and_b64 exec, exec, s[4:5]
	s_cbranch_execz .LBB30_527
; %bb.455:                              ;   in Loop: Header=BB30_14 Depth=1
	v_add_u32_e32 v2, v208, v238
	v_cmp_gt_i32_e32 vcc, s80, v2
	v_mov_b32_e32 v3, 0x47
	s_and_saveexec_b64 s[4:5], vcc
	s_cbranch_execz .LBB30_457
; %bb.456:                              ;   in Loop: Header=BB30_14 Depth=1
	v_add_u32_e32 v3, 0, v234
	v_add_u32_e32 v6, v198, v234
	ds_read2_b32 v[4:5], v3 offset0:64 offset1:65
	ds_read2st64_b32 v[6:7], v6 offset1:17
	ds_read_b32 v8, v3 offset:4608
	v_readlane_b32 s38, v255, 49
	s_waitcnt lgkmcnt(1)
	v_cvt_f32_f16_e32 v10, v6
	v_cvt_f32_f16_sdwa v11, v6 dst_sel:DWORD dst_unused:UNUSED_PAD src0_sel:WORD_1
	v_cvt_f32_f16_e32 v6, v7
	v_cvt_f32_f16_sdwa v7, v7 dst_sel:DWORD dst_unused:UNUSED_PAD src0_sel:WORD_1
	v_mad_u64_u32 v[2:3], s[38:39], v2, s38, v[94:95]
	v_pk_fma_f32 v[10:11], v[4:5], v[10:11], 0 op_sel_hi:[0,1,0]
	s_waitcnt lgkmcnt(0)
	v_pk_fma_f32 v[6:7], v[8:9], v[6:7], v[10:11] op_sel_hi:[0,1,1]
	v_div_scale_f32 v4, s[38:39], v5, v5, v7
	v_rcp_f32_e32 v8, v4
	v_ashrrev_i32_e32 v3, 31, v2
	v_lshl_add_u64 v[2:3], v[2:3], 3, v[140:141]
	v_fma_f32 v9, -v4, v8, 1.0
	v_fmac_f32_e32 v8, v9, v8
	v_div_scale_f32 v9, vcc, v7, v5, v7
	v_mul_f32_e32 v10, v9, v8
	v_fma_f32 v11, -v4, v10, v9
	v_fmac_f32_e32 v10, v11, v8
	v_fma_f32 v4, -v4, v10, v9
	v_div_fmas_f32 v4, v4, v8, v10
	v_div_fixup_f32 v7, v4, v5, v7
	v_div_scale_f32 v4, s[38:39], v5, v5, v6
	v_rcp_f32_e32 v8, v4
	s_nop 0
	v_fma_f32 v9, -v4, v8, 1.0
	v_fmac_f32_e32 v8, v9, v8
	v_div_scale_f32 v9, vcc, v6, v5, v6
	v_mul_f32_e32 v10, v9, v8
	v_fma_f32 v11, -v4, v10, v9
	v_fmac_f32_e32 v10, v11, v8
	v_fma_f32 v4, -v4, v10, v9
	v_div_fmas_f32 v4, v4, v8, v10
	v_div_fixup_f32 v6, v4, v5, v6
	global_store_dwordx2 v[2:3], v[6:7], off
	v_mov_b32_e32 v3, 0
.LBB30_457:                             ;   in Loop: Header=BB30_14 Depth=1
	s_or_b64 exec, exec, s[4:5]
	v_cmp_gt_i32_e32 vcc, s43, v3
	s_mov_b64 s[4:5], -1
	s_and_saveexec_b64 s[38:39], vcc
; %bb.458:                              ;   in Loop: Header=BB30_14 Depth=1
	v_cmp_eq_u32_e32 vcc, 0, v3
	s_orn2_b64 s[4:5], vcc, exec
; %bb.459:                              ;   in Loop: Header=BB30_14 Depth=1
	s_or_b64 exec, exec, s[38:39]
	s_and_b64 exec, exec, s[4:5]
	s_cbranch_execz .LBB30_527
; %bb.460:                              ;   in Loop: Header=BB30_14 Depth=1
	v_add_u32_e32 v2, 8, v207
	v_add_u32_e32 v2, v2, v238
	v_cmp_gt_i32_e32 vcc, s80, v2
	v_mov_b32_e32 v3, 0x47
	s_and_saveexec_b64 s[4:5], vcc
	s_cbranch_execz .LBB30_462
; %bb.461:                              ;   in Loop: Header=BB30_14 Depth=1
	v_add_u32_e32 v3, 0, v235
	v_add_u32_e32 v6, v198, v235
	ds_read2_b32 v[4:5], v3 offset0:64 offset1:65
	ds_read2st64_b32 v[6:7], v6 offset1:17
	ds_read_b32 v8, v3 offset:4608
	v_readlane_b32 s38, v255, 49
	s_waitcnt lgkmcnt(1)
	v_cvt_f32_f16_e32 v10, v6
	v_cvt_f32_f16_sdwa v11, v6 dst_sel:DWORD dst_unused:UNUSED_PAD src0_sel:WORD_1
	v_cvt_f32_f16_e32 v6, v7
	v_cvt_f32_f16_sdwa v7, v7 dst_sel:DWORD dst_unused:UNUSED_PAD src0_sel:WORD_1
	v_mad_u64_u32 v[2:3], s[38:39], v2, s38, v[94:95]
	v_pk_fma_f32 v[10:11], v[4:5], v[10:11], 0 op_sel_hi:[0,1,0]
	s_waitcnt lgkmcnt(0)
	v_pk_fma_f32 v[6:7], v[8:9], v[6:7], v[10:11] op_sel_hi:[0,1,1]
	v_div_scale_f32 v4, s[38:39], v5, v5, v7
	v_rcp_f32_e32 v8, v4
	v_ashrrev_i32_e32 v3, 31, v2
	v_lshl_add_u64 v[2:3], v[2:3], 3, v[140:141]
	v_fma_f32 v9, -v4, v8, 1.0
	v_fmac_f32_e32 v8, v9, v8
	v_div_scale_f32 v9, vcc, v7, v5, v7
	v_mul_f32_e32 v10, v9, v8
	v_fma_f32 v11, -v4, v10, v9
	v_fmac_f32_e32 v10, v11, v8
	v_fma_f32 v4, -v4, v10, v9
	v_div_fmas_f32 v4, v4, v8, v10
	v_div_fixup_f32 v7, v4, v5, v7
	v_div_scale_f32 v4, s[38:39], v5, v5, v6
	v_rcp_f32_e32 v8, v4
	s_nop 0
	v_fma_f32 v9, -v4, v8, 1.0
	v_fmac_f32_e32 v8, v9, v8
	v_div_scale_f32 v9, vcc, v6, v5, v6
	v_mul_f32_e32 v10, v9, v8
	v_fma_f32 v11, -v4, v10, v9
	v_fmac_f32_e32 v10, v11, v8
	v_fma_f32 v4, -v4, v10, v9
	v_div_fmas_f32 v4, v4, v8, v10
	v_div_fixup_f32 v6, v4, v5, v6
	global_store_dwordx2 v[2:3], v[6:7], off
	v_mov_b32_e32 v3, 0
.LBB30_462:                             ;   in Loop: Header=BB30_14 Depth=1
	s_or_b64 exec, exec, s[4:5]
	v_cmp_gt_i32_e32 vcc, s43, v3
	s_mov_b64 s[4:5], -1
	s_and_saveexec_b64 s[38:39], vcc
; %bb.463:                              ;   in Loop: Header=BB30_14 Depth=1
	v_cmp_eq_u32_e32 vcc, 0, v3
	s_orn2_b64 s[4:5], vcc, exec
; %bb.464:                              ;   in Loop: Header=BB30_14 Depth=1
	s_or_b64 exec, exec, s[38:39]
	s_and_b64 exec, exec, s[4:5]
	s_cbranch_execz .LBB30_527
; %bb.465:                              ;   in Loop: Header=BB30_14 Depth=1
	v_add_u32_e32 v2, 12, v207
	v_add_u32_e32 v2, v2, v238
	v_cmp_gt_i32_e32 vcc, s80, v2
	v_mov_b32_e32 v3, 0x47
	s_and_saveexec_b64 s[4:5], vcc
	s_cbranch_execz .LBB30_467
; %bb.466:                              ;   in Loop: Header=BB30_14 Depth=1
	scratch_load_dword v6, off, off offset:80 ; 4-byte Folded Reload
	v_readlane_b32 s38, v255, 49
	s_waitcnt vmcnt(0)
	v_add_u32_e32 v3, 0, v6
	v_add_u32_e32 v6, v198, v6
	ds_read2_b32 v[4:5], v3 offset0:64 offset1:65
	ds_read2st64_b32 v[6:7], v6 offset1:17
	ds_read_b32 v8, v3 offset:4608
	v_mad_u64_u32 v[2:3], s[38:39], v2, s38, v[94:95]
	v_ashrrev_i32_e32 v3, 31, v2
	s_waitcnt lgkmcnt(1)
	v_cvt_f32_f16_e32 v10, v6
	v_cvt_f32_f16_sdwa v11, v6 dst_sel:DWORD dst_unused:UNUSED_PAD src0_sel:WORD_1
	v_cvt_f32_f16_e32 v6, v7
	v_cvt_f32_f16_sdwa v7, v7 dst_sel:DWORD dst_unused:UNUSED_PAD src0_sel:WORD_1
	v_lshl_add_u64 v[2:3], v[2:3], 3, v[140:141]
	v_pk_fma_f32 v[10:11], v[4:5], v[10:11], 0 op_sel_hi:[0,1,0]
	s_waitcnt lgkmcnt(0)
	v_pk_fma_f32 v[6:7], v[8:9], v[6:7], v[10:11] op_sel_hi:[0,1,1]
	v_div_scale_f32 v4, s[38:39], v5, v5, v7
	v_rcp_f32_e32 v8, v4
	s_nop 0
	v_fma_f32 v9, -v4, v8, 1.0
	v_fmac_f32_e32 v8, v9, v8
	v_div_scale_f32 v9, vcc, v7, v5, v7
	v_mul_f32_e32 v10, v9, v8
	v_fma_f32 v11, -v4, v10, v9
	v_fmac_f32_e32 v10, v11, v8
	v_fma_f32 v4, -v4, v10, v9
	v_div_fmas_f32 v4, v4, v8, v10
	v_div_fixup_f32 v7, v4, v5, v7
	v_div_scale_f32 v4, s[38:39], v5, v5, v6
	v_rcp_f32_e32 v8, v4
	s_nop 0
	v_fma_f32 v9, -v4, v8, 1.0
	v_fmac_f32_e32 v8, v9, v8
	v_div_scale_f32 v9, vcc, v6, v5, v6
	v_mul_f32_e32 v10, v9, v8
	v_fma_f32 v11, -v4, v10, v9
	v_fmac_f32_e32 v10, v11, v8
	v_fma_f32 v4, -v4, v10, v9
	v_div_fmas_f32 v4, v4, v8, v10
	v_div_fixup_f32 v6, v4, v5, v6
	global_store_dwordx2 v[2:3], v[6:7], off
	v_mov_b32_e32 v3, 0
.LBB30_467:                             ;   in Loop: Header=BB30_14 Depth=1
	s_or_b64 exec, exec, s[4:5]
	v_cmp_gt_i32_e32 vcc, s43, v3
	s_mov_b64 s[4:5], -1
	s_and_saveexec_b64 s[38:39], vcc
; %bb.468:                              ;   in Loop: Header=BB30_14 Depth=1
	v_cmp_eq_u32_e32 vcc, 0, v3
	s_orn2_b64 s[4:5], vcc, exec
; %bb.469:                              ;   in Loop: Header=BB30_14 Depth=1
	s_or_b64 exec, exec, s[38:39]
	s_and_b64 exec, exec, s[4:5]
	s_cbranch_execz .LBB30_527
; %bb.470:                              ;   in Loop: Header=BB30_14 Depth=1
	v_add_u32_e32 v2, 16, v207
	v_add_u32_e32 v2, v2, v238
	v_cmp_gt_i32_e32 vcc, s80, v2
	v_mov_b32_e32 v3, 0x47
	s_and_saveexec_b64 s[4:5], vcc
	s_cbranch_execz .LBB30_472
; %bb.471:                              ;   in Loop: Header=BB30_14 Depth=1
	scratch_load_dword v6, off, off offset:84 ; 4-byte Folded Reload
	v_readlane_b32 s38, v255, 49
	s_waitcnt vmcnt(0)
	v_add_u32_e32 v3, 0, v6
	v_add_u32_e32 v6, v198, v6
	ds_read2_b32 v[4:5], v3 offset0:64 offset1:65
	ds_read2st64_b32 v[6:7], v6 offset1:17
	ds_read_b32 v8, v3 offset:4608
	v_mad_u64_u32 v[2:3], s[38:39], v2, s38, v[94:95]
	v_ashrrev_i32_e32 v3, 31, v2
	s_waitcnt lgkmcnt(1)
	v_cvt_f32_f16_e32 v10, v6
	v_cvt_f32_f16_sdwa v11, v6 dst_sel:DWORD dst_unused:UNUSED_PAD src0_sel:WORD_1
	v_cvt_f32_f16_e32 v6, v7
	v_cvt_f32_f16_sdwa v7, v7 dst_sel:DWORD dst_unused:UNUSED_PAD src0_sel:WORD_1
	v_lshl_add_u64 v[2:3], v[2:3], 3, v[140:141]
	v_pk_fma_f32 v[10:11], v[4:5], v[10:11], 0 op_sel_hi:[0,1,0]
	s_waitcnt lgkmcnt(0)
	v_pk_fma_f32 v[6:7], v[8:9], v[6:7], v[10:11] op_sel_hi:[0,1,1]
	v_div_scale_f32 v4, s[38:39], v5, v5, v7
	v_rcp_f32_e32 v8, v4
	s_nop 0
	v_fma_f32 v9, -v4, v8, 1.0
	v_fmac_f32_e32 v8, v9, v8
	v_div_scale_f32 v9, vcc, v7, v5, v7
	v_mul_f32_e32 v10, v9, v8
	v_fma_f32 v11, -v4, v10, v9
	v_fmac_f32_e32 v10, v11, v8
	v_fma_f32 v4, -v4, v10, v9
	v_div_fmas_f32 v4, v4, v8, v10
	v_div_fixup_f32 v7, v4, v5, v7
	v_div_scale_f32 v4, s[38:39], v5, v5, v6
	v_rcp_f32_e32 v8, v4
	s_nop 0
	v_fma_f32 v9, -v4, v8, 1.0
	v_fmac_f32_e32 v8, v9, v8
	v_div_scale_f32 v9, vcc, v6, v5, v6
	v_mul_f32_e32 v10, v9, v8
	v_fma_f32 v11, -v4, v10, v9
	v_fmac_f32_e32 v10, v11, v8
	v_fma_f32 v4, -v4, v10, v9
	v_div_fmas_f32 v4, v4, v8, v10
	v_div_fixup_f32 v6, v4, v5, v6
	global_store_dwordx2 v[2:3], v[6:7], off
	v_mov_b32_e32 v3, 0
.LBB30_472:                             ;   in Loop: Header=BB30_14 Depth=1
	s_or_b64 exec, exec, s[4:5]
	v_cmp_gt_i32_e32 vcc, s43, v3
	s_mov_b64 s[4:5], -1
	s_and_saveexec_b64 s[38:39], vcc
; %bb.473:                              ;   in Loop: Header=BB30_14 Depth=1
	v_cmp_eq_u32_e32 vcc, 0, v3
	s_orn2_b64 s[4:5], vcc, exec
; %bb.474:                              ;   in Loop: Header=BB30_14 Depth=1
	s_or_b64 exec, exec, s[38:39]
	s_and_b64 exec, exec, s[4:5]
	s_cbranch_execz .LBB30_527
; %bb.475:                              ;   in Loop: Header=BB30_14 Depth=1
	v_add_u32_e32 v2, 20, v207
	v_add_u32_e32 v2, v2, v238
	v_cmp_gt_i32_e32 vcc, s80, v2
	v_mov_b32_e32 v3, 0x47
	s_and_saveexec_b64 s[4:5], vcc
	s_cbranch_execz .LBB30_477
; %bb.476:                              ;   in Loop: Header=BB30_14 Depth=1
	scratch_load_dword v6, off, off offset:92 ; 4-byte Folded Reload
	v_readlane_b32 s38, v255, 49
	s_waitcnt vmcnt(0)
	v_add_u32_e32 v3, 0, v6
	v_add_u32_e32 v6, v198, v6
	ds_read2_b32 v[4:5], v3 offset0:64 offset1:65
	ds_read2st64_b32 v[6:7], v6 offset1:17
	ds_read_b32 v8, v3 offset:4608
	v_mad_u64_u32 v[2:3], s[38:39], v2, s38, v[94:95]
	v_ashrrev_i32_e32 v3, 31, v2
	s_waitcnt lgkmcnt(1)
	v_cvt_f32_f16_e32 v10, v6
	v_cvt_f32_f16_sdwa v11, v6 dst_sel:DWORD dst_unused:UNUSED_PAD src0_sel:WORD_1
	v_cvt_f32_f16_e32 v6, v7
	v_cvt_f32_f16_sdwa v7, v7 dst_sel:DWORD dst_unused:UNUSED_PAD src0_sel:WORD_1
	v_lshl_add_u64 v[2:3], v[2:3], 3, v[140:141]
	v_pk_fma_f32 v[10:11], v[4:5], v[10:11], 0 op_sel_hi:[0,1,0]
	s_waitcnt lgkmcnt(0)
	v_pk_fma_f32 v[6:7], v[8:9], v[6:7], v[10:11] op_sel_hi:[0,1,1]
	v_div_scale_f32 v4, s[38:39], v5, v5, v7
	v_rcp_f32_e32 v8, v4
	s_nop 0
	v_fma_f32 v9, -v4, v8, 1.0
	v_fmac_f32_e32 v8, v9, v8
	v_div_scale_f32 v9, vcc, v7, v5, v7
	v_mul_f32_e32 v10, v9, v8
	v_fma_f32 v11, -v4, v10, v9
	v_fmac_f32_e32 v10, v11, v8
	v_fma_f32 v4, -v4, v10, v9
	v_div_fmas_f32 v4, v4, v8, v10
	v_div_fixup_f32 v7, v4, v5, v7
	v_div_scale_f32 v4, s[38:39], v5, v5, v6
	v_rcp_f32_e32 v8, v4
	s_nop 0
	v_fma_f32 v9, -v4, v8, 1.0
	v_fmac_f32_e32 v8, v9, v8
	v_div_scale_f32 v9, vcc, v6, v5, v6
	v_mul_f32_e32 v10, v9, v8
	v_fma_f32 v11, -v4, v10, v9
	v_fmac_f32_e32 v10, v11, v8
	v_fma_f32 v4, -v4, v10, v9
	v_div_fmas_f32 v4, v4, v8, v10
	v_div_fixup_f32 v6, v4, v5, v6
	global_store_dwordx2 v[2:3], v[6:7], off
	v_mov_b32_e32 v3, 0
.LBB30_477:                             ;   in Loop: Header=BB30_14 Depth=1
	s_or_b64 exec, exec, s[4:5]
	v_cmp_gt_i32_e32 vcc, s43, v3
	s_mov_b64 s[4:5], -1
	s_and_saveexec_b64 s[38:39], vcc
; %bb.478:                              ;   in Loop: Header=BB30_14 Depth=1
	v_cmp_eq_u32_e32 vcc, 0, v3
	s_orn2_b64 s[4:5], vcc, exec
; %bb.479:                              ;   in Loop: Header=BB30_14 Depth=1
	s_or_b64 exec, exec, s[38:39]
	s_and_b64 exec, exec, s[4:5]
	s_cbranch_execz .LBB30_527
; %bb.480:                              ;   in Loop: Header=BB30_14 Depth=1
	v_add_u32_e32 v2, 24, v207
	v_add_u32_e32 v2, v2, v238
	v_cmp_gt_i32_e32 vcc, s80, v2
	v_mov_b32_e32 v3, 0x47
	s_and_saveexec_b64 s[4:5], vcc
	s_cbranch_execz .LBB30_482
; %bb.481:                              ;   in Loop: Header=BB30_14 Depth=1
	scratch_load_dword v6, off, off offset:96 ; 4-byte Folded Reload
	v_readlane_b32 s38, v255, 49
	s_waitcnt vmcnt(0)
	v_add_u32_e32 v3, 0, v6
	v_add_u32_e32 v6, v198, v6
	ds_read2_b32 v[4:5], v3 offset0:64 offset1:65
	ds_read2st64_b32 v[6:7], v6 offset1:17
	ds_read_b32 v8, v3 offset:4608
	v_mad_u64_u32 v[2:3], s[38:39], v2, s38, v[94:95]
	v_ashrrev_i32_e32 v3, 31, v2
	s_waitcnt lgkmcnt(1)
	v_cvt_f32_f16_e32 v10, v6
	v_cvt_f32_f16_sdwa v11, v6 dst_sel:DWORD dst_unused:UNUSED_PAD src0_sel:WORD_1
	v_cvt_f32_f16_e32 v6, v7
	v_cvt_f32_f16_sdwa v7, v7 dst_sel:DWORD dst_unused:UNUSED_PAD src0_sel:WORD_1
	v_lshl_add_u64 v[2:3], v[2:3], 3, v[140:141]
	v_pk_fma_f32 v[10:11], v[4:5], v[10:11], 0 op_sel_hi:[0,1,0]
	s_waitcnt lgkmcnt(0)
	v_pk_fma_f32 v[6:7], v[8:9], v[6:7], v[10:11] op_sel_hi:[0,1,1]
	v_div_scale_f32 v4, s[38:39], v5, v5, v7
	v_rcp_f32_e32 v8, v4
	s_nop 0
	v_fma_f32 v9, -v4, v8, 1.0
	v_fmac_f32_e32 v8, v9, v8
	v_div_scale_f32 v9, vcc, v7, v5, v7
	v_mul_f32_e32 v10, v9, v8
	v_fma_f32 v11, -v4, v10, v9
	v_fmac_f32_e32 v10, v11, v8
	v_fma_f32 v4, -v4, v10, v9
	v_div_fmas_f32 v4, v4, v8, v10
	v_div_fixup_f32 v7, v4, v5, v7
	v_div_scale_f32 v4, s[38:39], v5, v5, v6
	v_rcp_f32_e32 v8, v4
	s_nop 0
	v_fma_f32 v9, -v4, v8, 1.0
	v_fmac_f32_e32 v8, v9, v8
	v_div_scale_f32 v9, vcc, v6, v5, v6
	v_mul_f32_e32 v10, v9, v8
	v_fma_f32 v11, -v4, v10, v9
	v_fmac_f32_e32 v10, v11, v8
	v_fma_f32 v4, -v4, v10, v9
	v_div_fmas_f32 v4, v4, v8, v10
	v_div_fixup_f32 v6, v4, v5, v6
	global_store_dwordx2 v[2:3], v[6:7], off
	v_mov_b32_e32 v3, 0
.LBB30_482:                             ;   in Loop: Header=BB30_14 Depth=1
	s_or_b64 exec, exec, s[4:5]
	v_cmp_gt_i32_e32 vcc, s43, v3
	s_mov_b64 s[4:5], -1
	s_and_saveexec_b64 s[38:39], vcc
; %bb.483:                              ;   in Loop: Header=BB30_14 Depth=1
	v_cmp_eq_u32_e32 vcc, 0, v3
	s_orn2_b64 s[4:5], vcc, exec
; %bb.484:                              ;   in Loop: Header=BB30_14 Depth=1
	s_or_b64 exec, exec, s[38:39]
	s_and_b64 exec, exec, s[4:5]
	s_cbranch_execz .LBB30_527
; %bb.485:                              ;   in Loop: Header=BB30_14 Depth=1
	v_add_u32_e32 v2, 28, v207
	v_add_u32_e32 v2, v2, v238
	v_cmp_gt_i32_e32 vcc, s80, v2
	v_mov_b32_e32 v3, 0x47
	s_and_saveexec_b64 s[4:5], vcc
	s_cbranch_execz .LBB30_487
; %bb.486:                              ;   in Loop: Header=BB30_14 Depth=1
	scratch_load_dword v6, off, off offset:100 ; 4-byte Folded Reload
	v_readlane_b32 s38, v255, 49
	s_waitcnt vmcnt(0)
	v_add_u32_e32 v3, 0, v6
	v_add_u32_e32 v6, v198, v6
	ds_read2_b32 v[4:5], v3 offset0:64 offset1:65
	ds_read2st64_b32 v[6:7], v6 offset1:17
	ds_read_b32 v8, v3 offset:4608
	v_mad_u64_u32 v[2:3], s[38:39], v2, s38, v[94:95]
	v_ashrrev_i32_e32 v3, 31, v2
	s_waitcnt lgkmcnt(1)
	v_cvt_f32_f16_e32 v10, v6
	v_cvt_f32_f16_sdwa v11, v6 dst_sel:DWORD dst_unused:UNUSED_PAD src0_sel:WORD_1
	v_cvt_f32_f16_e32 v6, v7
	v_cvt_f32_f16_sdwa v7, v7 dst_sel:DWORD dst_unused:UNUSED_PAD src0_sel:WORD_1
	v_lshl_add_u64 v[2:3], v[2:3], 3, v[140:141]
	v_pk_fma_f32 v[10:11], v[4:5], v[10:11], 0 op_sel_hi:[0,1,0]
	s_waitcnt lgkmcnt(0)
	v_pk_fma_f32 v[6:7], v[8:9], v[6:7], v[10:11] op_sel_hi:[0,1,1]
	v_div_scale_f32 v4, s[38:39], v5, v5, v7
	v_rcp_f32_e32 v8, v4
	s_nop 0
	v_fma_f32 v9, -v4, v8, 1.0
	v_fmac_f32_e32 v8, v9, v8
	v_div_scale_f32 v9, vcc, v7, v5, v7
	v_mul_f32_e32 v10, v9, v8
	v_fma_f32 v11, -v4, v10, v9
	v_fmac_f32_e32 v10, v11, v8
	v_fma_f32 v4, -v4, v10, v9
	v_div_fmas_f32 v4, v4, v8, v10
	v_div_fixup_f32 v7, v4, v5, v7
	v_div_scale_f32 v4, s[38:39], v5, v5, v6
	v_rcp_f32_e32 v8, v4
	s_nop 0
	v_fma_f32 v9, -v4, v8, 1.0
	v_fmac_f32_e32 v8, v9, v8
	v_div_scale_f32 v9, vcc, v6, v5, v6
	v_mul_f32_e32 v10, v9, v8
	v_fma_f32 v11, -v4, v10, v9
	v_fmac_f32_e32 v10, v11, v8
	v_fma_f32 v4, -v4, v10, v9
	v_div_fmas_f32 v4, v4, v8, v10
	v_div_fixup_f32 v6, v4, v5, v6
	global_store_dwordx2 v[2:3], v[6:7], off
	v_mov_b32_e32 v3, 0
.LBB30_487:                             ;   in Loop: Header=BB30_14 Depth=1
	s_or_b64 exec, exec, s[4:5]
	v_cmp_gt_i32_e32 vcc, s43, v3
	s_mov_b64 s[4:5], -1
	s_and_saveexec_b64 s[38:39], vcc
; %bb.488:                              ;   in Loop: Header=BB30_14 Depth=1
	v_cmp_eq_u32_e32 vcc, 0, v3
	s_orn2_b64 s[4:5], vcc, exec
; %bb.489:                              ;   in Loop: Header=BB30_14 Depth=1
	s_or_b64 exec, exec, s[38:39]
	s_and_b64 exec, exec, s[4:5]
	s_cbranch_execz .LBB30_527
; %bb.490:                              ;   in Loop: Header=BB30_14 Depth=1
	v_add_u32_e32 v2, 32, v207
	v_add_u32_e32 v2, v2, v238
	v_cmp_gt_i32_e32 vcc, s80, v2
	v_mov_b32_e32 v3, 0x47
	s_and_saveexec_b64 s[4:5], vcc
	s_cbranch_execz .LBB30_492
; %bb.491:                              ;   in Loop: Header=BB30_14 Depth=1
	scratch_load_dword v6, off, off offset:104 ; 4-byte Folded Reload
	v_readlane_b32 s38, v255, 49
	s_waitcnt vmcnt(0)
	v_add_u32_e32 v3, 0, v6
	v_add_u32_e32 v6, v198, v6
	ds_read2_b32 v[4:5], v3 offset0:64 offset1:65
	ds_read2st64_b32 v[6:7], v6 offset1:17
	ds_read_b32 v8, v3 offset:4608
	v_mad_u64_u32 v[2:3], s[38:39], v2, s38, v[94:95]
	v_ashrrev_i32_e32 v3, 31, v2
	s_waitcnt lgkmcnt(1)
	v_cvt_f32_f16_e32 v10, v6
	v_cvt_f32_f16_sdwa v11, v6 dst_sel:DWORD dst_unused:UNUSED_PAD src0_sel:WORD_1
	v_cvt_f32_f16_e32 v6, v7
	v_cvt_f32_f16_sdwa v7, v7 dst_sel:DWORD dst_unused:UNUSED_PAD src0_sel:WORD_1
	v_lshl_add_u64 v[2:3], v[2:3], 3, v[140:141]
	v_pk_fma_f32 v[10:11], v[4:5], v[10:11], 0 op_sel_hi:[0,1,0]
	s_waitcnt lgkmcnt(0)
	v_pk_fma_f32 v[6:7], v[8:9], v[6:7], v[10:11] op_sel_hi:[0,1,1]
	v_div_scale_f32 v4, s[38:39], v5, v5, v7
	v_rcp_f32_e32 v8, v4
	s_nop 0
	v_fma_f32 v9, -v4, v8, 1.0
	v_fmac_f32_e32 v8, v9, v8
	v_div_scale_f32 v9, vcc, v7, v5, v7
	v_mul_f32_e32 v10, v9, v8
	v_fma_f32 v11, -v4, v10, v9
	v_fmac_f32_e32 v10, v11, v8
	v_fma_f32 v4, -v4, v10, v9
	v_div_fmas_f32 v4, v4, v8, v10
	v_div_fixup_f32 v7, v4, v5, v7
	v_div_scale_f32 v4, s[38:39], v5, v5, v6
	v_rcp_f32_e32 v8, v4
	s_nop 0
	v_fma_f32 v9, -v4, v8, 1.0
	v_fmac_f32_e32 v8, v9, v8
	v_div_scale_f32 v9, vcc, v6, v5, v6
	v_mul_f32_e32 v10, v9, v8
	v_fma_f32 v11, -v4, v10, v9
	v_fmac_f32_e32 v10, v11, v8
	v_fma_f32 v4, -v4, v10, v9
	v_div_fmas_f32 v4, v4, v8, v10
	v_div_fixup_f32 v6, v4, v5, v6
	global_store_dwordx2 v[2:3], v[6:7], off
	v_mov_b32_e32 v3, 0
.LBB30_492:                             ;   in Loop: Header=BB30_14 Depth=1
	s_or_b64 exec, exec, s[4:5]
	v_cmp_gt_i32_e32 vcc, s43, v3
	s_mov_b64 s[4:5], -1
	s_and_saveexec_b64 s[38:39], vcc
; %bb.493:                              ;   in Loop: Header=BB30_14 Depth=1
	v_cmp_eq_u32_e32 vcc, 0, v3
	s_orn2_b64 s[4:5], vcc, exec
; %bb.494:                              ;   in Loop: Header=BB30_14 Depth=1
	s_or_b64 exec, exec, s[38:39]
	s_and_b64 exec, exec, s[4:5]
	s_cbranch_execz .LBB30_527
; %bb.495:                              ;   in Loop: Header=BB30_14 Depth=1
	v_add_u32_e32 v2, 36, v207
	v_add_u32_e32 v2, v2, v238
	v_cmp_gt_i32_e32 vcc, s80, v2
	v_mov_b32_e32 v3, 0x47
	s_and_saveexec_b64 s[4:5], vcc
	s_cbranch_execz .LBB30_497
; %bb.496:                              ;   in Loop: Header=BB30_14 Depth=1
	scratch_load_dword v6, off, off offset:108 ; 4-byte Folded Reload
	v_readlane_b32 s38, v255, 49
	s_waitcnt vmcnt(0)
	v_add_u32_e32 v3, 0, v6
	v_add_u32_e32 v6, v198, v6
	ds_read2_b32 v[4:5], v3 offset0:64 offset1:65
	ds_read2st64_b32 v[6:7], v6 offset1:17
	ds_read_b32 v8, v3 offset:4608
	v_mad_u64_u32 v[2:3], s[38:39], v2, s38, v[94:95]
	v_ashrrev_i32_e32 v3, 31, v2
	s_waitcnt lgkmcnt(1)
	v_cvt_f32_f16_e32 v10, v6
	v_cvt_f32_f16_sdwa v11, v6 dst_sel:DWORD dst_unused:UNUSED_PAD src0_sel:WORD_1
	v_cvt_f32_f16_e32 v6, v7
	v_cvt_f32_f16_sdwa v7, v7 dst_sel:DWORD dst_unused:UNUSED_PAD src0_sel:WORD_1
	v_lshl_add_u64 v[2:3], v[2:3], 3, v[140:141]
	v_pk_fma_f32 v[10:11], v[4:5], v[10:11], 0 op_sel_hi:[0,1,0]
	s_waitcnt lgkmcnt(0)
	v_pk_fma_f32 v[6:7], v[8:9], v[6:7], v[10:11] op_sel_hi:[0,1,1]
	v_div_scale_f32 v4, s[38:39], v5, v5, v7
	v_rcp_f32_e32 v8, v4
	s_nop 0
	v_fma_f32 v9, -v4, v8, 1.0
	v_fmac_f32_e32 v8, v9, v8
	v_div_scale_f32 v9, vcc, v7, v5, v7
	v_mul_f32_e32 v10, v9, v8
	v_fma_f32 v11, -v4, v10, v9
	v_fmac_f32_e32 v10, v11, v8
	v_fma_f32 v4, -v4, v10, v9
	v_div_fmas_f32 v4, v4, v8, v10
	v_div_fixup_f32 v7, v4, v5, v7
	v_div_scale_f32 v4, s[38:39], v5, v5, v6
	v_rcp_f32_e32 v8, v4
	s_nop 0
	v_fma_f32 v9, -v4, v8, 1.0
	v_fmac_f32_e32 v8, v9, v8
	v_div_scale_f32 v9, vcc, v6, v5, v6
	v_mul_f32_e32 v10, v9, v8
	v_fma_f32 v11, -v4, v10, v9
	v_fmac_f32_e32 v10, v11, v8
	v_fma_f32 v4, -v4, v10, v9
	v_div_fmas_f32 v4, v4, v8, v10
	v_div_fixup_f32 v6, v4, v5, v6
	global_store_dwordx2 v[2:3], v[6:7], off
	v_mov_b32_e32 v3, 0
.LBB30_497:                             ;   in Loop: Header=BB30_14 Depth=1
	s_or_b64 exec, exec, s[4:5]
	v_cmp_gt_i32_e32 vcc, s43, v3
	s_mov_b64 s[4:5], -1
	s_and_saveexec_b64 s[38:39], vcc
; %bb.498:                              ;   in Loop: Header=BB30_14 Depth=1
	v_cmp_eq_u32_e32 vcc, 0, v3
	s_orn2_b64 s[4:5], vcc, exec
; %bb.499:                              ;   in Loop: Header=BB30_14 Depth=1
	s_or_b64 exec, exec, s[38:39]
	s_and_b64 exec, exec, s[4:5]
	s_cbranch_execz .LBB30_527
; %bb.500:                              ;   in Loop: Header=BB30_14 Depth=1
	v_add_u32_e32 v2, 40, v207
	v_add_u32_e32 v2, v2, v238
	v_cmp_gt_i32_e32 vcc, s80, v2
	v_mov_b32_e32 v3, 0x47
	s_and_saveexec_b64 s[4:5], vcc
	s_cbranch_execz .LBB30_502
; %bb.501:                              ;   in Loop: Header=BB30_14 Depth=1
	scratch_load_dword v6, off, off offset:112 ; 4-byte Folded Reload
	v_readlane_b32 s38, v255, 49
	s_waitcnt vmcnt(0)
	v_add_u32_e32 v3, 0, v6
	v_add_u32_e32 v6, v198, v6
	ds_read2_b32 v[4:5], v3 offset0:64 offset1:65
	ds_read2st64_b32 v[6:7], v6 offset1:17
	ds_read_b32 v8, v3 offset:4608
	v_mad_u64_u32 v[2:3], s[38:39], v2, s38, v[94:95]
	v_ashrrev_i32_e32 v3, 31, v2
	s_waitcnt lgkmcnt(1)
	v_cvt_f32_f16_e32 v10, v6
	v_cvt_f32_f16_sdwa v11, v6 dst_sel:DWORD dst_unused:UNUSED_PAD src0_sel:WORD_1
	v_cvt_f32_f16_e32 v6, v7
	v_cvt_f32_f16_sdwa v7, v7 dst_sel:DWORD dst_unused:UNUSED_PAD src0_sel:WORD_1
	v_lshl_add_u64 v[2:3], v[2:3], 3, v[140:141]
	v_pk_fma_f32 v[10:11], v[4:5], v[10:11], 0 op_sel_hi:[0,1,0]
	s_waitcnt lgkmcnt(0)
	v_pk_fma_f32 v[6:7], v[8:9], v[6:7], v[10:11] op_sel_hi:[0,1,1]
	v_div_scale_f32 v4, s[38:39], v5, v5, v7
	v_rcp_f32_e32 v8, v4
	s_nop 0
	v_fma_f32 v9, -v4, v8, 1.0
	v_fmac_f32_e32 v8, v9, v8
	v_div_scale_f32 v9, vcc, v7, v5, v7
	v_mul_f32_e32 v10, v9, v8
	v_fma_f32 v11, -v4, v10, v9
	v_fmac_f32_e32 v10, v11, v8
	v_fma_f32 v4, -v4, v10, v9
	v_div_fmas_f32 v4, v4, v8, v10
	v_div_fixup_f32 v7, v4, v5, v7
	v_div_scale_f32 v4, s[38:39], v5, v5, v6
	v_rcp_f32_e32 v8, v4
	s_nop 0
	v_fma_f32 v9, -v4, v8, 1.0
	v_fmac_f32_e32 v8, v9, v8
	v_div_scale_f32 v9, vcc, v6, v5, v6
	v_mul_f32_e32 v10, v9, v8
	v_fma_f32 v11, -v4, v10, v9
	v_fmac_f32_e32 v10, v11, v8
	v_fma_f32 v4, -v4, v10, v9
	v_div_fmas_f32 v4, v4, v8, v10
	v_div_fixup_f32 v6, v4, v5, v6
	global_store_dwordx2 v[2:3], v[6:7], off
	v_mov_b32_e32 v3, 0
.LBB30_502:                             ;   in Loop: Header=BB30_14 Depth=1
	s_or_b64 exec, exec, s[4:5]
	v_cmp_gt_i32_e32 vcc, s43, v3
	s_mov_b64 s[4:5], -1
	s_and_saveexec_b64 s[38:39], vcc
; %bb.503:                              ;   in Loop: Header=BB30_14 Depth=1
	v_cmp_eq_u32_e32 vcc, 0, v3
	s_orn2_b64 s[4:5], vcc, exec
; %bb.504:                              ;   in Loop: Header=BB30_14 Depth=1
	s_or_b64 exec, exec, s[38:39]
	s_and_b64 exec, exec, s[4:5]
	s_cbranch_execz .LBB30_527
; %bb.505:                              ;   in Loop: Header=BB30_14 Depth=1
	v_add_u32_e32 v2, 44, v207
	v_add_u32_e32 v2, v2, v238
	v_cmp_gt_i32_e32 vcc, s80, v2
	v_mov_b32_e32 v3, 0x47
	s_and_saveexec_b64 s[4:5], vcc
	s_cbranch_execz .LBB30_507
; %bb.506:                              ;   in Loop: Header=BB30_14 Depth=1
	scratch_load_dword v6, off, off offset:116 ; 4-byte Folded Reload
	v_readlane_b32 s38, v255, 49
	s_waitcnt vmcnt(0)
	v_add_u32_e32 v3, 0, v6
	v_add_u32_e32 v6, v198, v6
	ds_read2_b32 v[4:5], v3 offset0:64 offset1:65
	ds_read2st64_b32 v[6:7], v6 offset1:17
	ds_read_b32 v8, v3 offset:4608
	v_mad_u64_u32 v[2:3], s[38:39], v2, s38, v[94:95]
	v_ashrrev_i32_e32 v3, 31, v2
	s_waitcnt lgkmcnt(1)
	v_cvt_f32_f16_e32 v10, v6
	v_cvt_f32_f16_sdwa v11, v6 dst_sel:DWORD dst_unused:UNUSED_PAD src0_sel:WORD_1
	v_cvt_f32_f16_e32 v6, v7
	v_cvt_f32_f16_sdwa v7, v7 dst_sel:DWORD dst_unused:UNUSED_PAD src0_sel:WORD_1
	v_lshl_add_u64 v[2:3], v[2:3], 3, v[140:141]
	v_pk_fma_f32 v[10:11], v[4:5], v[10:11], 0 op_sel_hi:[0,1,0]
	s_waitcnt lgkmcnt(0)
	v_pk_fma_f32 v[6:7], v[8:9], v[6:7], v[10:11] op_sel_hi:[0,1,1]
	v_div_scale_f32 v4, s[38:39], v5, v5, v7
	v_rcp_f32_e32 v8, v4
	s_nop 0
	v_fma_f32 v9, -v4, v8, 1.0
	v_fmac_f32_e32 v8, v9, v8
	v_div_scale_f32 v9, vcc, v7, v5, v7
	v_mul_f32_e32 v10, v9, v8
	v_fma_f32 v11, -v4, v10, v9
	v_fmac_f32_e32 v10, v11, v8
	v_fma_f32 v4, -v4, v10, v9
	v_div_fmas_f32 v4, v4, v8, v10
	v_div_fixup_f32 v7, v4, v5, v7
	v_div_scale_f32 v4, s[38:39], v5, v5, v6
	v_rcp_f32_e32 v8, v4
	s_nop 0
	v_fma_f32 v9, -v4, v8, 1.0
	v_fmac_f32_e32 v8, v9, v8
	v_div_scale_f32 v9, vcc, v6, v5, v6
	v_mul_f32_e32 v10, v9, v8
	v_fma_f32 v11, -v4, v10, v9
	v_fmac_f32_e32 v10, v11, v8
	v_fma_f32 v4, -v4, v10, v9
	v_div_fmas_f32 v4, v4, v8, v10
	v_div_fixup_f32 v6, v4, v5, v6
	global_store_dwordx2 v[2:3], v[6:7], off
	v_mov_b32_e32 v3, 0
.LBB30_507:                             ;   in Loop: Header=BB30_14 Depth=1
	s_or_b64 exec, exec, s[4:5]
	v_cmp_gt_i32_e32 vcc, s43, v3
	s_mov_b64 s[4:5], -1
	s_and_saveexec_b64 s[38:39], vcc
; %bb.508:                              ;   in Loop: Header=BB30_14 Depth=1
	v_cmp_eq_u32_e32 vcc, 0, v3
	s_orn2_b64 s[4:5], vcc, exec
; %bb.509:                              ;   in Loop: Header=BB30_14 Depth=1
	s_or_b64 exec, exec, s[38:39]
	s_and_b64 exec, exec, s[4:5]
	s_cbranch_execz .LBB30_527
; %bb.510:                              ;   in Loop: Header=BB30_14 Depth=1
	v_add_u32_e32 v2, 48, v207
	v_add_u32_e32 v2, v2, v238
	v_cmp_gt_i32_e32 vcc, s80, v2
	v_mov_b32_e32 v3, 0x47
	s_and_saveexec_b64 s[4:5], vcc
	s_cbranch_execz .LBB30_512
; %bb.511:                              ;   in Loop: Header=BB30_14 Depth=1
	scratch_load_dword v6, off, off offset:120 ; 4-byte Folded Reload
	v_readlane_b32 s38, v255, 49
	s_waitcnt vmcnt(0)
	v_add_u32_e32 v3, 0, v6
	v_add_u32_e32 v6, v198, v6
	ds_read2_b32 v[4:5], v3 offset0:64 offset1:65
	ds_read2st64_b32 v[6:7], v6 offset1:17
	ds_read_b32 v8, v3 offset:4608
	v_mad_u64_u32 v[2:3], s[38:39], v2, s38, v[94:95]
	v_ashrrev_i32_e32 v3, 31, v2
	s_waitcnt lgkmcnt(1)
	v_cvt_f32_f16_e32 v10, v6
	v_cvt_f32_f16_sdwa v11, v6 dst_sel:DWORD dst_unused:UNUSED_PAD src0_sel:WORD_1
	v_cvt_f32_f16_e32 v6, v7
	v_cvt_f32_f16_sdwa v7, v7 dst_sel:DWORD dst_unused:UNUSED_PAD src0_sel:WORD_1
	v_lshl_add_u64 v[2:3], v[2:3], 3, v[140:141]
	v_pk_fma_f32 v[10:11], v[4:5], v[10:11], 0 op_sel_hi:[0,1,0]
	s_waitcnt lgkmcnt(0)
	v_pk_fma_f32 v[6:7], v[8:9], v[6:7], v[10:11] op_sel_hi:[0,1,1]
	v_div_scale_f32 v4, s[38:39], v5, v5, v7
	v_rcp_f32_e32 v8, v4
	s_nop 0
	v_fma_f32 v9, -v4, v8, 1.0
	v_fmac_f32_e32 v8, v9, v8
	v_div_scale_f32 v9, vcc, v7, v5, v7
	v_mul_f32_e32 v10, v9, v8
	v_fma_f32 v11, -v4, v10, v9
	v_fmac_f32_e32 v10, v11, v8
	v_fma_f32 v4, -v4, v10, v9
	v_div_fmas_f32 v4, v4, v8, v10
	v_div_fixup_f32 v7, v4, v5, v7
	v_div_scale_f32 v4, s[38:39], v5, v5, v6
	v_rcp_f32_e32 v8, v4
	s_nop 0
	v_fma_f32 v9, -v4, v8, 1.0
	v_fmac_f32_e32 v8, v9, v8
	v_div_scale_f32 v9, vcc, v6, v5, v6
	v_mul_f32_e32 v10, v9, v8
	v_fma_f32 v11, -v4, v10, v9
	v_fmac_f32_e32 v10, v11, v8
	v_fma_f32 v4, -v4, v10, v9
	v_div_fmas_f32 v4, v4, v8, v10
	v_div_fixup_f32 v6, v4, v5, v6
	global_store_dwordx2 v[2:3], v[6:7], off
	v_mov_b32_e32 v3, 0
.LBB30_512:                             ;   in Loop: Header=BB30_14 Depth=1
	s_or_b64 exec, exec, s[4:5]
	v_cmp_gt_i32_e32 vcc, s43, v3
	s_mov_b64 s[4:5], -1
	s_and_saveexec_b64 s[38:39], vcc
; %bb.513:                              ;   in Loop: Header=BB30_14 Depth=1
	v_cmp_eq_u32_e32 vcc, 0, v3
	s_orn2_b64 s[4:5], vcc, exec
; %bb.514:                              ;   in Loop: Header=BB30_14 Depth=1
	s_or_b64 exec, exec, s[38:39]
	s_and_b64 exec, exec, s[4:5]
	s_cbranch_execz .LBB30_527
; %bb.515:                              ;   in Loop: Header=BB30_14 Depth=1
	v_add_u32_e32 v2, 52, v207
	v_add_u32_e32 v2, v2, v238
	v_cmp_gt_i32_e32 vcc, s80, v2
	v_mov_b32_e32 v3, 0x47
	s_and_saveexec_b64 s[4:5], vcc
	s_cbranch_execz .LBB30_517
; %bb.516:                              ;   in Loop: Header=BB30_14 Depth=1
	scratch_load_dword v6, off, off offset:124 ; 4-byte Folded Reload
	v_readlane_b32 s38, v255, 49
	s_waitcnt vmcnt(0)
	v_add_u32_e32 v3, 0, v6
	v_add_u32_e32 v6, v198, v6
	ds_read2_b32 v[4:5], v3 offset0:64 offset1:65
	ds_read2st64_b32 v[6:7], v6 offset1:17
	ds_read_b32 v8, v3 offset:4608
	v_mad_u64_u32 v[2:3], s[38:39], v2, s38, v[94:95]
	v_ashrrev_i32_e32 v3, 31, v2
	s_waitcnt lgkmcnt(1)
	v_cvt_f32_f16_e32 v10, v6
	v_cvt_f32_f16_sdwa v11, v6 dst_sel:DWORD dst_unused:UNUSED_PAD src0_sel:WORD_1
	v_cvt_f32_f16_e32 v6, v7
	v_cvt_f32_f16_sdwa v7, v7 dst_sel:DWORD dst_unused:UNUSED_PAD src0_sel:WORD_1
	v_lshl_add_u64 v[2:3], v[2:3], 3, v[140:141]
	v_pk_fma_f32 v[10:11], v[4:5], v[10:11], 0 op_sel_hi:[0,1,0]
	s_waitcnt lgkmcnt(0)
	v_pk_fma_f32 v[6:7], v[8:9], v[6:7], v[10:11] op_sel_hi:[0,1,1]
	v_div_scale_f32 v4, s[38:39], v5, v5, v7
	v_rcp_f32_e32 v8, v4
	s_nop 0
	v_fma_f32 v9, -v4, v8, 1.0
	v_fmac_f32_e32 v8, v9, v8
	v_div_scale_f32 v9, vcc, v7, v5, v7
	v_mul_f32_e32 v10, v9, v8
	v_fma_f32 v11, -v4, v10, v9
	v_fmac_f32_e32 v10, v11, v8
	v_fma_f32 v4, -v4, v10, v9
	v_div_fmas_f32 v4, v4, v8, v10
	v_div_fixup_f32 v7, v4, v5, v7
	v_div_scale_f32 v4, s[38:39], v5, v5, v6
	v_rcp_f32_e32 v8, v4
	s_nop 0
	v_fma_f32 v9, -v4, v8, 1.0
	v_fmac_f32_e32 v8, v9, v8
	v_div_scale_f32 v9, vcc, v6, v5, v6
	v_mul_f32_e32 v10, v9, v8
	v_fma_f32 v11, -v4, v10, v9
	v_fmac_f32_e32 v10, v11, v8
	v_fma_f32 v4, -v4, v10, v9
	v_div_fmas_f32 v4, v4, v8, v10
	v_div_fixup_f32 v6, v4, v5, v6
	global_store_dwordx2 v[2:3], v[6:7], off
	v_mov_b32_e32 v3, 0
.LBB30_517:                             ;   in Loop: Header=BB30_14 Depth=1
	s_or_b64 exec, exec, s[4:5]
	v_cmp_gt_i32_e32 vcc, s43, v3
	s_mov_b64 s[4:5], -1
	s_and_saveexec_b64 s[38:39], vcc
; %bb.518:                              ;   in Loop: Header=BB30_14 Depth=1
	v_cmp_eq_u32_e32 vcc, 0, v3
	s_orn2_b64 s[4:5], vcc, exec
; %bb.519:                              ;   in Loop: Header=BB30_14 Depth=1
	s_or_b64 exec, exec, s[38:39]
	s_and_b64 exec, exec, s[4:5]
	s_cbranch_execz .LBB30_527
; %bb.520:                              ;   in Loop: Header=BB30_14 Depth=1
	v_add_u32_e32 v2, 56, v207
	v_add_u32_e32 v2, v2, v238
	v_cmp_gt_i32_e32 vcc, s80, v2
	v_mov_b32_e32 v3, 0x47
	s_and_saveexec_b64 s[4:5], vcc
	s_cbranch_execz .LBB30_522
; %bb.521:                              ;   in Loop: Header=BB30_14 Depth=1
	scratch_load_dword v6, off, off offset:128 ; 4-byte Folded Reload
	v_readlane_b32 s38, v255, 49
	s_waitcnt vmcnt(0)
	v_add_u32_e32 v3, 0, v6
	v_add_u32_e32 v6, v198, v6
	ds_read2_b32 v[4:5], v3 offset0:64 offset1:65
	ds_read2st64_b32 v[6:7], v6 offset1:17
	ds_read_b32 v8, v3 offset:4608
	v_mad_u64_u32 v[2:3], s[38:39], v2, s38, v[94:95]
	v_ashrrev_i32_e32 v3, 31, v2
	s_waitcnt lgkmcnt(1)
	v_cvt_f32_f16_e32 v10, v6
	v_cvt_f32_f16_sdwa v11, v6 dst_sel:DWORD dst_unused:UNUSED_PAD src0_sel:WORD_1
	v_cvt_f32_f16_e32 v6, v7
	v_cvt_f32_f16_sdwa v7, v7 dst_sel:DWORD dst_unused:UNUSED_PAD src0_sel:WORD_1
	v_lshl_add_u64 v[2:3], v[2:3], 3, v[140:141]
	v_pk_fma_f32 v[10:11], v[4:5], v[10:11], 0 op_sel_hi:[0,1,0]
	s_waitcnt lgkmcnt(0)
	v_pk_fma_f32 v[6:7], v[8:9], v[6:7], v[10:11] op_sel_hi:[0,1,1]
	v_div_scale_f32 v4, s[38:39], v5, v5, v7
	v_rcp_f32_e32 v8, v4
	s_nop 0
	v_fma_f32 v9, -v4, v8, 1.0
	v_fmac_f32_e32 v8, v9, v8
	v_div_scale_f32 v9, vcc, v7, v5, v7
	v_mul_f32_e32 v10, v9, v8
	v_fma_f32 v11, -v4, v10, v9
	v_fmac_f32_e32 v10, v11, v8
	v_fma_f32 v4, -v4, v10, v9
	v_div_fmas_f32 v4, v4, v8, v10
	v_div_fixup_f32 v7, v4, v5, v7
	v_div_scale_f32 v4, s[38:39], v5, v5, v6
	v_rcp_f32_e32 v8, v4
	s_nop 0
	v_fma_f32 v9, -v4, v8, 1.0
	v_fmac_f32_e32 v8, v9, v8
	v_div_scale_f32 v9, vcc, v6, v5, v6
	v_mul_f32_e32 v10, v9, v8
	v_fma_f32 v11, -v4, v10, v9
	v_fmac_f32_e32 v10, v11, v8
	v_fma_f32 v4, -v4, v10, v9
	v_div_fmas_f32 v4, v4, v8, v10
	v_div_fixup_f32 v6, v4, v5, v6
	global_store_dwordx2 v[2:3], v[6:7], off
	v_mov_b32_e32 v3, 0
.LBB30_522:                             ;   in Loop: Header=BB30_14 Depth=1
	s_or_b64 exec, exec, s[4:5]
	v_cmp_gt_i32_e32 vcc, s43, v3
	s_mov_b64 s[4:5], -1
	s_and_saveexec_b64 s[38:39], vcc
; %bb.523:                              ;   in Loop: Header=BB30_14 Depth=1
	v_cmp_eq_u32_e32 vcc, 0, v3
	s_orn2_b64 s[4:5], vcc, exec
; %bb.524:                              ;   in Loop: Header=BB30_14 Depth=1
	s_or_b64 exec, exec, s[38:39]
	s_and_b64 exec, exec, s[4:5]
	s_cbranch_execz .LBB30_527
; %bb.525:                              ;   in Loop: Header=BB30_14 Depth=1
	v_add_u32_e32 v2, 60, v207
	v_add_u32_e32 v2, v2, v238
	v_cmp_gt_i32_e32 vcc, s80, v2
	s_and_b64 exec, exec, vcc
	s_cbranch_execz .LBB30_527
; %bb.526:                              ;   in Loop: Header=BB30_14 Depth=1
	scratch_load_dword v6, off, off offset:132 ; 4-byte Folded Reload
	v_readlane_b32 s4, v255, 49
	s_waitcnt vmcnt(0)
	v_add_u32_e32 v3, 0, v6
	v_add_u32_e32 v6, v198, v6
	ds_read2_b32 v[4:5], v3 offset0:64 offset1:65
	ds_read2st64_b32 v[6:7], v6 offset1:17
	ds_read_b32 v8, v3 offset:4608
	v_mad_u64_u32 v[2:3], s[4:5], v2, s4, v[94:95]
	v_ashrrev_i32_e32 v3, 31, v2
	s_waitcnt lgkmcnt(1)
	v_cvt_f32_f16_e32 v10, v6
	v_cvt_f32_f16_sdwa v11, v6 dst_sel:DWORD dst_unused:UNUSED_PAD src0_sel:WORD_1
	v_cvt_f32_f16_e32 v6, v7
	v_cvt_f32_f16_sdwa v7, v7 dst_sel:DWORD dst_unused:UNUSED_PAD src0_sel:WORD_1
	v_lshl_add_u64 v[2:3], v[2:3], 3, v[140:141]
	v_pk_fma_f32 v[10:11], v[4:5], v[10:11], 0 op_sel_hi:[0,1,0]
	s_waitcnt lgkmcnt(0)
	v_pk_fma_f32 v[6:7], v[8:9], v[6:7], v[10:11] op_sel_hi:[0,1,1]
	v_div_scale_f32 v4, s[4:5], v5, v5, v7
	v_rcp_f32_e32 v8, v4
	s_nop 0
	v_fma_f32 v9, -v4, v8, 1.0
	v_fmac_f32_e32 v8, v9, v8
	v_div_scale_f32 v9, vcc, v7, v5, v7
	v_mul_f32_e32 v10, v9, v8
	v_fma_f32 v11, -v4, v10, v9
	v_fmac_f32_e32 v10, v11, v8
	v_fma_f32 v4, -v4, v10, v9
	v_div_fmas_f32 v4, v4, v8, v10
	v_div_fixup_f32 v7, v4, v5, v7
	v_div_scale_f32 v4, s[4:5], v5, v5, v6
	v_rcp_f32_e32 v8, v4
	s_nop 0
	v_fma_f32 v9, -v4, v8, 1.0
	v_fmac_f32_e32 v8, v9, v8
	v_div_scale_f32 v9, vcc, v6, v5, v6
	v_mul_f32_e32 v10, v9, v8
	v_fma_f32 v11, -v4, v10, v9
	v_fmac_f32_e32 v10, v11, v8
	v_fma_f32 v4, -v4, v10, v9
	v_div_fmas_f32 v4, v4, v8, v10
	v_div_fixup_f32 v6, v4, v5, v6
	global_store_dwordx2 v[2:3], v[6:7], off
.LBB30_527:                             ;   in Loop: Header=BB30_14 Depth=1
	s_or_b64 exec, exec, s[36:37]
	s_barrier
	ds_write2_b32 v206, v72, v1 offset1:1
	ds_write2_b32 v206, v71, v44 offset0:8 offset1:9
	ds_write2_b32 v206, v43, v45 offset0:16 offset1:17
	;; [unrolled: 1-line block ×7, first 2 shown]
	s_waitcnt lgkmcnt(0)
	s_barrier
	s_and_saveexec_b64 s[36:37], s[44:45]
	s_cbranch_execz .LBB30_12
; %bb.528:                              ;   in Loop: Header=BB30_14 Depth=1
	v_add_u32_e32 v1, v207, v238
	v_cmp_gt_i32_e32 vcc, s80, v1
	v_mov_b32_e32 v2, 0x47
	s_and_saveexec_b64 s[4:5], vcc
	s_cbranch_execz .LBB30_530
; %bb.529:                              ;   in Loop: Header=BB30_14 Depth=1
	v_add_u32_e32 v6, 0, v233
	v_add_u32_e32 v4, v198, v233
	ds_read2_b32 v[2:3], v6 offset0:64 offset1:65
	ds_read2st64_b32 v[4:5], v4 offset1:17
	ds_read_b32 v6, v6 offset:4608
	v_readlane_b32 s38, v255, 49
	s_waitcnt lgkmcnt(1)
	v_cvt_f32_f16_e32 v10, v4
	v_cvt_f32_f16_sdwa v11, v4 dst_sel:DWORD dst_unused:UNUSED_PAD src0_sel:WORD_1
	v_cvt_f32_f16_e32 v4, v5
	v_cvt_f32_f16_sdwa v5, v5 dst_sel:DWORD dst_unused:UNUSED_PAD src0_sel:WORD_1
	v_mad_u64_u32 v[8:9], s[38:39], v1, s38, v[122:123]
	v_pk_fma_f32 v[10:11], v[2:3], v[10:11], 0 op_sel_hi:[0,1,0]
	s_waitcnt lgkmcnt(0)
	v_pk_fma_f32 v[4:5], v[6:7], v[4:5], v[10:11] op_sel_hi:[0,1,1]
	v_div_scale_f32 v1, s[38:39], v3, v3, v5
	v_rcp_f32_e32 v2, v1
	v_ashrrev_i32_e32 v9, 31, v8
	v_lshl_add_u64 v[8:9], v[8:9], 3, v[140:141]
	v_fma_f32 v6, -v1, v2, 1.0
	v_fmac_f32_e32 v2, v6, v2
	v_div_scale_f32 v6, vcc, v5, v3, v5
	v_mul_f32_e32 v7, v6, v2
	v_fma_f32 v10, -v1, v7, v6
	v_fmac_f32_e32 v7, v10, v2
	v_fma_f32 v1, -v1, v7, v6
	v_div_fmas_f32 v1, v1, v2, v7
	v_div_fixup_f32 v5, v1, v3, v5
	v_div_scale_f32 v1, s[38:39], v3, v3, v4
	v_rcp_f32_e32 v2, v1
	s_nop 0
	v_fma_f32 v6, -v1, v2, 1.0
	v_fmac_f32_e32 v2, v6, v2
	v_div_scale_f32 v6, vcc, v4, v3, v4
	v_mul_f32_e32 v7, v6, v2
	v_fma_f32 v10, -v1, v7, v6
	v_fmac_f32_e32 v7, v10, v2
	v_fma_f32 v1, -v1, v7, v6
	v_div_fmas_f32 v1, v1, v2, v7
	v_div_fixup_f32 v4, v1, v3, v4
	v_mov_b32_e32 v2, 0
	global_store_dwordx2 v[8:9], v[4:5], off
.LBB30_530:                             ;   in Loop: Header=BB30_14 Depth=1
	s_or_b64 exec, exec, s[4:5]
	v_cmp_gt_i32_e32 vcc, s43, v2
	s_mov_b64 s[4:5], -1
	s_and_saveexec_b64 s[38:39], vcc
; %bb.531:                              ;   in Loop: Header=BB30_14 Depth=1
	v_cmp_eq_u32_e32 vcc, 0, v2
	s_orn2_b64 s[4:5], vcc, exec
; %bb.532:                              ;   in Loop: Header=BB30_14 Depth=1
	s_or_b64 exec, exec, s[38:39]
	s_and_b64 exec, exec, s[4:5]
	s_cbranch_execz .LBB30_12
; %bb.533:                              ;   in Loop: Header=BB30_14 Depth=1
	v_add_u32_e32 v1, v208, v238
	v_cmp_gt_i32_e32 vcc, s80, v1
	v_mov_b32_e32 v2, 0x47
	s_and_saveexec_b64 s[4:5], vcc
	s_cbranch_execz .LBB30_535
; %bb.534:                              ;   in Loop: Header=BB30_14 Depth=1
	v_add_u32_e32 v6, 0, v234
	v_add_u32_e32 v4, v198, v234
	ds_read2_b32 v[2:3], v6 offset0:64 offset1:65
	ds_read2st64_b32 v[4:5], v4 offset1:17
	ds_read_b32 v6, v6 offset:4608
	v_readlane_b32 s38, v255, 49
	s_waitcnt lgkmcnt(1)
	v_cvt_f32_f16_e32 v10, v4
	v_cvt_f32_f16_sdwa v11, v4 dst_sel:DWORD dst_unused:UNUSED_PAD src0_sel:WORD_1
	v_cvt_f32_f16_e32 v4, v5
	v_cvt_f32_f16_sdwa v5, v5 dst_sel:DWORD dst_unused:UNUSED_PAD src0_sel:WORD_1
	v_mad_u64_u32 v[8:9], s[38:39], v1, s38, v[122:123]
	v_pk_fma_f32 v[10:11], v[2:3], v[10:11], 0 op_sel_hi:[0,1,0]
	s_waitcnt lgkmcnt(0)
	v_pk_fma_f32 v[4:5], v[6:7], v[4:5], v[10:11] op_sel_hi:[0,1,1]
	v_div_scale_f32 v1, s[38:39], v3, v3, v5
	v_rcp_f32_e32 v2, v1
	v_ashrrev_i32_e32 v9, 31, v8
	v_lshl_add_u64 v[8:9], v[8:9], 3, v[140:141]
	v_fma_f32 v6, -v1, v2, 1.0
	v_fmac_f32_e32 v2, v6, v2
	v_div_scale_f32 v6, vcc, v5, v3, v5
	v_mul_f32_e32 v7, v6, v2
	v_fma_f32 v10, -v1, v7, v6
	v_fmac_f32_e32 v7, v10, v2
	v_fma_f32 v1, -v1, v7, v6
	v_div_fmas_f32 v1, v1, v2, v7
	v_div_fixup_f32 v5, v1, v3, v5
	v_div_scale_f32 v1, s[38:39], v3, v3, v4
	v_rcp_f32_e32 v2, v1
	s_nop 0
	v_fma_f32 v6, -v1, v2, 1.0
	v_fmac_f32_e32 v2, v6, v2
	v_div_scale_f32 v6, vcc, v4, v3, v4
	v_mul_f32_e32 v7, v6, v2
	v_fma_f32 v10, -v1, v7, v6
	v_fmac_f32_e32 v7, v10, v2
	v_fma_f32 v1, -v1, v7, v6
	v_div_fmas_f32 v1, v1, v2, v7
	v_div_fixup_f32 v4, v1, v3, v4
	v_mov_b32_e32 v2, 0
	global_store_dwordx2 v[8:9], v[4:5], off
.LBB30_535:                             ;   in Loop: Header=BB30_14 Depth=1
	s_or_b64 exec, exec, s[4:5]
	v_cmp_gt_i32_e32 vcc, s43, v2
	s_mov_b64 s[4:5], -1
	s_and_saveexec_b64 s[38:39], vcc
; %bb.536:                              ;   in Loop: Header=BB30_14 Depth=1
	v_cmp_eq_u32_e32 vcc, 0, v2
	s_orn2_b64 s[4:5], vcc, exec
; %bb.537:                              ;   in Loop: Header=BB30_14 Depth=1
	s_or_b64 exec, exec, s[38:39]
	s_and_b64 exec, exec, s[4:5]
	s_cbranch_execz .LBB30_12
; %bb.538:                              ;   in Loop: Header=BB30_14 Depth=1
	v_add_u32_e32 v1, 8, v207
	v_add_u32_e32 v1, v1, v238
	v_cmp_gt_i32_e32 vcc, s80, v1
	v_mov_b32_e32 v2, 0x47
	s_and_saveexec_b64 s[4:5], vcc
	s_cbranch_execz .LBB30_540
; %bb.539:                              ;   in Loop: Header=BB30_14 Depth=1
	v_add_u32_e32 v6, 0, v235
	v_add_u32_e32 v4, v198, v235
	ds_read2_b32 v[2:3], v6 offset0:64 offset1:65
	ds_read2st64_b32 v[4:5], v4 offset1:17
	ds_read_b32 v6, v6 offset:4608
	v_readlane_b32 s38, v255, 49
	s_waitcnt lgkmcnt(1)
	v_cvt_f32_f16_e32 v10, v4
	v_cvt_f32_f16_sdwa v11, v4 dst_sel:DWORD dst_unused:UNUSED_PAD src0_sel:WORD_1
	v_cvt_f32_f16_e32 v4, v5
	v_cvt_f32_f16_sdwa v5, v5 dst_sel:DWORD dst_unused:UNUSED_PAD src0_sel:WORD_1
	v_mad_u64_u32 v[8:9], s[38:39], v1, s38, v[122:123]
	v_pk_fma_f32 v[10:11], v[2:3], v[10:11], 0 op_sel_hi:[0,1,0]
	s_waitcnt lgkmcnt(0)
	v_pk_fma_f32 v[4:5], v[6:7], v[4:5], v[10:11] op_sel_hi:[0,1,1]
	v_div_scale_f32 v1, s[38:39], v3, v3, v5
	v_rcp_f32_e32 v2, v1
	v_ashrrev_i32_e32 v9, 31, v8
	v_lshl_add_u64 v[8:9], v[8:9], 3, v[140:141]
	v_fma_f32 v6, -v1, v2, 1.0
	v_fmac_f32_e32 v2, v6, v2
	v_div_scale_f32 v6, vcc, v5, v3, v5
	v_mul_f32_e32 v7, v6, v2
	v_fma_f32 v10, -v1, v7, v6
	v_fmac_f32_e32 v7, v10, v2
	v_fma_f32 v1, -v1, v7, v6
	v_div_fmas_f32 v1, v1, v2, v7
	v_div_fixup_f32 v5, v1, v3, v5
	v_div_scale_f32 v1, s[38:39], v3, v3, v4
	v_rcp_f32_e32 v2, v1
	s_nop 0
	v_fma_f32 v6, -v1, v2, 1.0
	v_fmac_f32_e32 v2, v6, v2
	v_div_scale_f32 v6, vcc, v4, v3, v4
	v_mul_f32_e32 v7, v6, v2
	v_fma_f32 v10, -v1, v7, v6
	v_fmac_f32_e32 v7, v10, v2
	v_fma_f32 v1, -v1, v7, v6
	v_div_fmas_f32 v1, v1, v2, v7
	v_div_fixup_f32 v4, v1, v3, v4
	v_mov_b32_e32 v2, 0
	global_store_dwordx2 v[8:9], v[4:5], off
.LBB30_540:                             ;   in Loop: Header=BB30_14 Depth=1
	s_or_b64 exec, exec, s[4:5]
	v_cmp_gt_i32_e32 vcc, s43, v2
	s_mov_b64 s[4:5], -1
	s_and_saveexec_b64 s[38:39], vcc
; %bb.541:                              ;   in Loop: Header=BB30_14 Depth=1
	v_cmp_eq_u32_e32 vcc, 0, v2
	s_orn2_b64 s[4:5], vcc, exec
; %bb.542:                              ;   in Loop: Header=BB30_14 Depth=1
	s_or_b64 exec, exec, s[38:39]
	s_and_b64 exec, exec, s[4:5]
	s_cbranch_execz .LBB30_12
; %bb.543:                              ;   in Loop: Header=BB30_14 Depth=1
	v_add_u32_e32 v1, 12, v207
	v_add_u32_e32 v1, v1, v238
	v_cmp_gt_i32_e32 vcc, s80, v1
	v_mov_b32_e32 v2, 0x47
	s_and_saveexec_b64 s[4:5], vcc
	s_cbranch_execz .LBB30_545
; %bb.544:                              ;   in Loop: Header=BB30_14 Depth=1
	scratch_load_dword v4, off, off offset:80 ; 4-byte Folded Reload
	v_readlane_b32 s38, v255, 49
	s_waitcnt vmcnt(0)
	v_add_u32_e32 v6, 0, v4
	v_add_u32_e32 v4, v198, v4
	ds_read2_b32 v[2:3], v6 offset0:64 offset1:65
	ds_read2st64_b32 v[4:5], v4 offset1:17
	ds_read_b32 v6, v6 offset:4608
	v_mad_u64_u32 v[8:9], s[38:39], v1, s38, v[122:123]
	v_ashrrev_i32_e32 v9, 31, v8
	s_waitcnt lgkmcnt(1)
	v_cvt_f32_f16_e32 v10, v4
	v_cvt_f32_f16_sdwa v11, v4 dst_sel:DWORD dst_unused:UNUSED_PAD src0_sel:WORD_1
	v_cvt_f32_f16_e32 v4, v5
	v_cvt_f32_f16_sdwa v5, v5 dst_sel:DWORD dst_unused:UNUSED_PAD src0_sel:WORD_1
	v_lshl_add_u64 v[8:9], v[8:9], 3, v[140:141]
	v_pk_fma_f32 v[10:11], v[2:3], v[10:11], 0 op_sel_hi:[0,1,0]
	s_waitcnt lgkmcnt(0)
	v_pk_fma_f32 v[4:5], v[6:7], v[4:5], v[10:11] op_sel_hi:[0,1,1]
	v_div_scale_f32 v1, s[38:39], v3, v3, v5
	v_rcp_f32_e32 v2, v1
	s_nop 0
	v_fma_f32 v6, -v1, v2, 1.0
	v_fmac_f32_e32 v2, v6, v2
	v_div_scale_f32 v6, vcc, v5, v3, v5
	v_mul_f32_e32 v7, v6, v2
	v_fma_f32 v10, -v1, v7, v6
	v_fmac_f32_e32 v7, v10, v2
	v_fma_f32 v1, -v1, v7, v6
	v_div_fmas_f32 v1, v1, v2, v7
	v_div_fixup_f32 v5, v1, v3, v5
	v_div_scale_f32 v1, s[38:39], v3, v3, v4
	v_rcp_f32_e32 v2, v1
	s_nop 0
	v_fma_f32 v6, -v1, v2, 1.0
	v_fmac_f32_e32 v2, v6, v2
	v_div_scale_f32 v6, vcc, v4, v3, v4
	v_mul_f32_e32 v7, v6, v2
	v_fma_f32 v10, -v1, v7, v6
	v_fmac_f32_e32 v7, v10, v2
	v_fma_f32 v1, -v1, v7, v6
	v_div_fmas_f32 v1, v1, v2, v7
	v_div_fixup_f32 v4, v1, v3, v4
	v_mov_b32_e32 v2, 0
	global_store_dwordx2 v[8:9], v[4:5], off
.LBB30_545:                             ;   in Loop: Header=BB30_14 Depth=1
	s_or_b64 exec, exec, s[4:5]
	v_cmp_gt_i32_e32 vcc, s43, v2
	s_mov_b64 s[4:5], -1
	s_and_saveexec_b64 s[38:39], vcc
; %bb.546:                              ;   in Loop: Header=BB30_14 Depth=1
	v_cmp_eq_u32_e32 vcc, 0, v2
	s_orn2_b64 s[4:5], vcc, exec
; %bb.547:                              ;   in Loop: Header=BB30_14 Depth=1
	s_or_b64 exec, exec, s[38:39]
	s_and_b64 exec, exec, s[4:5]
	s_cbranch_execz .LBB30_12
; %bb.548:                              ;   in Loop: Header=BB30_14 Depth=1
	v_add_u32_e32 v1, 16, v207
	v_add_u32_e32 v1, v1, v238
	v_cmp_gt_i32_e32 vcc, s80, v1
	v_mov_b32_e32 v2, 0x47
	s_and_saveexec_b64 s[4:5], vcc
	s_cbranch_execz .LBB30_550
; %bb.549:                              ;   in Loop: Header=BB30_14 Depth=1
	scratch_load_dword v4, off, off offset:84 ; 4-byte Folded Reload
	v_readlane_b32 s38, v255, 49
	s_waitcnt vmcnt(0)
	v_add_u32_e32 v6, 0, v4
	v_add_u32_e32 v4, v198, v4
	ds_read2_b32 v[2:3], v6 offset0:64 offset1:65
	ds_read2st64_b32 v[4:5], v4 offset1:17
	ds_read_b32 v6, v6 offset:4608
	v_mad_u64_u32 v[8:9], s[38:39], v1, s38, v[122:123]
	v_ashrrev_i32_e32 v9, 31, v8
	s_waitcnt lgkmcnt(1)
	v_cvt_f32_f16_e32 v10, v4
	v_cvt_f32_f16_sdwa v11, v4 dst_sel:DWORD dst_unused:UNUSED_PAD src0_sel:WORD_1
	v_cvt_f32_f16_e32 v4, v5
	v_cvt_f32_f16_sdwa v5, v5 dst_sel:DWORD dst_unused:UNUSED_PAD src0_sel:WORD_1
	v_lshl_add_u64 v[8:9], v[8:9], 3, v[140:141]
	v_pk_fma_f32 v[10:11], v[2:3], v[10:11], 0 op_sel_hi:[0,1,0]
	s_waitcnt lgkmcnt(0)
	v_pk_fma_f32 v[4:5], v[6:7], v[4:5], v[10:11] op_sel_hi:[0,1,1]
	v_div_scale_f32 v1, s[38:39], v3, v3, v5
	v_rcp_f32_e32 v2, v1
	s_nop 0
	v_fma_f32 v6, -v1, v2, 1.0
	v_fmac_f32_e32 v2, v6, v2
	v_div_scale_f32 v6, vcc, v5, v3, v5
	v_mul_f32_e32 v7, v6, v2
	v_fma_f32 v10, -v1, v7, v6
	v_fmac_f32_e32 v7, v10, v2
	v_fma_f32 v1, -v1, v7, v6
	v_div_fmas_f32 v1, v1, v2, v7
	v_div_fixup_f32 v5, v1, v3, v5
	v_div_scale_f32 v1, s[38:39], v3, v3, v4
	v_rcp_f32_e32 v2, v1
	s_nop 0
	v_fma_f32 v6, -v1, v2, 1.0
	v_fmac_f32_e32 v2, v6, v2
	v_div_scale_f32 v6, vcc, v4, v3, v4
	v_mul_f32_e32 v7, v6, v2
	v_fma_f32 v10, -v1, v7, v6
	v_fmac_f32_e32 v7, v10, v2
	v_fma_f32 v1, -v1, v7, v6
	v_div_fmas_f32 v1, v1, v2, v7
	v_div_fixup_f32 v4, v1, v3, v4
	v_mov_b32_e32 v2, 0
	global_store_dwordx2 v[8:9], v[4:5], off
.LBB30_550:                             ;   in Loop: Header=BB30_14 Depth=1
	s_or_b64 exec, exec, s[4:5]
	v_cmp_gt_i32_e32 vcc, s43, v2
	s_mov_b64 s[4:5], -1
	s_and_saveexec_b64 s[38:39], vcc
; %bb.551:                              ;   in Loop: Header=BB30_14 Depth=1
	v_cmp_eq_u32_e32 vcc, 0, v2
	s_orn2_b64 s[4:5], vcc, exec
; %bb.552:                              ;   in Loop: Header=BB30_14 Depth=1
	s_or_b64 exec, exec, s[38:39]
	s_and_b64 exec, exec, s[4:5]
	s_cbranch_execz .LBB30_12
; %bb.553:                              ;   in Loop: Header=BB30_14 Depth=1
	v_add_u32_e32 v1, 20, v207
	v_add_u32_e32 v1, v1, v238
	v_cmp_gt_i32_e32 vcc, s80, v1
	v_mov_b32_e32 v2, 0x47
	s_and_saveexec_b64 s[4:5], vcc
	s_cbranch_execz .LBB30_555
; %bb.554:                              ;   in Loop: Header=BB30_14 Depth=1
	scratch_load_dword v4, off, off offset:92 ; 4-byte Folded Reload
	v_readlane_b32 s38, v255, 49
	s_waitcnt vmcnt(0)
	v_add_u32_e32 v6, 0, v4
	v_add_u32_e32 v4, v198, v4
	ds_read2_b32 v[2:3], v6 offset0:64 offset1:65
	ds_read2st64_b32 v[4:5], v4 offset1:17
	ds_read_b32 v6, v6 offset:4608
	v_mad_u64_u32 v[8:9], s[38:39], v1, s38, v[122:123]
	v_ashrrev_i32_e32 v9, 31, v8
	s_waitcnt lgkmcnt(1)
	v_cvt_f32_f16_e32 v10, v4
	v_cvt_f32_f16_sdwa v11, v4 dst_sel:DWORD dst_unused:UNUSED_PAD src0_sel:WORD_1
	v_cvt_f32_f16_e32 v4, v5
	v_cvt_f32_f16_sdwa v5, v5 dst_sel:DWORD dst_unused:UNUSED_PAD src0_sel:WORD_1
	v_lshl_add_u64 v[8:9], v[8:9], 3, v[140:141]
	v_pk_fma_f32 v[10:11], v[2:3], v[10:11], 0 op_sel_hi:[0,1,0]
	s_waitcnt lgkmcnt(0)
	v_pk_fma_f32 v[4:5], v[6:7], v[4:5], v[10:11] op_sel_hi:[0,1,1]
	v_div_scale_f32 v1, s[38:39], v3, v3, v5
	v_rcp_f32_e32 v2, v1
	s_nop 0
	v_fma_f32 v6, -v1, v2, 1.0
	v_fmac_f32_e32 v2, v6, v2
	v_div_scale_f32 v6, vcc, v5, v3, v5
	v_mul_f32_e32 v7, v6, v2
	v_fma_f32 v10, -v1, v7, v6
	v_fmac_f32_e32 v7, v10, v2
	v_fma_f32 v1, -v1, v7, v6
	v_div_fmas_f32 v1, v1, v2, v7
	v_div_fixup_f32 v5, v1, v3, v5
	v_div_scale_f32 v1, s[38:39], v3, v3, v4
	v_rcp_f32_e32 v2, v1
	s_nop 0
	v_fma_f32 v6, -v1, v2, 1.0
	v_fmac_f32_e32 v2, v6, v2
	v_div_scale_f32 v6, vcc, v4, v3, v4
	v_mul_f32_e32 v7, v6, v2
	v_fma_f32 v10, -v1, v7, v6
	v_fmac_f32_e32 v7, v10, v2
	v_fma_f32 v1, -v1, v7, v6
	v_div_fmas_f32 v1, v1, v2, v7
	v_div_fixup_f32 v4, v1, v3, v4
	v_mov_b32_e32 v2, 0
	global_store_dwordx2 v[8:9], v[4:5], off
.LBB30_555:                             ;   in Loop: Header=BB30_14 Depth=1
	s_or_b64 exec, exec, s[4:5]
	v_cmp_gt_i32_e32 vcc, s43, v2
	s_mov_b64 s[4:5], -1
	s_and_saveexec_b64 s[38:39], vcc
; %bb.556:                              ;   in Loop: Header=BB30_14 Depth=1
	v_cmp_eq_u32_e32 vcc, 0, v2
	s_orn2_b64 s[4:5], vcc, exec
; %bb.557:                              ;   in Loop: Header=BB30_14 Depth=1
	s_or_b64 exec, exec, s[38:39]
	s_and_b64 exec, exec, s[4:5]
	s_cbranch_execz .LBB30_12
; %bb.558:                              ;   in Loop: Header=BB30_14 Depth=1
	v_add_u32_e32 v1, 24, v207
	v_add_u32_e32 v1, v1, v238
	v_cmp_gt_i32_e32 vcc, s80, v1
	v_mov_b32_e32 v2, 0x47
	s_and_saveexec_b64 s[4:5], vcc
	s_cbranch_execz .LBB30_560
; %bb.559:                              ;   in Loop: Header=BB30_14 Depth=1
	scratch_load_dword v4, off, off offset:96 ; 4-byte Folded Reload
	v_readlane_b32 s38, v255, 49
	s_waitcnt vmcnt(0)
	v_add_u32_e32 v6, 0, v4
	v_add_u32_e32 v4, v198, v4
	ds_read2_b32 v[2:3], v6 offset0:64 offset1:65
	ds_read2st64_b32 v[4:5], v4 offset1:17
	ds_read_b32 v6, v6 offset:4608
	v_mad_u64_u32 v[8:9], s[38:39], v1, s38, v[122:123]
	v_ashrrev_i32_e32 v9, 31, v8
	s_waitcnt lgkmcnt(1)
	v_cvt_f32_f16_e32 v10, v4
	v_cvt_f32_f16_sdwa v11, v4 dst_sel:DWORD dst_unused:UNUSED_PAD src0_sel:WORD_1
	v_cvt_f32_f16_e32 v4, v5
	v_cvt_f32_f16_sdwa v5, v5 dst_sel:DWORD dst_unused:UNUSED_PAD src0_sel:WORD_1
	v_lshl_add_u64 v[8:9], v[8:9], 3, v[140:141]
	v_pk_fma_f32 v[10:11], v[2:3], v[10:11], 0 op_sel_hi:[0,1,0]
	s_waitcnt lgkmcnt(0)
	v_pk_fma_f32 v[4:5], v[6:7], v[4:5], v[10:11] op_sel_hi:[0,1,1]
	v_div_scale_f32 v1, s[38:39], v3, v3, v5
	v_rcp_f32_e32 v2, v1
	s_nop 0
	v_fma_f32 v6, -v1, v2, 1.0
	v_fmac_f32_e32 v2, v6, v2
	v_div_scale_f32 v6, vcc, v5, v3, v5
	v_mul_f32_e32 v7, v6, v2
	v_fma_f32 v10, -v1, v7, v6
	v_fmac_f32_e32 v7, v10, v2
	v_fma_f32 v1, -v1, v7, v6
	v_div_fmas_f32 v1, v1, v2, v7
	v_div_fixup_f32 v5, v1, v3, v5
	v_div_scale_f32 v1, s[38:39], v3, v3, v4
	v_rcp_f32_e32 v2, v1
	s_nop 0
	v_fma_f32 v6, -v1, v2, 1.0
	v_fmac_f32_e32 v2, v6, v2
	v_div_scale_f32 v6, vcc, v4, v3, v4
	v_mul_f32_e32 v7, v6, v2
	v_fma_f32 v10, -v1, v7, v6
	v_fmac_f32_e32 v7, v10, v2
	v_fma_f32 v1, -v1, v7, v6
	v_div_fmas_f32 v1, v1, v2, v7
	v_div_fixup_f32 v4, v1, v3, v4
	v_mov_b32_e32 v2, 0
	global_store_dwordx2 v[8:9], v[4:5], off
.LBB30_560:                             ;   in Loop: Header=BB30_14 Depth=1
	s_or_b64 exec, exec, s[4:5]
	v_cmp_gt_i32_e32 vcc, s43, v2
	s_mov_b64 s[4:5], -1
	s_and_saveexec_b64 s[38:39], vcc
; %bb.561:                              ;   in Loop: Header=BB30_14 Depth=1
	v_cmp_eq_u32_e32 vcc, 0, v2
	s_orn2_b64 s[4:5], vcc, exec
; %bb.562:                              ;   in Loop: Header=BB30_14 Depth=1
	s_or_b64 exec, exec, s[38:39]
	s_and_b64 exec, exec, s[4:5]
	s_cbranch_execz .LBB30_12
; %bb.563:                              ;   in Loop: Header=BB30_14 Depth=1
	v_add_u32_e32 v1, 28, v207
	v_add_u32_e32 v1, v1, v238
	v_cmp_gt_i32_e32 vcc, s80, v1
	v_mov_b32_e32 v2, 0x47
	s_and_saveexec_b64 s[4:5], vcc
	s_cbranch_execz .LBB30_565
; %bb.564:                              ;   in Loop: Header=BB30_14 Depth=1
	scratch_load_dword v4, off, off offset:100 ; 4-byte Folded Reload
	v_readlane_b32 s38, v255, 49
	s_waitcnt vmcnt(0)
	v_add_u32_e32 v6, 0, v4
	v_add_u32_e32 v4, v198, v4
	ds_read2_b32 v[2:3], v6 offset0:64 offset1:65
	ds_read2st64_b32 v[4:5], v4 offset1:17
	ds_read_b32 v6, v6 offset:4608
	v_mad_u64_u32 v[8:9], s[38:39], v1, s38, v[122:123]
	v_ashrrev_i32_e32 v9, 31, v8
	s_waitcnt lgkmcnt(1)
	v_cvt_f32_f16_e32 v10, v4
	v_cvt_f32_f16_sdwa v11, v4 dst_sel:DWORD dst_unused:UNUSED_PAD src0_sel:WORD_1
	v_cvt_f32_f16_e32 v4, v5
	v_cvt_f32_f16_sdwa v5, v5 dst_sel:DWORD dst_unused:UNUSED_PAD src0_sel:WORD_1
	v_lshl_add_u64 v[8:9], v[8:9], 3, v[140:141]
	v_pk_fma_f32 v[10:11], v[2:3], v[10:11], 0 op_sel_hi:[0,1,0]
	s_waitcnt lgkmcnt(0)
	v_pk_fma_f32 v[4:5], v[6:7], v[4:5], v[10:11] op_sel_hi:[0,1,1]
	v_div_scale_f32 v1, s[38:39], v3, v3, v5
	v_rcp_f32_e32 v2, v1
	s_nop 0
	v_fma_f32 v6, -v1, v2, 1.0
	v_fmac_f32_e32 v2, v6, v2
	v_div_scale_f32 v6, vcc, v5, v3, v5
	v_mul_f32_e32 v7, v6, v2
	v_fma_f32 v10, -v1, v7, v6
	v_fmac_f32_e32 v7, v10, v2
	v_fma_f32 v1, -v1, v7, v6
	v_div_fmas_f32 v1, v1, v2, v7
	v_div_fixup_f32 v5, v1, v3, v5
	v_div_scale_f32 v1, s[38:39], v3, v3, v4
	v_rcp_f32_e32 v2, v1
	s_nop 0
	v_fma_f32 v6, -v1, v2, 1.0
	v_fmac_f32_e32 v2, v6, v2
	v_div_scale_f32 v6, vcc, v4, v3, v4
	v_mul_f32_e32 v7, v6, v2
	v_fma_f32 v10, -v1, v7, v6
	v_fmac_f32_e32 v7, v10, v2
	v_fma_f32 v1, -v1, v7, v6
	v_div_fmas_f32 v1, v1, v2, v7
	v_div_fixup_f32 v4, v1, v3, v4
	v_mov_b32_e32 v2, 0
	global_store_dwordx2 v[8:9], v[4:5], off
.LBB30_565:                             ;   in Loop: Header=BB30_14 Depth=1
	s_or_b64 exec, exec, s[4:5]
	v_cmp_gt_i32_e32 vcc, s43, v2
	s_mov_b64 s[4:5], -1
	s_and_saveexec_b64 s[38:39], vcc
; %bb.566:                              ;   in Loop: Header=BB30_14 Depth=1
	v_cmp_eq_u32_e32 vcc, 0, v2
	s_orn2_b64 s[4:5], vcc, exec
; %bb.567:                              ;   in Loop: Header=BB30_14 Depth=1
	s_or_b64 exec, exec, s[38:39]
	s_and_b64 exec, exec, s[4:5]
	s_cbranch_execz .LBB30_12
; %bb.568:                              ;   in Loop: Header=BB30_14 Depth=1
	v_add_u32_e32 v1, 32, v207
	v_add_u32_e32 v1, v1, v238
	v_cmp_gt_i32_e32 vcc, s80, v1
	v_mov_b32_e32 v2, 0x47
	s_and_saveexec_b64 s[4:5], vcc
	s_cbranch_execz .LBB30_570
; %bb.569:                              ;   in Loop: Header=BB30_14 Depth=1
	scratch_load_dword v4, off, off offset:104 ; 4-byte Folded Reload
	v_readlane_b32 s38, v255, 49
	s_waitcnt vmcnt(0)
	v_add_u32_e32 v6, 0, v4
	v_add_u32_e32 v4, v198, v4
	ds_read2_b32 v[2:3], v6 offset0:64 offset1:65
	ds_read2st64_b32 v[4:5], v4 offset1:17
	ds_read_b32 v6, v6 offset:4608
	v_mad_u64_u32 v[8:9], s[38:39], v1, s38, v[122:123]
	v_ashrrev_i32_e32 v9, 31, v8
	s_waitcnt lgkmcnt(1)
	v_cvt_f32_f16_e32 v10, v4
	v_cvt_f32_f16_sdwa v11, v4 dst_sel:DWORD dst_unused:UNUSED_PAD src0_sel:WORD_1
	v_cvt_f32_f16_e32 v4, v5
	v_cvt_f32_f16_sdwa v5, v5 dst_sel:DWORD dst_unused:UNUSED_PAD src0_sel:WORD_1
	v_lshl_add_u64 v[8:9], v[8:9], 3, v[140:141]
	v_pk_fma_f32 v[10:11], v[2:3], v[10:11], 0 op_sel_hi:[0,1,0]
	s_waitcnt lgkmcnt(0)
	v_pk_fma_f32 v[4:5], v[6:7], v[4:5], v[10:11] op_sel_hi:[0,1,1]
	v_div_scale_f32 v1, s[38:39], v3, v3, v5
	v_rcp_f32_e32 v2, v1
	s_nop 0
	v_fma_f32 v6, -v1, v2, 1.0
	v_fmac_f32_e32 v2, v6, v2
	v_div_scale_f32 v6, vcc, v5, v3, v5
	v_mul_f32_e32 v7, v6, v2
	v_fma_f32 v10, -v1, v7, v6
	v_fmac_f32_e32 v7, v10, v2
	v_fma_f32 v1, -v1, v7, v6
	v_div_fmas_f32 v1, v1, v2, v7
	v_div_fixup_f32 v5, v1, v3, v5
	v_div_scale_f32 v1, s[38:39], v3, v3, v4
	v_rcp_f32_e32 v2, v1
	s_nop 0
	v_fma_f32 v6, -v1, v2, 1.0
	v_fmac_f32_e32 v2, v6, v2
	v_div_scale_f32 v6, vcc, v4, v3, v4
	v_mul_f32_e32 v7, v6, v2
	v_fma_f32 v10, -v1, v7, v6
	v_fmac_f32_e32 v7, v10, v2
	v_fma_f32 v1, -v1, v7, v6
	v_div_fmas_f32 v1, v1, v2, v7
	v_div_fixup_f32 v4, v1, v3, v4
	v_mov_b32_e32 v2, 0
	global_store_dwordx2 v[8:9], v[4:5], off
.LBB30_570:                             ;   in Loop: Header=BB30_14 Depth=1
	s_or_b64 exec, exec, s[4:5]
	v_cmp_gt_i32_e32 vcc, s43, v2
	s_mov_b64 s[4:5], -1
	s_and_saveexec_b64 s[38:39], vcc
; %bb.571:                              ;   in Loop: Header=BB30_14 Depth=1
	v_cmp_eq_u32_e32 vcc, 0, v2
	s_orn2_b64 s[4:5], vcc, exec
; %bb.572:                              ;   in Loop: Header=BB30_14 Depth=1
	s_or_b64 exec, exec, s[38:39]
	s_and_b64 exec, exec, s[4:5]
	s_cbranch_execz .LBB30_12
; %bb.573:                              ;   in Loop: Header=BB30_14 Depth=1
	v_add_u32_e32 v1, 36, v207
	v_add_u32_e32 v1, v1, v238
	v_cmp_gt_i32_e32 vcc, s80, v1
	v_mov_b32_e32 v2, 0x47
	s_and_saveexec_b64 s[4:5], vcc
	s_cbranch_execz .LBB30_575
; %bb.574:                              ;   in Loop: Header=BB30_14 Depth=1
	scratch_load_dword v4, off, off offset:108 ; 4-byte Folded Reload
	v_readlane_b32 s38, v255, 49
	s_waitcnt vmcnt(0)
	v_add_u32_e32 v6, 0, v4
	v_add_u32_e32 v4, v198, v4
	ds_read2_b32 v[2:3], v6 offset0:64 offset1:65
	ds_read2st64_b32 v[4:5], v4 offset1:17
	ds_read_b32 v6, v6 offset:4608
	v_mad_u64_u32 v[8:9], s[38:39], v1, s38, v[122:123]
	v_ashrrev_i32_e32 v9, 31, v8
	s_waitcnt lgkmcnt(1)
	v_cvt_f32_f16_e32 v10, v4
	v_cvt_f32_f16_sdwa v11, v4 dst_sel:DWORD dst_unused:UNUSED_PAD src0_sel:WORD_1
	v_cvt_f32_f16_e32 v4, v5
	v_cvt_f32_f16_sdwa v5, v5 dst_sel:DWORD dst_unused:UNUSED_PAD src0_sel:WORD_1
	v_lshl_add_u64 v[8:9], v[8:9], 3, v[140:141]
	v_pk_fma_f32 v[10:11], v[2:3], v[10:11], 0 op_sel_hi:[0,1,0]
	s_waitcnt lgkmcnt(0)
	v_pk_fma_f32 v[4:5], v[6:7], v[4:5], v[10:11] op_sel_hi:[0,1,1]
	v_div_scale_f32 v1, s[38:39], v3, v3, v5
	v_rcp_f32_e32 v2, v1
	s_nop 0
	v_fma_f32 v6, -v1, v2, 1.0
	v_fmac_f32_e32 v2, v6, v2
	v_div_scale_f32 v6, vcc, v5, v3, v5
	v_mul_f32_e32 v7, v6, v2
	v_fma_f32 v10, -v1, v7, v6
	v_fmac_f32_e32 v7, v10, v2
	v_fma_f32 v1, -v1, v7, v6
	v_div_fmas_f32 v1, v1, v2, v7
	v_div_fixup_f32 v5, v1, v3, v5
	v_div_scale_f32 v1, s[38:39], v3, v3, v4
	v_rcp_f32_e32 v2, v1
	s_nop 0
	v_fma_f32 v6, -v1, v2, 1.0
	v_fmac_f32_e32 v2, v6, v2
	v_div_scale_f32 v6, vcc, v4, v3, v4
	v_mul_f32_e32 v7, v6, v2
	v_fma_f32 v10, -v1, v7, v6
	v_fmac_f32_e32 v7, v10, v2
	v_fma_f32 v1, -v1, v7, v6
	v_div_fmas_f32 v1, v1, v2, v7
	v_div_fixup_f32 v4, v1, v3, v4
	v_mov_b32_e32 v2, 0
	global_store_dwordx2 v[8:9], v[4:5], off
.LBB30_575:                             ;   in Loop: Header=BB30_14 Depth=1
	s_or_b64 exec, exec, s[4:5]
	v_cmp_gt_i32_e32 vcc, s43, v2
	s_mov_b64 s[4:5], -1
	s_and_saveexec_b64 s[38:39], vcc
; %bb.576:                              ;   in Loop: Header=BB30_14 Depth=1
	v_cmp_eq_u32_e32 vcc, 0, v2
	s_orn2_b64 s[4:5], vcc, exec
; %bb.577:                              ;   in Loop: Header=BB30_14 Depth=1
	s_or_b64 exec, exec, s[38:39]
	s_and_b64 exec, exec, s[4:5]
	s_cbranch_execz .LBB30_12
; %bb.578:                              ;   in Loop: Header=BB30_14 Depth=1
	v_add_u32_e32 v1, 40, v207
	v_add_u32_e32 v1, v1, v238
	v_cmp_gt_i32_e32 vcc, s80, v1
	v_mov_b32_e32 v2, 0x47
	s_and_saveexec_b64 s[4:5], vcc
	s_cbranch_execz .LBB30_580
; %bb.579:                              ;   in Loop: Header=BB30_14 Depth=1
	scratch_load_dword v4, off, off offset:112 ; 4-byte Folded Reload
	v_readlane_b32 s38, v255, 49
	s_waitcnt vmcnt(0)
	v_add_u32_e32 v6, 0, v4
	v_add_u32_e32 v4, v198, v4
	ds_read2_b32 v[2:3], v6 offset0:64 offset1:65
	ds_read2st64_b32 v[4:5], v4 offset1:17
	ds_read_b32 v6, v6 offset:4608
	v_mad_u64_u32 v[8:9], s[38:39], v1, s38, v[122:123]
	v_ashrrev_i32_e32 v9, 31, v8
	s_waitcnt lgkmcnt(1)
	v_cvt_f32_f16_e32 v10, v4
	v_cvt_f32_f16_sdwa v11, v4 dst_sel:DWORD dst_unused:UNUSED_PAD src0_sel:WORD_1
	v_cvt_f32_f16_e32 v4, v5
	v_cvt_f32_f16_sdwa v5, v5 dst_sel:DWORD dst_unused:UNUSED_PAD src0_sel:WORD_1
	v_lshl_add_u64 v[8:9], v[8:9], 3, v[140:141]
	v_pk_fma_f32 v[10:11], v[2:3], v[10:11], 0 op_sel_hi:[0,1,0]
	s_waitcnt lgkmcnt(0)
	v_pk_fma_f32 v[4:5], v[6:7], v[4:5], v[10:11] op_sel_hi:[0,1,1]
	v_div_scale_f32 v1, s[38:39], v3, v3, v5
	v_rcp_f32_e32 v2, v1
	s_nop 0
	v_fma_f32 v6, -v1, v2, 1.0
	v_fmac_f32_e32 v2, v6, v2
	v_div_scale_f32 v6, vcc, v5, v3, v5
	v_mul_f32_e32 v7, v6, v2
	v_fma_f32 v10, -v1, v7, v6
	v_fmac_f32_e32 v7, v10, v2
	v_fma_f32 v1, -v1, v7, v6
	v_div_fmas_f32 v1, v1, v2, v7
	v_div_fixup_f32 v5, v1, v3, v5
	v_div_scale_f32 v1, s[38:39], v3, v3, v4
	v_rcp_f32_e32 v2, v1
	s_nop 0
	v_fma_f32 v6, -v1, v2, 1.0
	v_fmac_f32_e32 v2, v6, v2
	v_div_scale_f32 v6, vcc, v4, v3, v4
	v_mul_f32_e32 v7, v6, v2
	v_fma_f32 v10, -v1, v7, v6
	v_fmac_f32_e32 v7, v10, v2
	v_fma_f32 v1, -v1, v7, v6
	v_div_fmas_f32 v1, v1, v2, v7
	v_div_fixup_f32 v4, v1, v3, v4
	v_mov_b32_e32 v2, 0
	global_store_dwordx2 v[8:9], v[4:5], off
.LBB30_580:                             ;   in Loop: Header=BB30_14 Depth=1
	s_or_b64 exec, exec, s[4:5]
	v_cmp_gt_i32_e32 vcc, s43, v2
	s_mov_b64 s[4:5], -1
	s_and_saveexec_b64 s[38:39], vcc
; %bb.581:                              ;   in Loop: Header=BB30_14 Depth=1
	v_cmp_eq_u32_e32 vcc, 0, v2
	s_orn2_b64 s[4:5], vcc, exec
; %bb.582:                              ;   in Loop: Header=BB30_14 Depth=1
	s_or_b64 exec, exec, s[38:39]
	s_and_b64 exec, exec, s[4:5]
	s_cbranch_execz .LBB30_12
; %bb.583:                              ;   in Loop: Header=BB30_14 Depth=1
	v_add_u32_e32 v1, 44, v207
	v_add_u32_e32 v1, v1, v238
	v_cmp_gt_i32_e32 vcc, s80, v1
	v_mov_b32_e32 v2, 0x47
	s_and_saveexec_b64 s[4:5], vcc
	s_cbranch_execz .LBB30_585
; %bb.584:                              ;   in Loop: Header=BB30_14 Depth=1
	scratch_load_dword v4, off, off offset:116 ; 4-byte Folded Reload
	v_readlane_b32 s38, v255, 49
	s_waitcnt vmcnt(0)
	v_add_u32_e32 v6, 0, v4
	v_add_u32_e32 v4, v198, v4
	ds_read2_b32 v[2:3], v6 offset0:64 offset1:65
	ds_read2st64_b32 v[4:5], v4 offset1:17
	ds_read_b32 v6, v6 offset:4608
	v_mad_u64_u32 v[8:9], s[38:39], v1, s38, v[122:123]
	v_ashrrev_i32_e32 v9, 31, v8
	s_waitcnt lgkmcnt(1)
	v_cvt_f32_f16_e32 v10, v4
	v_cvt_f32_f16_sdwa v11, v4 dst_sel:DWORD dst_unused:UNUSED_PAD src0_sel:WORD_1
	v_cvt_f32_f16_e32 v4, v5
	v_cvt_f32_f16_sdwa v5, v5 dst_sel:DWORD dst_unused:UNUSED_PAD src0_sel:WORD_1
	v_lshl_add_u64 v[8:9], v[8:9], 3, v[140:141]
	v_pk_fma_f32 v[10:11], v[2:3], v[10:11], 0 op_sel_hi:[0,1,0]
	s_waitcnt lgkmcnt(0)
	v_pk_fma_f32 v[4:5], v[6:7], v[4:5], v[10:11] op_sel_hi:[0,1,1]
	v_div_scale_f32 v1, s[38:39], v3, v3, v5
	v_rcp_f32_e32 v2, v1
	s_nop 0
	v_fma_f32 v6, -v1, v2, 1.0
	v_fmac_f32_e32 v2, v6, v2
	v_div_scale_f32 v6, vcc, v5, v3, v5
	v_mul_f32_e32 v7, v6, v2
	v_fma_f32 v10, -v1, v7, v6
	v_fmac_f32_e32 v7, v10, v2
	v_fma_f32 v1, -v1, v7, v6
	v_div_fmas_f32 v1, v1, v2, v7
	v_div_fixup_f32 v5, v1, v3, v5
	v_div_scale_f32 v1, s[38:39], v3, v3, v4
	v_rcp_f32_e32 v2, v1
	s_nop 0
	v_fma_f32 v6, -v1, v2, 1.0
	v_fmac_f32_e32 v2, v6, v2
	v_div_scale_f32 v6, vcc, v4, v3, v4
	v_mul_f32_e32 v7, v6, v2
	v_fma_f32 v10, -v1, v7, v6
	v_fmac_f32_e32 v7, v10, v2
	v_fma_f32 v1, -v1, v7, v6
	v_div_fmas_f32 v1, v1, v2, v7
	v_div_fixup_f32 v4, v1, v3, v4
	v_mov_b32_e32 v2, 0
	global_store_dwordx2 v[8:9], v[4:5], off
.LBB30_585:                             ;   in Loop: Header=BB30_14 Depth=1
	s_or_b64 exec, exec, s[4:5]
	v_cmp_gt_i32_e32 vcc, s43, v2
	s_mov_b64 s[4:5], -1
	s_and_saveexec_b64 s[38:39], vcc
; %bb.586:                              ;   in Loop: Header=BB30_14 Depth=1
	v_cmp_eq_u32_e32 vcc, 0, v2
	s_orn2_b64 s[4:5], vcc, exec
; %bb.587:                              ;   in Loop: Header=BB30_14 Depth=1
	s_or_b64 exec, exec, s[38:39]
	s_and_b64 exec, exec, s[4:5]
	s_cbranch_execz .LBB30_12
; %bb.588:                              ;   in Loop: Header=BB30_14 Depth=1
	v_add_u32_e32 v1, 48, v207
	v_add_u32_e32 v1, v1, v238
	v_cmp_gt_i32_e32 vcc, s80, v1
	v_mov_b32_e32 v2, 0x47
	s_and_saveexec_b64 s[4:5], vcc
	s_cbranch_execz .LBB30_590
; %bb.589:                              ;   in Loop: Header=BB30_14 Depth=1
	scratch_load_dword v4, off, off offset:120 ; 4-byte Folded Reload
	v_readlane_b32 s38, v255, 49
	s_waitcnt vmcnt(0)
	v_add_u32_e32 v6, 0, v4
	v_add_u32_e32 v4, v198, v4
	ds_read2_b32 v[2:3], v6 offset0:64 offset1:65
	ds_read2st64_b32 v[4:5], v4 offset1:17
	ds_read_b32 v6, v6 offset:4608
	v_mad_u64_u32 v[8:9], s[38:39], v1, s38, v[122:123]
	v_ashrrev_i32_e32 v9, 31, v8
	s_waitcnt lgkmcnt(1)
	v_cvt_f32_f16_e32 v10, v4
	v_cvt_f32_f16_sdwa v11, v4 dst_sel:DWORD dst_unused:UNUSED_PAD src0_sel:WORD_1
	v_cvt_f32_f16_e32 v4, v5
	v_cvt_f32_f16_sdwa v5, v5 dst_sel:DWORD dst_unused:UNUSED_PAD src0_sel:WORD_1
	v_lshl_add_u64 v[8:9], v[8:9], 3, v[140:141]
	v_pk_fma_f32 v[10:11], v[2:3], v[10:11], 0 op_sel_hi:[0,1,0]
	s_waitcnt lgkmcnt(0)
	v_pk_fma_f32 v[4:5], v[6:7], v[4:5], v[10:11] op_sel_hi:[0,1,1]
	v_div_scale_f32 v1, s[38:39], v3, v3, v5
	v_rcp_f32_e32 v2, v1
	s_nop 0
	v_fma_f32 v6, -v1, v2, 1.0
	v_fmac_f32_e32 v2, v6, v2
	v_div_scale_f32 v6, vcc, v5, v3, v5
	v_mul_f32_e32 v7, v6, v2
	v_fma_f32 v10, -v1, v7, v6
	v_fmac_f32_e32 v7, v10, v2
	v_fma_f32 v1, -v1, v7, v6
	v_div_fmas_f32 v1, v1, v2, v7
	v_div_fixup_f32 v5, v1, v3, v5
	v_div_scale_f32 v1, s[38:39], v3, v3, v4
	v_rcp_f32_e32 v2, v1
	s_nop 0
	v_fma_f32 v6, -v1, v2, 1.0
	v_fmac_f32_e32 v2, v6, v2
	v_div_scale_f32 v6, vcc, v4, v3, v4
	v_mul_f32_e32 v7, v6, v2
	v_fma_f32 v10, -v1, v7, v6
	v_fmac_f32_e32 v7, v10, v2
	v_fma_f32 v1, -v1, v7, v6
	v_div_fmas_f32 v1, v1, v2, v7
	v_div_fixup_f32 v4, v1, v3, v4
	v_mov_b32_e32 v2, 0
	global_store_dwordx2 v[8:9], v[4:5], off
.LBB30_590:                             ;   in Loop: Header=BB30_14 Depth=1
	s_or_b64 exec, exec, s[4:5]
	v_cmp_gt_i32_e32 vcc, s43, v2
	s_mov_b64 s[4:5], -1
	s_and_saveexec_b64 s[38:39], vcc
; %bb.591:                              ;   in Loop: Header=BB30_14 Depth=1
	v_cmp_eq_u32_e32 vcc, 0, v2
	s_orn2_b64 s[4:5], vcc, exec
; %bb.592:                              ;   in Loop: Header=BB30_14 Depth=1
	s_or_b64 exec, exec, s[38:39]
	s_and_b64 exec, exec, s[4:5]
	s_cbranch_execz .LBB30_12
; %bb.593:                              ;   in Loop: Header=BB30_14 Depth=1
	v_add_u32_e32 v1, 52, v207
	v_add_u32_e32 v1, v1, v238
	v_cmp_gt_i32_e32 vcc, s80, v1
	v_mov_b32_e32 v2, 0x47
	s_and_saveexec_b64 s[4:5], vcc
	s_cbranch_execz .LBB30_595
; %bb.594:                              ;   in Loop: Header=BB30_14 Depth=1
	scratch_load_dword v4, off, off offset:124 ; 4-byte Folded Reload
	v_readlane_b32 s38, v255, 49
	s_waitcnt vmcnt(0)
	v_add_u32_e32 v6, 0, v4
	v_add_u32_e32 v4, v198, v4
	ds_read2_b32 v[2:3], v6 offset0:64 offset1:65
	ds_read2st64_b32 v[4:5], v4 offset1:17
	ds_read_b32 v6, v6 offset:4608
	v_mad_u64_u32 v[8:9], s[38:39], v1, s38, v[122:123]
	v_ashrrev_i32_e32 v9, 31, v8
	s_waitcnt lgkmcnt(1)
	v_cvt_f32_f16_e32 v10, v4
	v_cvt_f32_f16_sdwa v11, v4 dst_sel:DWORD dst_unused:UNUSED_PAD src0_sel:WORD_1
	v_cvt_f32_f16_e32 v4, v5
	v_cvt_f32_f16_sdwa v5, v5 dst_sel:DWORD dst_unused:UNUSED_PAD src0_sel:WORD_1
	v_lshl_add_u64 v[8:9], v[8:9], 3, v[140:141]
	v_pk_fma_f32 v[10:11], v[2:3], v[10:11], 0 op_sel_hi:[0,1,0]
	s_waitcnt lgkmcnt(0)
	v_pk_fma_f32 v[4:5], v[6:7], v[4:5], v[10:11] op_sel_hi:[0,1,1]
	v_div_scale_f32 v1, s[38:39], v3, v3, v5
	v_rcp_f32_e32 v2, v1
	s_nop 0
	v_fma_f32 v6, -v1, v2, 1.0
	v_fmac_f32_e32 v2, v6, v2
	v_div_scale_f32 v6, vcc, v5, v3, v5
	v_mul_f32_e32 v7, v6, v2
	v_fma_f32 v10, -v1, v7, v6
	v_fmac_f32_e32 v7, v10, v2
	v_fma_f32 v1, -v1, v7, v6
	v_div_fmas_f32 v1, v1, v2, v7
	v_div_fixup_f32 v5, v1, v3, v5
	v_div_scale_f32 v1, s[38:39], v3, v3, v4
	v_rcp_f32_e32 v2, v1
	s_nop 0
	v_fma_f32 v6, -v1, v2, 1.0
	v_fmac_f32_e32 v2, v6, v2
	v_div_scale_f32 v6, vcc, v4, v3, v4
	v_mul_f32_e32 v7, v6, v2
	v_fma_f32 v10, -v1, v7, v6
	v_fmac_f32_e32 v7, v10, v2
	v_fma_f32 v1, -v1, v7, v6
	v_div_fmas_f32 v1, v1, v2, v7
	v_div_fixup_f32 v4, v1, v3, v4
	v_mov_b32_e32 v2, 0
	global_store_dwordx2 v[8:9], v[4:5], off
.LBB30_595:                             ;   in Loop: Header=BB30_14 Depth=1
	s_or_b64 exec, exec, s[4:5]
	v_cmp_gt_i32_e32 vcc, s43, v2
	s_mov_b64 s[4:5], -1
	s_and_saveexec_b64 s[38:39], vcc
; %bb.596:                              ;   in Loop: Header=BB30_14 Depth=1
	v_cmp_eq_u32_e32 vcc, 0, v2
	s_orn2_b64 s[4:5], vcc, exec
; %bb.597:                              ;   in Loop: Header=BB30_14 Depth=1
	s_or_b64 exec, exec, s[38:39]
	s_and_b64 exec, exec, s[4:5]
	s_cbranch_execz .LBB30_12
; %bb.598:                              ;   in Loop: Header=BB30_14 Depth=1
	v_add_u32_e32 v1, 56, v207
	v_add_u32_e32 v1, v1, v238
	v_cmp_gt_i32_e32 vcc, s80, v1
	v_mov_b32_e32 v2, 0x47
	s_and_saveexec_b64 s[4:5], vcc
	s_cbranch_execz .LBB30_600
; %bb.599:                              ;   in Loop: Header=BB30_14 Depth=1
	scratch_load_dword v4, off, off offset:128 ; 4-byte Folded Reload
	v_readlane_b32 s38, v255, 49
	s_waitcnt vmcnt(0)
	v_add_u32_e32 v6, 0, v4
	v_add_u32_e32 v4, v198, v4
	ds_read2_b32 v[2:3], v6 offset0:64 offset1:65
	ds_read2st64_b32 v[4:5], v4 offset1:17
	ds_read_b32 v6, v6 offset:4608
	v_mad_u64_u32 v[8:9], s[38:39], v1, s38, v[122:123]
	v_ashrrev_i32_e32 v9, 31, v8
	s_waitcnt lgkmcnt(1)
	v_cvt_f32_f16_e32 v10, v4
	v_cvt_f32_f16_sdwa v11, v4 dst_sel:DWORD dst_unused:UNUSED_PAD src0_sel:WORD_1
	v_cvt_f32_f16_e32 v4, v5
	v_cvt_f32_f16_sdwa v5, v5 dst_sel:DWORD dst_unused:UNUSED_PAD src0_sel:WORD_1
	v_lshl_add_u64 v[8:9], v[8:9], 3, v[140:141]
	v_pk_fma_f32 v[10:11], v[2:3], v[10:11], 0 op_sel_hi:[0,1,0]
	s_waitcnt lgkmcnt(0)
	v_pk_fma_f32 v[4:5], v[6:7], v[4:5], v[10:11] op_sel_hi:[0,1,1]
	v_div_scale_f32 v1, s[38:39], v3, v3, v5
	v_rcp_f32_e32 v2, v1
	s_nop 0
	v_fma_f32 v6, -v1, v2, 1.0
	v_fmac_f32_e32 v2, v6, v2
	v_div_scale_f32 v6, vcc, v5, v3, v5
	v_mul_f32_e32 v7, v6, v2
	v_fma_f32 v10, -v1, v7, v6
	v_fmac_f32_e32 v7, v10, v2
	v_fma_f32 v1, -v1, v7, v6
	v_div_fmas_f32 v1, v1, v2, v7
	v_div_fixup_f32 v5, v1, v3, v5
	v_div_scale_f32 v1, s[38:39], v3, v3, v4
	v_rcp_f32_e32 v2, v1
	s_nop 0
	v_fma_f32 v6, -v1, v2, 1.0
	v_fmac_f32_e32 v2, v6, v2
	v_div_scale_f32 v6, vcc, v4, v3, v4
	v_mul_f32_e32 v7, v6, v2
	v_fma_f32 v10, -v1, v7, v6
	v_fmac_f32_e32 v7, v10, v2
	v_fma_f32 v1, -v1, v7, v6
	v_div_fmas_f32 v1, v1, v2, v7
	v_div_fixup_f32 v4, v1, v3, v4
	v_mov_b32_e32 v2, 0
	global_store_dwordx2 v[8:9], v[4:5], off
.LBB30_600:                             ;   in Loop: Header=BB30_14 Depth=1
	s_or_b64 exec, exec, s[4:5]
	v_cmp_gt_i32_e32 vcc, s43, v2
	s_mov_b64 s[4:5], -1
	s_and_saveexec_b64 s[38:39], vcc
; %bb.601:                              ;   in Loop: Header=BB30_14 Depth=1
	v_cmp_eq_u32_e32 vcc, 0, v2
	s_orn2_b64 s[4:5], vcc, exec
; %bb.602:                              ;   in Loop: Header=BB30_14 Depth=1
	s_or_b64 exec, exec, s[38:39]
	s_and_b64 exec, exec, s[4:5]
	s_cbranch_execz .LBB30_12
; %bb.603:                              ;   in Loop: Header=BB30_14 Depth=1
	v_add_u32_e32 v1, 60, v207
	v_add_u32_e32 v1, v1, v238
	v_cmp_gt_i32_e32 vcc, s80, v1
	s_and_b64 exec, exec, vcc
	s_cbranch_execz .LBB30_12
; %bb.604:                              ;   in Loop: Header=BB30_14 Depth=1
	scratch_load_dword v4, off, off offset:132 ; 4-byte Folded Reload
	v_readlane_b32 s4, v255, 49
	s_waitcnt vmcnt(0)
	v_add_u32_e32 v6, 0, v4
	v_add_u32_e32 v4, v198, v4
	ds_read2_b32 v[2:3], v6 offset0:64 offset1:65
	ds_read2st64_b32 v[4:5], v4 offset1:17
	ds_read_b32 v6, v6 offset:4608
	v_mad_u64_u32 v[8:9], s[4:5], v1, s4, v[122:123]
	v_ashrrev_i32_e32 v9, 31, v8
	s_waitcnt lgkmcnt(1)
	v_cvt_f32_f16_e32 v10, v4
	v_cvt_f32_f16_sdwa v11, v4 dst_sel:DWORD dst_unused:UNUSED_PAD src0_sel:WORD_1
	v_cvt_f32_f16_e32 v4, v5
	v_cvt_f32_f16_sdwa v5, v5 dst_sel:DWORD dst_unused:UNUSED_PAD src0_sel:WORD_1
	v_lshl_add_u64 v[8:9], v[8:9], 3, v[140:141]
	v_pk_fma_f32 v[10:11], v[2:3], v[10:11], 0 op_sel_hi:[0,1,0]
	s_waitcnt lgkmcnt(0)
	v_pk_fma_f32 v[4:5], v[6:7], v[4:5], v[10:11] op_sel_hi:[0,1,1]
	v_div_scale_f32 v1, s[4:5], v3, v3, v5
	v_rcp_f32_e32 v2, v1
	s_nop 0
	v_fma_f32 v6, -v1, v2, 1.0
	v_fmac_f32_e32 v2, v6, v2
	v_div_scale_f32 v6, vcc, v5, v3, v5
	v_mul_f32_e32 v7, v6, v2
	v_fma_f32 v10, -v1, v7, v6
	v_fmac_f32_e32 v7, v10, v2
	v_fma_f32 v1, -v1, v7, v6
	v_div_fmas_f32 v1, v1, v2, v7
	v_div_fixup_f32 v5, v1, v3, v5
	v_div_scale_f32 v1, s[4:5], v3, v3, v4
	v_rcp_f32_e32 v2, v1
	s_nop 0
	v_fma_f32 v6, -v1, v2, 1.0
	v_fmac_f32_e32 v2, v6, v2
	v_div_scale_f32 v6, vcc, v4, v3, v4
	v_mul_f32_e32 v7, v6, v2
	v_fma_f32 v10, -v1, v7, v6
	v_fmac_f32_e32 v7, v10, v2
	v_fma_f32 v1, -v1, v7, v6
	v_div_fmas_f32 v1, v1, v2, v7
	v_div_fixup_f32 v4, v1, v3, v4
	global_store_dwordx2 v[8:9], v[4:5], off
	s_branch .LBB30_12
.LBB30_605:                             ;   in Loop: Header=BB30_14 Depth=1
                                        ; implicit-def: $vgpr2_vgpr3_vgpr4_vgpr5
                                        ; implicit-def: $vgpr6_vgpr7_vgpr8_vgpr9
	s_branch .LBB30_145
.LBB30_606:                             ;   in Loop: Header=BB30_14 Depth=1
                                        ; implicit-def: $vgpr2_vgpr3_vgpr4_vgpr5
                                        ; implicit-def: $vgpr6_vgpr7_vgpr8_vgpr9
	s_branch .LBB30_438
.LBB30_607:
	scratch_load_dword v23, off, off offset:88 ; 4-byte Folded Reload
	v_readlane_b32 s54, v255, 23
	v_readlane_b32 s12, v255, 30
	;; [unrolled: 1-line block ×8, first 2 shown]
	v_lshlrev_b32_e32 v240, 4, v123
	v_lshlrev_b32_e32 v241, 3, v123
	v_readlane_b32 s17, v255, 47
	s_andn2_b64 vcc, exec, s[4:5]
	s_cbranch_vccnz .LBB30_10
.LBB30_608:
	v_readlane_b32 s7, v255, 6
	s_abs_i32 s0, s7
	v_cvt_f32_u32_e32 v1, s0
	s_sub_i32 s3, 0, s0
	s_abs_i32 s2, s6
	s_xor_b32 s1, s6, s7
	v_rcp_iflag_f32_e32 v1, v1
	s_ashr_i32 s1, s1, 31
	v_readlane_b32 s8, v255, 5
	s_mov_b64 s[28:29], 0
	v_mul_f32_e32 v1, 0x4f7ffffe, v1
	v_cvt_u32_f32_e32 v1, v1
	s_nop 0
	v_readfirstlane_b32 s4, v1
	s_mul_i32 s3, s3, s4
	s_mul_hi_u32 s3, s4, s3
	s_add_i32 s4, s4, s3
	s_mul_hi_u32 s3, s2, s4
	s_mul_i32 s4, s3, s0
	s_sub_i32 s2, s2, s4
	s_add_i32 s5, s3, 1
	s_sub_i32 s4, s2, s0
	s_cmp_ge_u32 s2, s0
	s_cselect_b32 s3, s5, s3
	s_cselect_b32 s2, s4, s2
	s_add_i32 s4, s3, 1
	s_cmp_ge_u32 s2, s0
	s_cselect_b32 s0, s4, s3
	s_abs_i32 s3, s8
	v_cvt_f32_u32_e32 v1, s3
	s_xor_b32 s0, s0, s1
	s_sub_i32 s2, s0, s1
	s_mul_i32 s0, s2, s7
	v_rcp_iflag_f32_e32 v1, v1
	s_sub_i32 s4, 0, s3
	s_sub_i32 s0, s6, s0
	s_abs_i32 s5, s0
	v_mul_f32_e32 v1, 0x4f7ffffe, v1
	v_cvt_u32_f32_e32 v1, v1
	s_xor_b32 s1, s0, s8
	s_ashr_i32 s1, s1, 31
	v_readfirstlane_b32 s6, v1
	s_mul_i32 s4, s4, s6
	s_mul_hi_u32 s4, s6, s4
	s_add_i32 s6, s6, s4
	s_mul_hi_u32 s4, s5, s6
	s_mul_i32 s6, s4, s3
	s_sub_i32 s5, s5, s6
	s_add_i32 s7, s4, 1
	s_sub_i32 s6, s5, s3
	s_cmp_ge_u32 s5, s3
	s_cselect_b32 s4, s7, s4
	s_cselect_b32 s5, s6, s5
	s_add_i32 s6, s4, 1
	s_cmp_ge_u32 s5, s3
	s_cselect_b32 s3, s6, s4
	s_abs_i32 s4, s94
	v_cvt_f32_u32_e32 v1, s4
	s_xor_b32 s3, s3, s1
	s_sub_i32 s5, 0, s4
	s_sub_i32 s3, s3, s1
	v_rcp_iflag_f32_e32 v1, v1
	s_mul_i32 s1, s3, s8
	s_sub_i32 s1, s0, s1
	s_abs_i32 s6, s1
	v_mul_f32_e32 v1, 0x4f7ffffe, v1
	v_cvt_u32_f32_e32 v1, v1
	s_xor_b32 s0, s1, s94
	s_ashr_i32 s0, s0, 31
	v_readfirstlane_b32 s7, v1
	s_mul_i32 s5, s5, s7
	s_mul_hi_u32 s5, s7, s5
	s_add_i32 s7, s7, s5
	s_mul_hi_u32 s5, s6, s7
	s_mul_i32 s7, s5, s4
	s_sub_i32 s6, s6, s7
	s_add_i32 s8, s5, 1
	s_sub_i32 s7, s6, s4
	s_cmp_ge_u32 s6, s4
	s_cselect_b32 s5, s8, s5
	s_cselect_b32 s6, s7, s6
	s_add_i32 s7, s5, 1
	s_cmp_ge_u32 s6, s4
	s_cselect_b32 s4, s7, s5
	s_xor_b32 s4, s4, s0
	s_sub_i32 s0, s4, s0
	s_mul_i32 s4, s0, s94
	s_sub_i32 s1, s1, s4
	s_abs_i32 s8, s1
	s_ashr_i32 s6, s2, 31
	s_mul_hi_u32 s7, s8, s85
	s_cmp_eq_u64 s[70:71], 0
	s_cbranch_scc1 .LBB30_610
; %bb.609:
	s_abs_i32 s4, s16
	v_cvt_f32_u32_e32 v1, s4
	s_sub_i32 s9, 0, s4
	s_abs_i32 s5, s2
	v_readlane_b32 s16, v255, 14
	v_rcp_iflag_f32_e32 v1, v1
	v_readlane_b32 s17, v255, 15
	v_mul_f32_e32 v1, 0x4f7ffffe, v1
	v_cvt_u32_f32_e32 v1, v1
	s_nop 0
	v_readfirstlane_b32 s10, v1
	s_mul_i32 s9, s9, s10
	s_mul_hi_u32 s9, s10, s9
	s_add_i32 s10, s10, s9
	s_mul_hi_u32 s9, s5, s10
	s_mul_i32 s9, s9, s4
	s_sub_i32 s5, s5, s9
	s_sub_i32 s9, s5, s4
	s_cmp_ge_u32 s5, s4
	s_cselect_b32 s5, s9, s5
	s_sub_i32 s9, s5, s4
	s_cmp_ge_u32 s5, s4
	s_cselect_b32 s4, s9, s5
	s_xor_b32 s4, s4, s6
	s_sub_i32 s4, s4, s6
	s_ashr_i32 s5, s4, 31
	s_mul_hi_u32 s9, s16, s4
	s_mul_i32 s5, s16, s5
	s_mul_i32 s10, s17, s4
	s_add_i32 s5, s9, s5
	s_add_i32 s5, s5, s10
	s_mul_i32 s4, s16, s4
	s_add_u32 s28, s70, s4
	s_addc_u32 s29, s71, s5
.LBB30_610:
	s_ashr_i32 s10, s1, 31
	v_readlane_b32 s1, v255, 2
	s_mul_i32 s9, s3, s1
	s_add_i32 s9, s9, s0
	v_cmp_le_f32_e64 s[0:1], s13, 0
	s_and_b64 vcc, exec, s[0:1]
	v_mov_b32_e32 v72, 1.0
	s_cbranch_vccnz .LBB30_612
; %bb.611:
	v_mov_b32_e32 v1, s92
	v_sub_co_u32_e32 v1, vcc, s9, v1
	v_mov_b32_e32 v2, s15
	v_mov_b32_e32 v3, s14
	s_add_i32 s0, s9, 1
	v_lshlrev_b32_e32 v1, 1, v1
	v_cndmask_b32_e32 v2, v2, v3, vcc
	v_or_b32_e32 v1, 1, v1
	v_mov_b32_e32 v3, s0
	v_cndmask_b32_e32 v1, v1, v3, vcc
	v_cvt_f32_i32_e32 v1, v1
	v_cmp_neq_f32_e32 vcc, 1.0, v2
	s_mov_b32 s0, 0x3f2aaaab
	s_movk_i32 s4, 0x204
	v_cndmask_b32_e32 v1, 1.0, v1, vcc
	v_cmp_neq_f32_e32 vcc, 0, v1
	s_mov_b32 s1, 0x42b17218
	s_mov_b32 s5, 0x3fb8aa3b
	v_cndmask_b32_e32 v18, 1.0, v2, vcc
	v_frexp_mant_f32_e64 v2, |v18|
	v_cmp_gt_f32_e32 vcc, s0, v2
	s_mov_b32 s0, 0x3f317218
	s_brev_b32 s11, -2
	v_cndmask_b32_e64 v3, 1.0, 2.0, vcc
	v_mul_f32_e32 v2, v2, v3
	v_add_f32_e32 v5, 1.0, v2
	v_rcp_f32_e32 v10, v5
	v_add_f32_e32 v3, -1.0, v5
	v_sub_f32_e32 v7, v2, v3
	v_add_f32_e32 v3, -1.0, v2
	v_mul_f32_e32 v11, v3, v10
	v_mul_f32_e32 v4, v5, v11
	v_fma_f32 v6, v11, v5, -v4
	v_fmac_f32_e32 v6, v11, v7
	v_add_f32_e32 v2, v4, v6
	v_sub_f32_e32 v5, v3, v2
	v_pk_add_f32 v[8:9], v[2:3], v[4:5] neg_lo:[0,1] neg_hi:[0,1]
	v_mov_b32_e32 v7, v2
	v_pk_add_f32 v[2:3], v[8:9], v[6:7] neg_lo:[0,1] neg_hi:[0,1]
	v_mov_b32_e32 v6, 0x3e91f4c4
	v_add_f32_e32 v2, v2, v3
	v_add_f32_e32 v2, v5, v2
	v_mul_f32_e32 v3, v10, v2
	v_add_f32_e32 v2, v11, v3
	v_sub_f32_e32 v4, v2, v11
	v_sub_f32_e32 v12, v3, v4
	v_mul_f32_e32 v3, v2, v2
	v_fma_f32 v5, v2, v2, -v3
	v_add_f32_e32 v4, v12, v12
	v_fmac_f32_e32 v5, v2, v4
	v_add_f32_e32 v4, v3, v5
	v_fmac_f32_e32 v6, 0x3e76c4e1, v4
	v_fmaak_f32 v6, v4, v6, 0x3ecccdef
	v_sub_f32_e32 v3, v4, v3
	v_sub_f32_e32 v13, v5, v3
	v_mul_f32_e32 v3, v4, v6
	v_fma_f32 v5, v4, v6, -v3
	v_fmac_f32_e32 v5, v13, v6
	v_add_f32_e32 v6, v3, v5
	v_add_f32_e32 v7, 0x3f2aaaaa, v6
	v_sub_f32_e32 v3, v6, v3
	v_sub_f32_e32 v3, v5, v3
	v_add_f32_e32 v5, 0xbf2aaaaa, v7
	v_add_f32_e32 v3, 0x31739010, v3
	v_sub_f32_e32 v5, v6, v5
	v_pk_mul_f32 v[8:9], v[2:3], v[4:5]
	v_pk_add_f32 v[10:11], v[2:3], v[4:5]
	v_fma_f32 v6, v4, v2, -v8
	v_fmac_f32_e32 v6, v4, v12
	v_mov_b32_e32 v9, v11
	v_fmac_f32_e32 v6, v13, v2
	v_pk_add_f32 v[4:5], v[8:9], v[6:7]
	v_ldexp_f32 v14, v12, 1
	v_sub_f32_e32 v3, v4, v8
	v_sub_f32_e32 v3, v6, v3
	;; [unrolled: 1-line block ×3, first 2 shown]
	v_add_f32_e32 v9, v11, v6
	v_pk_mul_f32 v[6:7], v[4:5], v[4:5] op_sel:[0,1] op_sel_hi:[1,0]
	v_cvt_f64_f32_e64 v[10:11], |v18|
	v_frexp_exp_i32_f64_e32 v7, v[10:11]
	v_subbrev_co_u32_e32 v7, vcc, 0, v7, vcc
	v_cvt_f32_i32_e32 v7, v7
	v_fma_f32 v8, v4, v5, -v6
	v_fmac_f32_e32 v8, v4, v9
	v_fmac_f32_e32 v8, v3, v5
	v_mul_f32_e32 v4, 0x3f317218, v7
	v_fma_f32 v3, v7, s0, -v4
	v_fmamk_f32 v10, v7, 0xb102e308, v3
	v_ldexp_f32 v11, v2, 1
	v_add_f32_e32 v5, v6, v8
	v_pk_add_f32 v[2:3], v[4:5], v[10:11]
	v_mov_b32_e32 v12, v5
	v_mov_b32_e32 v13, v3
	;; [unrolled: 1-line block ×3, first 2 shown]
	v_pk_add_f32 v[6:7], v[12:13], v[6:7] neg_lo:[0,1] neg_hi:[0,1]
	v_mov_b32_e32 v9, v5
	v_pk_add_f32 v[6:7], v[8:9], v[6:7] neg_lo:[0,1] neg_hi:[0,1]
	v_mov_b32_e32 v11, v2
	v_add_f32_e32 v5, v14, v6
	v_add_f32_e32 v5, v5, v7
	v_pk_add_f32 v[6:7], v[2:3], v[4:5] neg_lo:[0,1] neg_hi:[0,1]
	v_pk_add_f32 v[8:9], v[2:3], v[4:5]
	v_mov_b32_e32 v16, v3
	v_mov_b32_e32 v7, v9
	v_pk_add_f32 v[12:13], v[10:11], v[6:7] neg_lo:[0,1] neg_hi:[0,1]
	v_pk_add_f32 v[6:7], v[10:11], v[6:7]
	v_mov_b32_e32 v4, v5
	v_pk_add_f32 v[10:11], v[6:7], v[2:3] op_sel:[1,0] op_sel_hi:[0,1] neg_lo:[0,1] neg_hi:[0,1]
	v_pk_add_f32 v[14:15], v[8:9], v[10:11] op_sel_hi:[1,0] neg_lo:[0,1] neg_hi:[0,1]
	v_mov_b32_e32 v8, v9
	v_mov_b32_e32 v9, v7
	;; [unrolled: 1-line block ×3, first 2 shown]
	v_pk_add_f32 v[8:9], v[8:9], v[16:17] neg_lo:[0,1] neg_hi:[0,1]
	v_mov_b32_e32 v5, v2
	v_pk_add_f32 v[2:3], v[4:5], v[8:9] neg_lo:[0,1] neg_hi:[0,1]
	v_mov_b32_e32 v14, v12
	v_pk_add_f32 v[4:5], v[14:15], v[2:3]
	v_mov_b32_e32 v13, v7
	v_pk_add_f32 v[8:9], v[4:5], v[4:5] op_sel:[0,1] op_sel_hi:[1,0]
	s_mov_b32 s0, 0x7f800000
	v_pk_add_f32 v[6:7], v[6:7], v[8:9] op_sel:[1,0] op_sel_hi:[0,1]
	v_mov_b32_e32 v5, v6
	v_pk_add_f32 v[10:11], v[4:5], v[12:13] neg_lo:[0,1] neg_hi:[0,1]
	v_mov_b32_e32 v3, v8
	v_sub_f32_e32 v4, v4, v10
	v_pk_add_f32 v[2:3], v[2:3], v[10:11] neg_lo:[0,1] neg_hi:[0,1]
	v_sub_f32_e32 v4, v12, v4
	v_add_f32_e32 v2, v2, v4
	v_add_f32_e32 v2, v2, v3
	;; [unrolled: 1-line block ×3, first 2 shown]
	v_sub_f32_e32 v4, v3, v6
	v_sub_f32_e32 v2, v2, v4
	v_mul_f32_e32 v4, v1, v3
	v_fma_f32 v3, v1, v3, -v4
	v_fmac_f32_e32 v3, v1, v2
	v_add_f32_e32 v2, v4, v3
	v_cmp_class_f32_e64 vcc, v4, s4
	v_sub_f32_e32 v5, v2, v4
	v_sub_f32_e32 v3, v3, v5
	v_cndmask_b32_e32 v2, v2, v4, vcc
	v_mov_b32_e32 v4, 0x37000000
	v_cmp_eq_f32_e32 vcc, s1, v2
	v_cmp_class_f32_e64 s[12:13], v18, s4
	s_nop 0
	v_cndmask_b32_e32 v4, 0, v4, vcc
	v_sub_f32_e32 v5, v2, v4
	v_mul_f32_e32 v6, 0x3fb8aa3b, v5
	v_fma_f32 v7, v5, s5, -v6
	v_rndne_f32_e32 v8, v6
	v_fmamk_f32 v7, v5, 0x32a5705f, v7
	v_sub_f32_e32 v6, v6, v8
	v_add_f32_e32 v6, v6, v7
	v_exp_f32_e32 v6, v6
	v_cvt_i32_f32_e32 v7, v8
	v_cmp_neq_f32_e64 vcc, |v2|, s0
	s_mov_b32 s0, 0xc2ce8ed0
	s_nop 0
	v_cndmask_b32_e32 v2, 0, v3, vcc
	v_ldexp_f32 v3, v6, v7
	v_cmp_ngt_f32_e32 vcc, s0, v5
	v_add_f32_e32 v2, v4, v2
	v_mov_b32_e32 v4, 0x7f800000
	v_cndmask_b32_e32 v3, 0, v3, vcc
	v_cmp_nlt_f32_e32 vcc, s1, v5
	v_mov_b32_e32 v5, 0x7fc00000
	s_nop 0
	v_cndmask_b32_e32 v3, v4, v3, vcc
	v_fma_f32 v2, v3, v2, v3
	v_cmp_class_f32_e64 vcc, v3, s4
	v_cmp_gt_f32_e64 s[4:5], 0, v1
	s_nop 0
	v_cndmask_b32_e32 v2, v2, v3, vcc
	v_trunc_f32_e32 v3, v1
	v_cmp_eq_f32_e32 vcc, v3, v1
	v_mul_f32_e32 v3, 0.5, v1
	v_trunc_f32_e32 v6, v3
	v_cmp_neq_f32_e64 s[0:1], v6, v3
	s_and_b64 s[0:1], vcc, s[0:1]
	s_nop 0
	v_cndmask_b32_e64 v3, 1.0, v18, s[0:1]
	v_bfi_b32 v2, s11, v2, v3
	v_cndmask_b32_e32 v3, v5, v2, vcc
	v_cmp_gt_f32_e32 vcc, 0, v18
	s_nop 1
	v_cndmask_b32_e32 v2, v2, v3, vcc
	v_cmp_eq_f32_e32 vcc, 0, v18
	s_xor_b64 s[4:5], s[4:5], vcc
	v_cndmask_b32_e64 v1, v4, 0, s[4:5]
	v_cndmask_b32_e64 v3, 0, v18, s[0:1]
	v_bfi_b32 v1, s11, v1, v3
	s_or_b64 vcc, vcc, s[12:13]
	v_cndmask_b32_e32 v1, v2, v1, vcc
	v_cmp_o_f32_e32 vcc, v18, v18
	s_nop 1
	v_cndmask_b32_e32 v72, v5, v1, vcc
.LBB30_612:
	s_mul_i32 s1, s7, s33
	v_readlane_b32 s0, v255, 22
	s_sub_i32 s1, s8, s1
	s_xor_b32 s0, s10, s0
	s_add_i32 s4, s7, 1
	s_sub_i32 s5, s1, s33
	s_cmp_ge_u32 s1, s33
	s_cselect_b32 s4, s4, s7
	s_cselect_b32 s1, s5, s1
	s_add_i32 s5, s4, 1
	s_cmp_ge_u32 s1, s33
	s_cselect_b32 s1, s5, s4
	s_xor_b32 s1, s1, s0
	s_sub_i32 s4, s1, s0
	s_cmp_eq_u64 s[74:75], 0
	v_mov_b32_e32 v32, s87
	s_cbranch_scc1 .LBB30_614
; %bb.613:
	v_readlane_b32 s0, v255, 0
	s_mul_i32 s0, s2, s0
	s_add_i32 s0, s4, s0
	s_ashr_i32 s1, s0, 31
	s_lshl_b64 s[0:1], s[0:1], 2
	s_add_u32 s0, s74, s0
	s_addc_u32 s1, s75, s1
	v_mov_b32_e32 v1, 0
	global_load_dword v1, v1, s[0:1]
	s_waitcnt vmcnt(0)
	v_ashrrev_i32_e32 v2, 31, v1
	v_lshrrev_b32_e32 v2, 26, v2
	v_add_u32_e32 v1, v1, v2
	v_ashrrev_i32_e32 v1, 6, v1
	v_min_i32_e32 v32, s87, v1
.LBB30_614:
	v_readlane_b32 s10, v255, 8
	v_readlane_b32 s11, v255, 9
	s_mul_i32 s0, s2, s11
	s_ashr_i32 s1, s0, 31
	s_add_u32 s0, s64, s0
	s_mul_i32 s9, s9, s10
	s_addc_u32 s1, s65, s1
	s_ashr_i32 s5, s9, 31
	s_add_u32 s0, s0, s9
	s_addc_u32 s1, s1, s5
	s_lshl_b32 s7, s4, 6
	v_and_b32_e32 v70, 0x3ff, v0
	v_add_u32_e32 v141, s7, v123
	s_mov_b32 s8, 0x10001
	v_lshl_add_u32 v71, v70, 2, 0
	v_cmp_le_i32_e32 vcc, s80, v141
	s_and_saveexec_b64 s[4:5], vcc
	s_xor_b64 s[4:5], exec, s[4:5]
; %bb.615:
	s_movk_i32 s9, 0x210
	v_mad_u32_u24 v0, v123, s9, v71
	v_mov_b32_e32 v1, 0
	ds_write2st64_b32 v0, v1, v1 offset1:1
; %bb.616:
	s_or_saveexec_b64 s[4:5], s[4:5]
	s_waitcnt vmcnt(0)
	v_mul_lo_u32 v0, v23, s8
	v_lshlrev_b32_e32 v140, 2, v70
	s_xor_b64 exec, exec, s[4:5]
	s_cbranch_execz .LBB30_618
; %bb.617:
	v_mad_u64_u32 v[2:3], s[8:9], v141, s42, v[70:71]
	v_ashrrev_i32_e32 v3, 31, v2
	v_lshl_add_u64 v[2:3], v[2:3], 3, s[0:1]
	global_load_dwordx2 v[4:5], v[2:3], off
	global_load_dwordx2 v[6:7], v[2:3], off offset:512
	v_mul_u32_u24_e32 v1, 0x210, v123
	v_add3_u32 v1, 0, v1, v140
	s_waitcnt vmcnt(1)
	v_cvt_pk_f16_f32 v2, v4, v5
	s_waitcnt vmcnt(0)
	v_cvt_pk_f16_f32 v3, v6, v7
	v_pk_mul_f16 v2, v2, v0
	v_pk_mul_f16 v3, v3, v0
	ds_write2st64_b32 v1, v2, v3 offset1:1
.LBB30_618:
	s_or_b64 exec, exec, s[4:5]
	v_add_u32_e32 v142, s7, v196
	v_cmp_le_i32_e32 vcc, s80, v142
	s_and_saveexec_b64 s[4:5], vcc
	s_xor_b64 s[4:5], exec, s[4:5]
; %bb.619:
	s_movk_i32 s8, 0x210
	v_mad_u32_u24 v1, v196, s8, v71
	v_mov_b32_e32 v2, 0
	ds_write2st64_b32 v1, v2, v2 offset1:1
                                        ; implicit-def: $vgpr196
; %bb.620:
	s_andn2_saveexec_b64 s[4:5], s[4:5]
	s_cbranch_execz .LBB30_622
; %bb.621:
	v_mad_u64_u32 v[2:3], s[8:9], v142, s42, v[70:71]
	v_ashrrev_i32_e32 v3, 31, v2
	v_lshl_add_u64 v[2:3], v[2:3], 3, s[0:1]
	global_load_dwordx2 v[4:5], v[2:3], off
	global_load_dwordx2 v[6:7], v[2:3], off offset:512
	v_mul_u32_u24_e32 v1, 0x210, v196
	v_add3_u32 v1, 0, v1, v140
	s_waitcnt vmcnt(1)
	v_cvt_pk_f16_f32 v2, v4, v5
	s_waitcnt vmcnt(0)
	v_cvt_pk_f16_f32 v3, v6, v7
	v_pk_mul_f16 v2, v2, v0
	v_pk_mul_f16 v3, v3, v0
	ds_write2st64_b32 v1, v2, v3 offset1:1
.LBB30_622:
	s_or_b64 exec, exec, s[4:5]
	v_add_u32_e32 v143, s7, v195
	v_cmp_le_i32_e32 vcc, s80, v143
	s_and_saveexec_b64 s[4:5], vcc
	s_xor_b64 s[4:5], exec, s[4:5]
; %bb.623:
	s_movk_i32 s8, 0x210
	v_mad_u32_u24 v1, v195, s8, v71
	v_mov_b32_e32 v2, 0
	ds_write2st64_b32 v1, v2, v2 offset1:1
                                        ; implicit-def: $vgpr195
; %bb.624:
	s_andn2_saveexec_b64 s[4:5], s[4:5]
	s_cbranch_execz .LBB30_626
; %bb.625:
	v_mad_u64_u32 v[2:3], s[8:9], v143, s42, v[70:71]
	v_ashrrev_i32_e32 v3, 31, v2
	v_lshl_add_u64 v[2:3], v[2:3], 3, s[0:1]
	global_load_dwordx2 v[4:5], v[2:3], off
	global_load_dwordx2 v[6:7], v[2:3], off offset:512
	v_mul_u32_u24_e32 v1, 0x210, v195
	v_add3_u32 v1, 0, v1, v140
	s_waitcnt vmcnt(1)
	v_cvt_pk_f16_f32 v2, v4, v5
	s_waitcnt vmcnt(0)
	v_cvt_pk_f16_f32 v3, v6, v7
	v_pk_mul_f16 v2, v2, v0
	v_pk_mul_f16 v3, v3, v0
	ds_write2st64_b32 v1, v2, v3 offset1:1
.LBB30_626:
	s_or_b64 exec, exec, s[4:5]
	v_add_u32_e32 v144, s7, v194
	v_cmp_le_i32_e32 vcc, s80, v144
	s_and_saveexec_b64 s[4:5], vcc
	s_xor_b64 s[4:5], exec, s[4:5]
; %bb.627:
	s_movk_i32 s8, 0x210
	v_mad_u32_u24 v1, v194, s8, v71
	v_mov_b32_e32 v2, 0
	ds_write2st64_b32 v1, v2, v2 offset1:1
                                        ; implicit-def: $vgpr194
; %bb.628:
	s_andn2_saveexec_b64 s[4:5], s[4:5]
	s_cbranch_execz .LBB30_630
; %bb.629:
	v_mad_u64_u32 v[2:3], s[8:9], v144, s42, v[70:71]
	v_ashrrev_i32_e32 v3, 31, v2
	v_lshl_add_u64 v[2:3], v[2:3], 3, s[0:1]
	global_load_dwordx2 v[4:5], v[2:3], off
	global_load_dwordx2 v[6:7], v[2:3], off offset:512
	v_mul_u32_u24_e32 v1, 0x210, v194
	v_add3_u32 v1, 0, v1, v140
	s_waitcnt vmcnt(1)
	v_cvt_pk_f16_f32 v2, v4, v5
	s_waitcnt vmcnt(0)
	v_cvt_pk_f16_f32 v3, v6, v7
	v_pk_mul_f16 v2, v2, v0
	v_pk_mul_f16 v3, v3, v0
	ds_write2st64_b32 v1, v2, v3 offset1:1
.LBB30_630:
	s_or_b64 exec, exec, s[4:5]
	v_add_u32_e32 v145, s7, v193
	v_cmp_le_i32_e32 vcc, s80, v145
	s_and_saveexec_b64 s[4:5], vcc
	s_xor_b64 s[4:5], exec, s[4:5]
; %bb.631:
	s_movk_i32 s8, 0x210
	v_mad_u32_u24 v1, v193, s8, v71
	v_mov_b32_e32 v2, 0
	ds_write2st64_b32 v1, v2, v2 offset1:1
                                        ; implicit-def: $vgpr193
; %bb.632:
	s_andn2_saveexec_b64 s[4:5], s[4:5]
	s_cbranch_execz .LBB30_634
; %bb.633:
	v_mad_u64_u32 v[2:3], s[8:9], v145, s42, v[70:71]
	v_ashrrev_i32_e32 v3, 31, v2
	v_lshl_add_u64 v[2:3], v[2:3], 3, s[0:1]
	global_load_dwordx2 v[4:5], v[2:3], off
	global_load_dwordx2 v[6:7], v[2:3], off offset:512
	v_mul_u32_u24_e32 v1, 0x210, v193
	v_add3_u32 v1, 0, v1, v140
	s_waitcnt vmcnt(1)
	v_cvt_pk_f16_f32 v2, v4, v5
	s_waitcnt vmcnt(0)
	v_cvt_pk_f16_f32 v3, v6, v7
	v_pk_mul_f16 v2, v2, v0
	v_pk_mul_f16 v3, v3, v0
	ds_write2st64_b32 v1, v2, v3 offset1:1
.LBB30_634:
	s_or_b64 exec, exec, s[4:5]
	v_add_u32_e32 v146, s7, v192
	v_cmp_le_i32_e32 vcc, s80, v146
	s_and_saveexec_b64 s[4:5], vcc
	s_xor_b64 s[4:5], exec, s[4:5]
; %bb.635:
	s_movk_i32 s8, 0x210
	v_mad_u32_u24 v1, v192, s8, v71
	v_mov_b32_e32 v2, 0
	ds_write2st64_b32 v1, v2, v2 offset1:1
                                        ; implicit-def: $vgpr192
; %bb.636:
	s_andn2_saveexec_b64 s[4:5], s[4:5]
	s_cbranch_execz .LBB30_638
; %bb.637:
	v_mad_u64_u32 v[2:3], s[8:9], v146, s42, v[70:71]
	v_ashrrev_i32_e32 v3, 31, v2
	v_lshl_add_u64 v[2:3], v[2:3], 3, s[0:1]
	global_load_dwordx2 v[4:5], v[2:3], off
	global_load_dwordx2 v[6:7], v[2:3], off offset:512
	v_mul_u32_u24_e32 v1, 0x210, v192
	v_add3_u32 v1, 0, v1, v140
	s_waitcnt vmcnt(1)
	v_cvt_pk_f16_f32 v2, v4, v5
	s_waitcnt vmcnt(0)
	v_cvt_pk_f16_f32 v3, v6, v7
	v_pk_mul_f16 v2, v2, v0
	v_pk_mul_f16 v3, v3, v0
	ds_write2st64_b32 v1, v2, v3 offset1:1
.LBB30_638:
	s_or_b64 exec, exec, s[4:5]
	v_add_u32_e32 v148, s7, v99
	v_cmp_le_i32_e32 vcc, s80, v148
	s_and_saveexec_b64 s[4:5], vcc
	s_xor_b64 s[4:5], exec, s[4:5]
; %bb.639:
	s_movk_i32 s8, 0x210
	v_mad_u32_u24 v1, v99, s8, v71
	v_mov_b32_e32 v2, 0
	ds_write2st64_b32 v1, v2, v2 offset1:1
                                        ; implicit-def: $vgpr99
; %bb.640:
	s_andn2_saveexec_b64 s[4:5], s[4:5]
	s_cbranch_execz .LBB30_642
; %bb.641:
	v_mad_u64_u32 v[2:3], s[8:9], v148, s42, v[70:71]
	v_ashrrev_i32_e32 v3, 31, v2
	v_lshl_add_u64 v[2:3], v[2:3], 3, s[0:1]
	global_load_dwordx2 v[4:5], v[2:3], off
	global_load_dwordx2 v[6:7], v[2:3], off offset:512
	v_mul_u32_u24_e32 v1, 0x210, v99
	v_add3_u32 v1, 0, v1, v140
	s_waitcnt vmcnt(1)
	v_cvt_pk_f16_f32 v2, v4, v5
	s_waitcnt vmcnt(0)
	v_cvt_pk_f16_f32 v3, v6, v7
	v_pk_mul_f16 v2, v2, v0
	v_pk_mul_f16 v3, v3, v0
	ds_write2st64_b32 v1, v2, v3 offset1:1
.LBB30_642:
	s_or_b64 exec, exec, s[4:5]
	v_add_u32_e32 v149, s7, v95
	v_cmp_le_i32_e32 vcc, s80, v149
	s_and_saveexec_b64 s[4:5], vcc
	s_xor_b64 s[4:5], exec, s[4:5]
; %bb.643:
	s_movk_i32 s7, 0x210
	v_mad_u32_u24 v0, v95, s7, v71
	v_mov_b32_e32 v1, 0
	ds_write2st64_b32 v0, v1, v1 offset1:1
                                        ; implicit-def: $vgpr95
                                        ; implicit-def: $vgpr0
; %bb.644:
	s_andn2_saveexec_b64 s[4:5], s[4:5]
	s_cbranch_execz .LBB30_646
; %bb.645:
	v_mad_u64_u32 v[2:3], s[8:9], v149, s42, v[70:71]
	v_ashrrev_i32_e32 v3, 31, v2
	v_lshl_add_u64 v[2:3], v[2:3], 3, s[0:1]
	global_load_dwordx2 v[4:5], v[2:3], off
	global_load_dwordx2 v[6:7], v[2:3], off offset:512
	v_mul_u32_u24_e32 v1, 0x210, v95
	v_add3_u32 v1, 0, v1, v140
	s_waitcnt vmcnt(1)
	v_cvt_pk_f16_f32 v2, v4, v5
	s_waitcnt vmcnt(0)
	v_cvt_pk_f16_f32 v3, v6, v7
	v_pk_mul_f16 v2, v2, v0
	v_pk_mul_f16 v0, v3, v0
	ds_write2st64_b32 v1, v2, v0 offset1:1
.LBB30_646:
	s_or_b64 exec, exec, s[4:5]
	v_lshrrev_b32_e32 v1, 3, v70
	v_readlane_b32 s4, v255, 12
	v_and_b32_e32 v33, 0x1ff0, v241
	s_movk_i32 s34, 0x210
	v_and_b32_e32 v118, 15, v70
	v_and_b32_e32 v1, 0x7e, v1
	v_readlane_b32 s5, v255, 13
	s_mul_i32 s0, s4, s6
	s_mul_hi_u32 s1, s4, s2
	v_mad_u32_u24 v0, v33, s34, 0
	v_mul_u32_u24_e32 v147, 0x210, v118
	v_lshlrev_b32_e32 v119, 2, v1
	s_add_i32 s0, s1, s0
	s_mul_i32 s1, s5, s2
	v_readlane_b32 s8, v255, 18
	v_add3_u32 v0, v0, v147, v119
	s_add_i32 s0, s0, s1
	s_mul_i32 s1, s4, s2
	v_readlane_b32 s11, v255, 21
	s_waitcnt lgkmcnt(0)
	s_barrier
	ds_read2_b64 v[28:31], v0 offset1:4
	ds_read2_b64 v[24:27], v0 offset0:8 offset1:12
	ds_read2_b64 v[20:23], v0 offset0:16 offset1:20
	ds_read2_b64 v[16:19], v0 offset0:24 offset1:28
	ds_read2_b64 v[12:15], v0 offset0:32 offset1:36
	ds_read2_b64 v[8:11], v0 offset0:40 offset1:44
	ds_read2_b64 v[4:7], v0 offset0:48 offset1:52
	ds_read2_b64 v[0:3], v0 offset0:56 offset1:60
	s_add_u32 s1, s68, s1
	s_mul_i32 s4, s3, s11
	s_addc_u32 s0, s69, s0
	s_ashr_i32 s5, s4, 31
	s_add_u32 s33, s1, s4
	v_readlane_b32 s9, v255, 19
	s_addc_u32 s38, s0, s5
	s_mul_i32 s0, s8, s6
	s_mul_hi_u32 s1, s8, s2
	s_add_i32 s0, s1, s0
	s_mul_i32 s1, s9, s2
	v_readlane_b32 s4, v255, 16
	s_add_i32 s0, s0, s1
	s_mul_i32 s1, s8, s2
	v_readlane_b32 s5, v255, 17
	s_add_u32 s1, s66, s1
	s_mul_i32 s3, s3, s5
	s_addc_u32 s0, s67, s0
	s_ashr_i32 s2, s3, 31
	v_add_u32_e32 v151, -1, v32
	s_add_u32 s39, s1, s3
	v_cmp_ge_i32_e32 vcc, s40, v151
	s_addc_u32 s41, s0, s2
	s_mov_b32 s42, 0
	s_and_b64 vcc, exec, vcc
	v_or_b32_e32 v139, v33, v118
	v_lshlrev_b32_e32 v74, 1, v70
	v_mbcnt_lo_u32_b32 v137, -1, 0
	v_and_b32_e32 v136, 8, v241
	v_lshrrev_b32_e32 v150, 5, v70
	v_lshrrev_b32_e32 v138, 2, v70
	v_lshlrev_b32_e32 v135, 1, v118
	v_readlane_b32 s10, v255, 20
	s_waitcnt lgkmcnt(0)
	s_barrier
	s_cbranch_vccnz .LBB30_692
; %bb.647:
	v_mul_hi_u32 v32, s98, v141
	v_add_u32_e32 v32, v141, v32
	v_lshrrev_b32_e32 v32, s99, v32
	v_mul_lo_u32 v32, v32, s80
	v_sub_u32_e32 v32, v141, v32
	v_mad_i64_i32 v[80:81], s[4:5], v32, s62, 0
	v_mul_hi_u32 v32, s98, v142
	v_add_u32_e32 v32, v142, v32
	v_lshrrev_b32_e32 v32, s99, v32
	v_mul_lo_u32 v32, v32, s80
	v_sub_u32_e32 v32, v142, v32
	v_mad_i64_i32 v[82:83], s[4:5], v32, s62, 0
	;; [unrolled: 6-line block ×8, first 2 shown]
	v_mbcnt_hi_u32_b32 v32, -1, v137
	v_and_b32_e32 v37, 64, v32
	v_add_u32_e32 v37, 64, v37
	v_xor_b32_e32 v38, 32, v32
	v_mov_b32_e32 v77, 0
	v_cmp_lt_i32_e32 vcc, v38, v37
	v_mov_b32_e32 v75, v77
	v_lshl_add_u64 v[78:79], s[28:29], 0, v[74:75]
	v_cndmask_b32_e32 v38, v32, v38, vcc
	v_lshlrev_b32_e32 v75, 2, v38
	v_xor_b32_e32 v38, 16, v32
	v_cmp_lt_i32_e32 vcc, v38, v37
	s_mov_b64 s[2:3], src_private_base
	s_cmp_lg_u64 s[28:29], 0
	v_cndmask_b32_e32 v32, v32, v38, vcc
	v_lshlrev_b32_e32 v152, 2, v32
	v_lshl_add_u32 v38, v123, 1, v150
	v_and_b32_e32 v32, 0x7c, v140
	v_mul_u32_u24_e32 v39, 0x210, v38
	v_lshlrev_b32_e32 v40, 2, v32
	s_movk_i32 s2, 0x90
	v_add3_u32 v153, 0, v39, v40
	v_lshrrev_b32_e32 v40, 2, v70
	s_cselect_b64 s[30:31], -1, 0
	v_and_b32_e32 v35, 16, v240
	v_mul_lo_u32 v96, s96, v38
	s_lshl_b32 s10, s96, 4
	v_and_b32_e32 v41, 0xfc, v40
	v_mad_u32_u24 v43, v139, s2, 0
	v_mul_lo_u32 v104, s82, v38
	s_lshl_b32 s2, s82, 4
	v_mul_u32_u24_e32 v36, 0x210, v35
	v_add_u32_e32 v98, s10, v96
	v_add_u32_e32 v42, v41, v35
	v_add_u16_e32 v35, v41, v35
	v_add_u32_e32 v106, s2, v104
	v_mul_u32_u24_e32 v37, 0x420, v136
	v_cmp_gt_u32_e64 s[26:27], 64, v38
	v_cmp_gt_u32_e64 s[4:5], 48, v38
	;; [unrolled: 1-line block ×3, first 2 shown]
	v_add_u32_e32 v100, s10, v98
	v_cmp_gt_u32_e64 s[8:9], 16, v38
	v_lshrrev_b16_e32 v35, 1, v35
	v_add_u32_e32 v108, s2, v106
	v_or_b32_e32 v38, 3, v40
	v_add_u32_e32 v33, 0, v74
	v_mul_u32_u24_e32 v34, 0x90, v123
	v_add_u32_e32 v102, s10, v100
	v_add3_u32 v39, 0, v147, v119
	v_lshl_add_u32 v35, v35, 2, v43
	v_lshl_add_u32 v43, v42, 1, v43
	v_add_u32_e32 v110, s2, v108
	v_add3_u32 v37, 0, v37, v135
	v_mul_u32_u24_e32 v38, 0x210, v38
	v_cmp_lt_u32_e64 s[0:1], 63, v70
	v_ashrrev_i32_e32 v97, 31, v96
	v_add_u32_e32 v154, 0x2100, v153
	v_ashrrev_i32_e32 v99, 31, v98
	v_add_u32_e32 v155, 0x4200, v153
	;; [unrolled: 2-line block ×4, first 2 shown]
	v_add_u32_e32 v158, 0x44, v43
	v_ashrrev_i32_e32 v105, 31, v104
	v_ashrrev_i32_e32 v107, 31, v106
	v_ashrrev_i32_e32 v109, 31, v108
	v_ashrrev_i32_e32 v111, 31, v110
	v_cmp_gt_u32_e64 s[10:11], 64, v42
	v_cmp_gt_u32_e64 s[12:13], 63, v42
	;; [unrolled: 1-line block ×8, first 2 shown]
	v_mad_u32_u24 v159, v41, s34, v37
	v_mov_b32_e32 v112, v72
	v_mov_b32_e32 v113, v72
	s_lshl_b32 s34, s40, 6
	v_mov_b32_e32 v64, 0xfeffffff
	v_lshlrev_b32_e32 v76, 2, v32
	v_add_u32_e32 v160, v39, v36
	s_mov_b32 s2, 0x3f200000
	s_mov_b32 s43, 0x3fb8aa3b
	;; [unrolled: 1-line block ×4, first 2 shown]
	v_mov_b32_e32 v161, 0x3ca908c9
	s_brev_b32 s46, -2
	v_add_u32_e32 v162, 0x8400, v35
	s_mov_b32 s47, 0xc1a00000
	v_add_u32_e32 v163, v37, v38
	s_mov_b32 s48, 0x5040100
	v_add_u32_e32 v164, v33, v34
	v_mov_b32_e32 v165, 0
	v_mov_b32_e32 v176, v77
	v_mov_b32_e32 v177, v77
	v_mov_b32_e32 v178, v77
	v_mov_b32_e32 v179, v77
	v_mov_b32_e32 v166, 0x7f800000
	v_mov_b32_e32 v167, v77
	v_mov_b32_e32 v121, v77
	v_mov_b32_e32 v120, v77
	v_mov_b32_e32 v124, v77
	v_mov_b32_e32 v122, v77
	v_mov_b32_e32 v126, v77
	v_mov_b32_e32 v125, v77
	v_mov_b32_e32 v128, v77
	v_mov_b32_e32 v127, v77
	v_mov_b32_e32 v130, v77
	v_mov_b32_e32 v129, v77
	v_mov_b32_e32 v132, v77
	v_mov_b32_e32 v131, v77
	v_mov_b32_e32 v134, v77
	v_mov_b32_e32 v133, v77
	v_mov_b32_e32 v67, v77
	v_mov_b32_e32 v66, v77
	v_mov_b32_e32 v63, v77
	v_mov_b32_e32 v62, v77
	v_mov_b32_e32 v59, v77
	v_mov_b32_e32 v58, v77
	v_mov_b32_e32 v55, v77
	v_mov_b32_e32 v54, v77
	v_mov_b32_e32 v51, v77
	v_mov_b32_e32 v50, v77
	v_mov_b32_e32 v53, v77
	v_mov_b32_e32 v52, v77
	v_mov_b32_e32 v57, v77
	v_mov_b32_e32 v56, v77
	v_mov_b32_e32 v49, v77
	v_mov_b32_e32 v48, v77
	v_mov_b32_e32 v61, v77
	v_mov_b32_e32 v60, v77
                                        ; implicit-def: $vgpr32
                                        ; implicit-def: $vgpr32
	;; [unrolled: 1-line block ×3, first 2 shown]
	s_andn2_b64 vcc, exec, s[30:31]
	s_ashr_i32 s35, s34, 31
	s_cbranch_vccnz .LBB30_653
.LBB30_648:
	s_and_saveexec_b64 s[36:37], s[0:1]
	s_xor_b64 s[36:37], exec, s[36:37]
	s_cbranch_execz .LBB30_650
; %bb.649:
	ds_write_b16 v164, v77 offset:33792
	ds_write_b16 v164, v77 offset:34944
	;; [unrolled: 1-line block ×4, first 2 shown]
.LBB30_650:
	s_or_saveexec_b64 s[36:37], s[36:37]
	v_mov_b32_e32 v32, 0
	v_mov_b32_e32 v33, 0
	;; [unrolled: 1-line block ×4, first 2 shown]
	s_xor_b64 exec, exec, s[36:37]
	s_cbranch_execz .LBB30_652
; %bb.651:
	v_lshl_add_u64 v[32:33], s[34:35], 1, v[78:79]
	v_lshl_add_u64 v[34:35], v[80:81], 1, v[32:33]
	;; [unrolled: 1-line block ×9, first 2 shown]
	global_load_ushort v65, v[34:35], off
	s_nop 0
	global_load_ushort v36, v[36:37], off
	s_nop 0
	;; [unrolled: 2-line block ×3, first 2 shown]
	global_load_ushort v38, v[40:41], off
	global_load_ushort v32, v[42:43], off
	;; [unrolled: 1-line block ×5, first 2 shown]
	s_waitcnt vmcnt(7)
	ds_write_b16 v164, v65 offset:33792
	s_waitcnt vmcnt(6)
	ds_write_b16 v164, v36 offset:34944
	;; [unrolled: 2-line block ×4, first 2 shown]
.LBB30_652:
	s_or_b64 exec, exec, s[36:37]
	s_waitcnt vmcnt(3)
	ds_write_b16 v164, v32 offset:38400
	s_waitcnt vmcnt(2)
	ds_write_b16 v164, v33 offset:39552
	;; [unrolled: 2-line block ×4, first 2 shown]
.LBB30_653:                             ; =>This Inner Loop Header: Depth=1
	s_mul_hi_i32 s37, s34, s96
	s_mul_i32 s36, s34, s96
	s_lshl_b64 s[36:37], s[36:37], 2
	s_add_u32 s36, s39, s36
	s_addc_u32 s37, s41, s37
	v_lshl_add_u64 v[32:33], v[96:97], 2, s[36:37]
	v_lshl_add_u64 v[32:33], v[32:33], 0, v[76:77]
	v_mov_b32_e32 v38, s3
	v_cndmask_b32_e64 v33, v38, v33, s[26:27]
	v_cndmask_b32_e64 v32, v165, v32, s[26:27]
	scratch_store_dwordx4 off, v[176:179], off
	flat_load_dwordx4 v[32:35], v[32:33]
	v_lshl_add_u64 v[36:37], v[98:99], 2, s[36:37]
	v_lshl_add_u64 v[36:37], v[36:37], 0, v[76:77]
	v_cndmask_b32_e64 v37, v38, v37, s[4:5]
	v_cndmask_b32_e64 v36, v165, v36, s[4:5]
	v_add_u32_e32 v65, 0x4000, v160
	s_waitcnt vmcnt(0) lgkmcnt(0)
	ds_write_b128 v153, v[32:35]
	flat_load_dwordx4 v[32:35], v[36:37]
	v_lshl_add_u64 v[36:37], v[100:101], 2, s[36:37]
	v_lshl_add_u64 v[36:37], v[36:37], 0, v[76:77]
	v_cndmask_b32_e64 v37, v38, v37, s[6:7]
	v_cndmask_b32_e64 v36, v165, v36, s[6:7]
	s_waitcnt vmcnt(0) lgkmcnt(0)
	ds_write_b128 v154, v[32:35]
	flat_load_dwordx4 v[32:35], v[36:37]
	v_lshl_add_u64 v[36:37], v[102:103], 2, s[36:37]
	v_lshl_add_u64 v[36:37], v[36:37], 0, v[76:77]
	v_cndmask_b32_e64 v37, v38, v37, s[8:9]
	v_cndmask_b32_e64 v36, v165, v36, s[8:9]
	s_waitcnt vmcnt(0) lgkmcnt(0)
	ds_write_b128 v155, v[32:35]
	flat_load_dwordx4 v[32:35], v[36:37]
	s_waitcnt vmcnt(0) lgkmcnt(0)
	ds_write_b128 v156, v[32:35]
	s_waitcnt lgkmcnt(0)
	s_barrier
	ds_read2_b64 v[32:35], v160 offset1:4
	ds_read2_b64 v[40:43], v65 offset0:64 offset1:68
	s_waitcnt lgkmcnt(1)
	v_mfma_f32_16x16x16_f16 v[36:39], v[32:33], v[28:29], 0
	s_waitcnt lgkmcnt(0)
	v_mfma_f32_16x16x16_f16 v[44:47], v[40:41], v[28:29], 0
	v_mfma_f32_16x16x16_f16 v[32:35], v[34:35], v[30:31], v[36:39]
	;; [unrolled: 1-line block ×3, first 2 shown]
	ds_read2_b64 v[40:43], v160 offset0:8 offset1:12
	s_nop 4
	ds_read2_b64 v[44:47], v65 offset0:72 offset1:76
	s_waitcnt lgkmcnt(1)
	v_mfma_f32_16x16x16_f16 v[32:35], v[40:41], v[24:25], v[32:35]
	s_waitcnt lgkmcnt(0)
	v_mfma_f32_16x16x16_f16 v[36:39], v[44:45], v[24:25], v[36:39]
	v_mfma_f32_16x16x16_f16 v[32:35], v[42:43], v[26:27], v[32:35]
	ds_read2_b64 v[40:43], v160 offset0:16 offset1:20
	v_mfma_f32_16x16x16_f16 v[36:39], v[46:47], v[26:27], v[36:39]
	ds_read2_b64 v[44:47], v65 offset0:80 offset1:84
	s_waitcnt lgkmcnt(1)
	v_mfma_f32_16x16x16_f16 v[32:35], v[40:41], v[20:21], v[32:35]
	s_waitcnt lgkmcnt(0)
	v_mfma_f32_16x16x16_f16 v[36:39], v[44:45], v[20:21], v[36:39]
	v_mfma_f32_16x16x16_f16 v[32:35], v[42:43], v[22:23], v[32:35]
	ds_read2_b64 v[40:43], v160 offset0:24 offset1:28
	v_mfma_f32_16x16x16_f16 v[36:39], v[46:47], v[22:23], v[36:39]
	;; [unrolled: 8-line block ×6, first 2 shown]
	ds_read2_b64 v[44:47], v65 offset0:120 offset1:124
	s_waitcnt lgkmcnt(0)
	s_barrier
	v_mfma_f32_16x16x16_f16 v[32:35], v[40:41], v[0:1], v[32:35]
	v_mfma_f32_16x16x16_f16 v[114:117], v[44:45], v[0:1], v[36:39]
	;; [unrolled: 1-line block ×3, first 2 shown]
                                        ; implicit-def: $vgpr43
	v_mfma_f32_16x16x16_f16 v[32:35], v[46:47], v[2:3], v[114:117]
	s_nop 6
	v_cmp_nlt_f32_e64 s[36:37], |v36|, s2
	s_and_saveexec_b64 s[50:51], s[36:37]
	s_xor_b64 s[36:37], exec, s[50:51]
	s_cbranch_execz .LBB30_655
; %bb.654:                              ;   in Loop: Header=BB30_653 Depth=1
	v_add_f32_e64 v40, |v36|, |v36|
	v_mul_f32_e32 v41, 0x3fb8aa3b, v40
	v_rndne_f32_e32 v42, v41
	v_sub_f32_e32 v43, v41, v42
	v_fma_f32 v41, v40, s43, -v41
	v_fmac_f32_e32 v41, 0x32a5705f, v40
	v_add_f32_e32 v41, v43, v41
	v_cvt_i32_f32_e32 v42, v42
	v_exp_f32_e32 v41, v41
	v_cmp_ngt_f32_e32 vcc, s44, v40
	v_ldexp_f32 v41, v41, v42
	s_nop 0
	v_cndmask_b32_e32 v41, 0, v41, vcc
	v_cmp_nlt_f32_e32 vcc, s45, v40
	s_nop 1
	v_cndmask_b32_e32 v40, v166, v41, vcc
	v_add_f32_e32 v40, 1.0, v40
	v_rcp_f32_e32 v40, v40
	s_nop 0
	v_fma_f32 v43, v40, -2.0, 1.0
.LBB30_655:                             ;   in Loop: Header=BB30_653 Depth=1
	s_andn2_saveexec_b64 s[36:37], s[36:37]
; %bb.656:                              ;   in Loop: Header=BB30_653 Depth=1
	v_mul_f32_e32 v40, v36, v36
	v_fmamk_f32 v41, v40, 0xbbbac73d, v161
	v_fmaak_f32 v41, v40, v41, 0xbd5c1c4e
	v_fmaak_f32 v41, v40, v41, 0x3e088382
	v_fmaak_f32 v41, v40, v41, 0xbeaaaa99
	v_mul_f32_e64 v41, |v36|, v41
	v_fma_f32 v43, v40, v41, |v36|
; %bb.657:                              ;   in Loop: Header=BB30_653 Depth=1
	s_or_b64 exec, exec, s[36:37]
	v_cmp_nlt_f32_e64 s[36:37], |v37|, s2
                                        ; implicit-def: $vgpr45
	s_and_saveexec_b64 s[50:51], s[36:37]
	s_xor_b64 s[36:37], exec, s[50:51]
	s_cbranch_execz .LBB30_659
; %bb.658:                              ;   in Loop: Header=BB30_653 Depth=1
	v_add_f32_e64 v40, |v37|, |v37|
	v_mul_f32_e32 v41, 0x3fb8aa3b, v40
	v_rndne_f32_e32 v42, v41
	v_sub_f32_e32 v44, v41, v42
	v_fma_f32 v41, v40, s43, -v41
	v_fmac_f32_e32 v41, 0x32a5705f, v40
	v_add_f32_e32 v41, v44, v41
	v_cvt_i32_f32_e32 v42, v42
	v_exp_f32_e32 v41, v41
	v_cmp_ngt_f32_e32 vcc, s44, v40
	v_ldexp_f32 v41, v41, v42
	s_nop 0
	v_cndmask_b32_e32 v41, 0, v41, vcc
	v_cmp_nlt_f32_e32 vcc, s45, v40
	s_nop 1
	v_cndmask_b32_e32 v40, v166, v41, vcc
	v_add_f32_e32 v40, 1.0, v40
	v_rcp_f32_e32 v40, v40
	s_nop 0
	v_fma_f32 v45, v40, -2.0, 1.0
.LBB30_659:                             ;   in Loop: Header=BB30_653 Depth=1
	s_andn2_saveexec_b64 s[36:37], s[36:37]
; %bb.660:                              ;   in Loop: Header=BB30_653 Depth=1
	v_mul_f32_e32 v40, v37, v37
	v_fmamk_f32 v41, v40, 0xbbbac73d, v161
	v_fmaak_f32 v41, v40, v41, 0xbd5c1c4e
	v_fmaak_f32 v41, v40, v41, 0x3e088382
	;; [unrolled: 1-line block ×3, first 2 shown]
	v_mul_f32_e64 v41, |v37|, v41
	v_fma_f32 v45, v40, v41, |v37|
; %bb.661:                              ;   in Loop: Header=BB30_653 Depth=1
	s_or_b64 exec, exec, s[36:37]
	v_cmp_nlt_f32_e64 s[36:37], |v38|, s2
                                        ; implicit-def: $vgpr46
	s_and_saveexec_b64 s[50:51], s[36:37]
	s_xor_b64 s[36:37], exec, s[50:51]
	s_cbranch_execz .LBB30_663
; %bb.662:                              ;   in Loop: Header=BB30_653 Depth=1
	v_add_f32_e64 v40, |v38|, |v38|
	v_mul_f32_e32 v41, 0x3fb8aa3b, v40
	v_rndne_f32_e32 v42, v41
	v_sub_f32_e32 v44, v41, v42
	v_fma_f32 v41, v40, s43, -v41
	v_fmac_f32_e32 v41, 0x32a5705f, v40
	v_add_f32_e32 v41, v44, v41
	v_cvt_i32_f32_e32 v42, v42
	v_exp_f32_e32 v41, v41
	v_cmp_ngt_f32_e32 vcc, s44, v40
	v_ldexp_f32 v41, v41, v42
	s_nop 0
	v_cndmask_b32_e32 v41, 0, v41, vcc
	v_cmp_nlt_f32_e32 vcc, s45, v40
	s_nop 1
	v_cndmask_b32_e32 v40, v166, v41, vcc
	v_add_f32_e32 v40, 1.0, v40
	v_rcp_f32_e32 v40, v40
	s_nop 0
	v_fma_f32 v46, v40, -2.0, 1.0
.LBB30_663:                             ;   in Loop: Header=BB30_653 Depth=1
	s_andn2_saveexec_b64 s[36:37], s[36:37]
; %bb.664:                              ;   in Loop: Header=BB30_653 Depth=1
	v_mul_f32_e32 v40, v38, v38
	v_fmamk_f32 v41, v40, 0xbbbac73d, v161
	v_fmaak_f32 v41, v40, v41, 0xbd5c1c4e
	v_fmaak_f32 v41, v40, v41, 0x3e088382
	;; [unrolled: 1-line block ×3, first 2 shown]
	v_mul_f32_e64 v41, |v38|, v41
	v_fma_f32 v46, v40, v41, |v38|
; %bb.665:                              ;   in Loop: Header=BB30_653 Depth=1
	s_or_b64 exec, exec, s[36:37]
	v_cmp_nlt_f32_e64 s[36:37], |v39|, s2
                                        ; implicit-def: $vgpr47
	s_and_saveexec_b64 s[50:51], s[36:37]
	s_xor_b64 s[36:37], exec, s[50:51]
	s_cbranch_execz .LBB30_667
; %bb.666:                              ;   in Loop: Header=BB30_653 Depth=1
	v_add_f32_e64 v40, |v39|, |v39|
	v_mul_f32_e32 v41, 0x3fb8aa3b, v40
	v_rndne_f32_e32 v42, v41
	v_sub_f32_e32 v44, v41, v42
	v_fma_f32 v41, v40, s43, -v41
	v_fmac_f32_e32 v41, 0x32a5705f, v40
	v_add_f32_e32 v41, v44, v41
	v_cvt_i32_f32_e32 v42, v42
	v_exp_f32_e32 v41, v41
	v_cmp_ngt_f32_e32 vcc, s44, v40
	v_ldexp_f32 v41, v41, v42
	s_nop 0
	v_cndmask_b32_e32 v41, 0, v41, vcc
	v_cmp_nlt_f32_e32 vcc, s45, v40
	s_nop 1
	v_cndmask_b32_e32 v40, v166, v41, vcc
	v_add_f32_e32 v40, 1.0, v40
	v_rcp_f32_e32 v40, v40
	s_nop 0
	v_fma_f32 v47, v40, -2.0, 1.0
.LBB30_667:                             ;   in Loop: Header=BB30_653 Depth=1
	s_andn2_saveexec_b64 s[36:37], s[36:37]
; %bb.668:                              ;   in Loop: Header=BB30_653 Depth=1
	v_mul_f32_e32 v40, v39, v39
	v_fmamk_f32 v41, v40, 0xbbbac73d, v161
	v_fmaak_f32 v41, v40, v41, 0xbd5c1c4e
	v_fmaak_f32 v41, v40, v41, 0x3e088382
	;; [unrolled: 1-line block ×3, first 2 shown]
	v_mul_f32_e64 v41, |v39|, v41
	v_fma_f32 v47, v40, v41, |v39|
; %bb.669:                              ;   in Loop: Header=BB30_653 Depth=1
	s_or_b64 exec, exec, s[36:37]
	v_cmp_nlt_f32_e64 s[36:37], |v32|, s2
                                        ; implicit-def: $vgpr40
	s_and_saveexec_b64 s[50:51], s[36:37]
	s_xor_b64 s[36:37], exec, s[50:51]
	s_cbranch_execz .LBB30_671
; %bb.670:                              ;   in Loop: Header=BB30_653 Depth=1
	v_add_f32_e64 v40, |v32|, |v32|
	v_mul_f32_e32 v41, 0x3fb8aa3b, v40
	v_rndne_f32_e32 v42, v41
	v_sub_f32_e32 v44, v41, v42
	v_fma_f32 v41, v40, s43, -v41
	v_fmac_f32_e32 v41, 0x32a5705f, v40
	v_add_f32_e32 v41, v44, v41
	v_cvt_i32_f32_e32 v42, v42
	v_exp_f32_e32 v41, v41
	v_cmp_ngt_f32_e32 vcc, s44, v40
	v_ldexp_f32 v41, v41, v42
	s_nop 0
	v_cndmask_b32_e32 v41, 0, v41, vcc
	v_cmp_nlt_f32_e32 vcc, s45, v40
	s_nop 1
	v_cndmask_b32_e32 v40, v166, v41, vcc
	v_add_f32_e32 v40, 1.0, v40
	v_rcp_f32_e32 v40, v40
	s_nop 0
	v_fma_f32 v40, v40, -2.0, 1.0
.LBB30_671:                             ;   in Loop: Header=BB30_653 Depth=1
	s_andn2_saveexec_b64 s[36:37], s[36:37]
; %bb.672:                              ;   in Loop: Header=BB30_653 Depth=1
	v_mul_f32_e32 v40, v32, v32
	v_fmamk_f32 v41, v40, 0xbbbac73d, v161
	v_fmaak_f32 v41, v40, v41, 0xbd5c1c4e
	v_fmaak_f32 v41, v40, v41, 0x3e088382
	;; [unrolled: 1-line block ×3, first 2 shown]
	v_mul_f32_e64 v41, |v32|, v41
	v_fma_f32 v40, v40, v41, |v32|
; %bb.673:                              ;   in Loop: Header=BB30_653 Depth=1
	s_or_b64 exec, exec, s[36:37]
	v_cmp_nlt_f32_e64 s[36:37], |v33|, s2
                                        ; implicit-def: $vgpr41
	s_and_saveexec_b64 s[50:51], s[36:37]
	s_xor_b64 s[36:37], exec, s[50:51]
	s_cbranch_execz .LBB30_675
; %bb.674:                              ;   in Loop: Header=BB30_653 Depth=1
	v_add_f32_e64 v41, |v33|, |v33|
	v_mul_f32_e32 v42, 0x3fb8aa3b, v41
	v_rndne_f32_e32 v44, v42
	v_sub_f32_e32 v65, v42, v44
	v_fma_f32 v42, v41, s43, -v42
	v_fmac_f32_e32 v42, 0x32a5705f, v41
	v_add_f32_e32 v42, v65, v42
	v_cvt_i32_f32_e32 v44, v44
	v_exp_f32_e32 v42, v42
	v_cmp_ngt_f32_e32 vcc, s44, v41
	v_ldexp_f32 v42, v42, v44
	s_nop 0
	v_cndmask_b32_e32 v42, 0, v42, vcc
	v_cmp_nlt_f32_e32 vcc, s45, v41
	s_nop 1
	v_cndmask_b32_e32 v41, v166, v42, vcc
	v_add_f32_e32 v41, 1.0, v41
	v_rcp_f32_e32 v41, v41
	s_nop 0
	v_fma_f32 v41, v41, -2.0, 1.0
.LBB30_675:                             ;   in Loop: Header=BB30_653 Depth=1
	s_andn2_saveexec_b64 s[36:37], s[36:37]
; %bb.676:                              ;   in Loop: Header=BB30_653 Depth=1
	v_mul_f32_e32 v41, v33, v33
	v_fmamk_f32 v42, v41, 0xbbbac73d, v161
	v_fmaak_f32 v42, v41, v42, 0xbd5c1c4e
	v_fmaak_f32 v42, v41, v42, 0x3e088382
	;; [unrolled: 1-line block ×3, first 2 shown]
	v_mul_f32_e64 v42, |v33|, v42
	v_fma_f32 v41, v41, v42, |v33|
; %bb.677:                              ;   in Loop: Header=BB30_653 Depth=1
	s_or_b64 exec, exec, s[36:37]
	v_cmp_nlt_f32_e64 s[36:37], |v34|, s2
                                        ; implicit-def: $vgpr42
	s_and_saveexec_b64 s[50:51], s[36:37]
	s_xor_b64 s[36:37], exec, s[50:51]
	s_cbranch_execz .LBB30_679
; %bb.678:                              ;   in Loop: Header=BB30_653 Depth=1
	v_add_f32_e64 v42, |v34|, |v34|
	v_mul_f32_e32 v44, 0x3fb8aa3b, v42
	v_rndne_f32_e32 v65, v44
	v_sub_f32_e32 v68, v44, v65
	v_fma_f32 v44, v42, s43, -v44
	v_fmac_f32_e32 v44, 0x32a5705f, v42
	v_add_f32_e32 v44, v68, v44
	v_cvt_i32_f32_e32 v65, v65
	v_exp_f32_e32 v44, v44
	v_cmp_ngt_f32_e32 vcc, s44, v42
	v_ldexp_f32 v44, v44, v65
	s_nop 0
	v_cndmask_b32_e32 v44, 0, v44, vcc
	v_cmp_nlt_f32_e32 vcc, s45, v42
	s_nop 1
	v_cndmask_b32_e32 v42, v166, v44, vcc
	v_add_f32_e32 v42, 1.0, v42
	v_rcp_f32_e32 v42, v42
	s_nop 0
	v_fma_f32 v42, v42, -2.0, 1.0
.LBB30_679:                             ;   in Loop: Header=BB30_653 Depth=1
	s_andn2_saveexec_b64 s[36:37], s[36:37]
; %bb.680:                              ;   in Loop: Header=BB30_653 Depth=1
	v_mul_f32_e32 v42, v34, v34
	v_fmamk_f32 v44, v42, 0xbbbac73d, v161
	v_fmaak_f32 v44, v42, v44, 0xbd5c1c4e
	v_fmaak_f32 v44, v42, v44, 0x3e088382
	v_fmaak_f32 v44, v42, v44, 0xbeaaaa99
	v_mul_f32_e64 v44, |v34|, v44
	v_fma_f32 v42, v42, v44, |v34|
; %bb.681:                              ;   in Loop: Header=BB30_653 Depth=1
	s_or_b64 exec, exec, s[36:37]
	v_cmp_nlt_f32_e64 s[36:37], |v35|, s2
                                        ; implicit-def: $vgpr65
	s_and_saveexec_b64 s[50:51], s[36:37]
	s_xor_b64 s[36:37], exec, s[50:51]
	s_cbranch_execz .LBB30_683
; %bb.682:                              ;   in Loop: Header=BB30_653 Depth=1
	v_add_f32_e64 v44, |v35|, |v35|
	v_mul_f32_e32 v65, 0x3fb8aa3b, v44
	v_rndne_f32_e32 v68, v65
	v_sub_f32_e32 v69, v65, v68
	v_fma_f32 v65, v44, s43, -v65
	v_fmac_f32_e32 v65, 0x32a5705f, v44
	v_add_f32_e32 v65, v69, v65
	v_cvt_i32_f32_e32 v68, v68
	v_exp_f32_e32 v65, v65
	v_cmp_ngt_f32_e32 vcc, s44, v44
	v_ldexp_f32 v65, v65, v68
	s_nop 0
	v_cndmask_b32_e32 v65, 0, v65, vcc
	v_cmp_nlt_f32_e32 vcc, s45, v44
	s_nop 1
	v_cndmask_b32_e32 v44, v166, v65, vcc
	v_add_f32_e32 v44, 1.0, v44
	v_rcp_f32_e32 v44, v44
	s_nop 0
	v_fma_f32 v65, v44, -2.0, 1.0
.LBB30_683:                             ;   in Loop: Header=BB30_653 Depth=1
	s_andn2_saveexec_b64 s[36:37], s[36:37]
; %bb.684:                              ;   in Loop: Header=BB30_653 Depth=1
	v_mul_f32_e32 v44, v35, v35
	v_fmamk_f32 v65, v44, 0xbbbac73d, v161
	v_fmaak_f32 v65, v44, v65, 0xbd5c1c4e
	v_fmaak_f32 v65, v44, v65, 0x3e088382
	;; [unrolled: 1-line block ×3, first 2 shown]
	v_mul_f32_e64 v65, |v35|, v65
	v_fma_f32 v65, v44, v65, |v35|
; %bb.685:                              ;   in Loop: Header=BB30_653 Depth=1
	s_or_b64 exec, exec, s[36:37]
	v_bfi_b32 v32, s46, v40, v32
	v_mul_f32_e32 v40, s93, v32
	v_bfi_b32 v32, s46, v41, v33
	v_mul_f32_e32 v41, s93, v32
	;; [unrolled: 2-line block ×8, first 2 shown]
	s_and_b64 vcc, exec, s[30:31]
	s_cbranch_vccz .LBB30_690
; %bb.686:                              ;   in Loop: Header=BB30_653 Depth=1
	ds_read2_b32 v[32:33], v162 offset1:1
	ds_read_b32 v36, v157 offset:33792
	ds_read_b32 v37, v158 offset:33792
	v_mov_b32_e32 v73, v72
	s_waitcnt lgkmcnt(2)
	v_cvt_f32_f16_e32 v34, v32
	v_cvt_f32_f16_sdwa v35, v32 dst_sel:DWORD dst_unused:UNUSED_PAD src0_sel:WORD_1
	v_cvt_f32_f16_e32 v32, v33
	v_cvt_f32_f16_sdwa v33, v33 dst_sel:DWORD dst_unused:UNUSED_PAD src0_sel:WORD_1
	s_waitcnt lgkmcnt(1)
	v_cvt_f32_f16_sdwa v69, v36 dst_sel:DWORD dst_unused:UNUSED_PAD src0_sel:WORD_1
	s_waitcnt lgkmcnt(0)
	v_cvt_f32_f16_sdwa v115, v37 dst_sel:DWORD dst_unused:UNUSED_PAD src0_sel:WORD_1
	v_cvt_f32_f16_e32 v114, v37
	v_cvt_f32_f16_e32 v68, v36
	v_pk_fma_f32 v[38:39], v[72:73], v[32:33], v[46:47]
	v_pk_fma_f32 v[36:37], v[112:113], v[34:35], v[44:45]
	;; [unrolled: 1-line block ×4, first 2 shown]
	s_cbranch_execnz .LBB30_688
.LBB30_687:                             ;   in Loop: Header=BB30_653 Depth=1
	v_mov_b64_e32 v[32:33], v[40:41]
	v_mov_b64_e32 v[36:37], v[44:45]
	v_mov_b64_e32 v[34:35], v[42:43]
	v_mov_b64_e32 v[38:39], v[46:47]
.LBB30_688:                             ;   in Loop: Header=BB30_653 Depth=1
	s_mul_hi_i32 s37, s34, s82
	s_mul_i32 s36, s34, s82
	s_lshl_b64 s[36:37], s[36:37], 2
	s_add_u32 s36, s33, s36
	s_addc_u32 s37, s38, s37
	v_lshl_add_u64 v[40:41], v[104:105], 2, s[36:37]
	v_lshl_add_u64 v[40:41], v[40:41], 0, v[76:77]
	v_mov_b32_e32 v73, s3
	v_cndmask_b32_e64 v41, v73, v41, s[26:27]
	v_cndmask_b32_e64 v40, v165, v40, s[26:27]
	scratch_store_dwordx4 off, v[176:179], off
	flat_load_dwordx4 v[40:43], v[40:41]
	v_lshl_add_u64 v[44:45], v[106:107], 2, s[36:37]
	v_lshl_add_u64 v[44:45], v[44:45], 0, v[76:77]
	v_cndmask_b32_e64 v45, v73, v45, s[4:5]
	v_cndmask_b32_e64 v44, v165, v44, s[4:5]
	v_add_f32_e32 v114, 0x40051340, v36
	v_max_f32_e32 v115, v64, v64
	v_max_f32_e32 v114, v115, v114
	v_cndmask_b32_e64 v173, v64, v114, s[10:11]
	v_add_f32_e32 v116, 0x40051340, v37
	v_max_f32_e32 v114, v173, v173
	v_max_f32_e32 v116, v114, v116
	;; [unrolled: 4-line block ×8, first 2 shown]
	v_cndmask_b32_e64 v168, v116, v117, s[24:25]
	ds_bpermute_b32 v169, v75, v168
	v_max_f32_e32 v168, v168, v168
	v_lshl_add_u64 v[114:115], v[108:109], 2, s[36:37]
	v_lshl_add_u64 v[116:117], v[110:111], 2, s[36:37]
	;; [unrolled: 1-line block ×3, first 2 shown]
	s_waitcnt lgkmcnt(0)
	v_max_f32_e32 v169, v169, v169
	v_max_f32_e32 v168, v168, v169
	ds_bpermute_b32 v169, v152, v168
	v_lshl_add_u64 v[116:117], v[116:117], 0, v[76:77]
	v_cndmask_b32_e64 v115, v73, v115, s[6:7]
	v_cndmask_b32_e64 v117, v73, v117, s[8:9]
	;; [unrolled: 1-line block ×3, first 2 shown]
	s_waitcnt lgkmcnt(0)
	v_max_f32_e32 v73, v169, v169
	v_max_f32_e32 v73, v168, v73
	v_sub_f32_e32 v168, v36, v73
	v_sub_f32_e32 v169, v37, v73
	;; [unrolled: 1-line block ×4, first 2 shown]
	v_cndmask_b32_e64 v116, v165, v116, s[8:9]
	v_sub_f32_e32 v32, v32, v73
	v_sub_f32_e32 v33, v33, v73
	;; [unrolled: 1-line block ×4, first 2 shown]
	v_mul_f32_e32 v172, 0x3fb8aa3b, v34
	v_mul_f32_e32 v173, 0x3fb8aa3b, v35
	v_fma_f32 v191, v34, s43, -v172
	v_rndne_f32_e32 v192, v172
	v_fma_f32 v193, v35, s43, -v173
	v_rndne_f32_e32 v194, v173
	v_fmac_f32_e32 v191, 0x32a5705f, v34
	v_sub_f32_e32 v172, v172, v192
	v_cmp_ngt_f32_e32 vcc, s44, v168
	v_fmac_f32_e32 v193, 0x32a5705f, v35
	v_sub_f32_e32 v173, v173, v194
	v_add_f32_e32 v172, v172, v191
	v_cvt_i32_f32_e32 v192, v192
	v_add_f32_e32 v173, v173, v193
	v_exp_f32_e32 v172, v172
	v_cvt_i32_f32_e32 v194, v194
	v_exp_f32_e32 v173, v173
	v_mov_b32_e32 v47, s42
	v_mov_b32_e32 v46, s42
	;; [unrolled: 1-line block ×3, first 2 shown]
	s_waitcnt vmcnt(0)
	ds_write_b128 v153, v[40:43]
	flat_load_dwordx4 v[40:43], v[44:45]
	v_mov_b32_e32 v45, s42
	v_mov_b32_e32 v44, s42
	;; [unrolled: 1-line block ×4, first 2 shown]
	s_add_i32 s40, s40, 1
	s_add_i32 s34, s34, 64
	s_waitcnt vmcnt(0) lgkmcnt(0)
	ds_write_b128 v154, v[40:43]
	flat_load_dwordx4 v[36:39], v[114:115]
	v_mul_f32_e32 v41, 0x3fb8aa3b, v168
	v_mul_f32_e32 v42, 0x3fb8aa3b, v169
	v_fma_f32 v175, v168, s43, -v41
	v_rndne_f32_e32 v180, v41
	v_fma_f32 v181, v169, s43, -v42
	v_rndne_f32_e32 v182, v42
	v_fmac_f32_e32 v175, 0x32a5705f, v168
	v_sub_f32_e32 v41, v41, v180
	v_fmac_f32_e32 v181, 0x32a5705f, v169
	v_sub_f32_e32 v42, v42, v182
	v_add_f32_e32 v41, v41, v175
	v_add_f32_e32 v42, v42, v181
	v_cvt_i32_f32_e32 v180, v180
	v_cvt_i32_f32_e32 v182, v182
	v_exp_f32_e32 v41, v41
	v_exp_f32_e32 v42, v42
	v_mul_f32_e32 v43, 0x3fb8aa3b, v170
	v_fma_f32 v183, v170, s43, -v43
	v_rndne_f32_e32 v184, v43
	v_fmac_f32_e32 v183, 0x32a5705f, v170
	v_sub_f32_e32 v43, v43, v184
	v_add_f32_e32 v43, v43, v183
	v_ldexp_f32 v41, v41, v180
	v_ldexp_f32 v42, v42, v182
	v_sub_f32_e32 v40, v64, v73
	v_mul_f32_e32 v64, 0x3fb8aa3b, v171
	v_mul_f32_e32 v114, 0x3fb8aa3b, v32
	v_fma_f32 v185, v171, s43, -v64
	v_rndne_f32_e32 v186, v64
	v_mul_f32_e32 v115, 0x3fb8aa3b, v33
	v_fma_f32 v187, v32, s43, -v114
	v_rndne_f32_e32 v188, v114
	v_fmac_f32_e32 v185, 0x32a5705f, v171
	v_sub_f32_e32 v64, v64, v186
	v_fma_f32 v189, v33, s43, -v115
	v_rndne_f32_e32 v190, v115
	v_cvt_i32_f32_e32 v184, v184
	v_fmac_f32_e32 v187, 0x32a5705f, v32
	v_sub_f32_e32 v114, v114, v188
	v_add_f32_e32 v64, v64, v185
	v_exp_f32_e32 v43, v43
	v_cvt_i32_f32_e32 v186, v186
	v_fmac_f32_e32 v189, 0x32a5705f, v33
	v_sub_f32_e32 v115, v115, v190
	v_add_f32_e32 v114, v114, v187
	v_exp_f32_e32 v64, v64
	v_mul_f32_e32 v174, 0x3fb8aa3b, v40
	v_cvt_i32_f32_e32 v188, v188
	v_add_f32_e32 v115, v115, v189
	v_exp_f32_e32 v114, v114
	v_fma_f32 v195, v40, s43, -v174
	v_rndne_f32_e32 v196, v174
	v_cvt_i32_f32_e32 v190, v190
	v_exp_f32_e32 v115, v115
	v_cndmask_b32_e32 v41, 0, v41, vcc
	v_cmp_ngt_f32_e32 vcc, s44, v169
	v_fmac_f32_e32 v195, 0x32a5705f, v40
	v_sub_f32_e32 v174, v174, v196
	v_ldexp_f32 v43, v43, v184
	v_cndmask_b32_e32 v42, 0, v42, vcc
	v_cmp_ngt_f32_e32 vcc, s44, v170
	v_add_f32_e32 v174, v174, v195
	v_ldexp_f32 v64, v64, v186
	v_cndmask_b32_e32 v43, 0, v43, vcc
	v_cmp_ngt_f32_e32 vcc, s44, v171
	v_cvt_i32_f32_e32 v196, v196
	v_exp_f32_e32 v174, v174
	v_cndmask_b32_e32 v64, 0, v64, vcc
	v_cmp_ngt_f32_e32 vcc, s44, v32
	s_waitcnt vmcnt(0) lgkmcnt(0)
	ds_write_b128 v155, v[36:39]
	flat_load_dwordx4 v[180:183], v[116:117]
	v_ldexp_f32 v36, v114, v188
	v_ldexp_f32 v37, v115, v190
	v_cndmask_b32_e32 v36, 0, v36, vcc
	v_cmp_ngt_f32_e32 vcc, s44, v33
	v_ldexp_f32 v38, v172, v192
	v_ldexp_f32 v39, v173, v194
	v_cndmask_b32_e32 v37, 0, v37, vcc
	v_cmp_ngt_f32_e32 vcc, s44, v34
	v_ldexp_f32 v114, v174, v196
	s_waitcnt vmcnt(0) lgkmcnt(0)
	ds_write_b128 v156, v[180:183]
	v_cndmask_b32_e32 v38, 0, v38, vcc
	v_cmp_ngt_f32_e32 vcc, s44, v35
	s_waitcnt lgkmcnt(0)
	s_barrier
	v_cndmask_b32_e32 v39, 0, v39, vcc
	v_cmp_ngt_f32_e32 vcc, s44, v40
	s_nop 1
	v_cndmask_b32_e32 v114, 0, v114, vcc
	v_cmp_nlt_f32_e32 vcc, s45, v168
	s_nop 1
	v_cndmask_b32_e32 v41, v166, v41, vcc
	v_cmp_nlt_f32_e32 vcc, s45, v169
	;; [unrolled: 3-line block ×5, first 2 shown]
	v_cndmask_b32_e64 v32, 0, v41, s[10:11]
	v_cndmask_b32_e64 v41, v47, v172, s[16:17]
	v_cndmask_b32_e32 v171, v166, v36, vcc
	v_cmp_nlt_f32_e32 vcc, s45, v33
	v_cndmask_b32_e64 v36, v46, v171, s[18:19]
	s_nop 0
	v_cndmask_b32_e32 v170, v166, v37, vcc
	v_cmp_nlt_f32_e32 vcc, s45, v34
	v_cndmask_b32_e64 v34, v44, v173, s[14:15]
	v_cndmask_b32_e64 v37, v65, v170, s[20:21]
	v_cndmask_b32_e32 v169, v166, v38, vcc
	v_cmp_nlt_f32_e32 vcc, s45, v35
	v_cndmask_b32_e64 v35, v45, v174, s[12:13]
	v_cndmask_b32_e64 v38, v68, v169, s[22:23]
	v_cndmask_b32_e32 v33, v166, v39, vcc
	v_cmp_nlt_f32_e32 vcc, s45, v40
	v_cndmask_b32_e64 v42, v69, v33, s[24:25]
	v_cvt_pk_f16_f32 v115, v34, v41
	v_cndmask_b32_e32 v39, v166, v114, vcc
	v_cmp_le_f32_e32 vcc, s47, v40
	v_cvt_pk_f16_f32 v114, v32, v35
	v_cvt_pk_f16_f32 v116, v36, v37
	v_cndmask_b32_e32 v168, 0, v39, vcc
	v_cvt_f16_f32_e32 v39, v168
	v_cvt_pk_f16_f32 v117, v38, v42
	v_cmp_lt_i32_e32 vcc, s40, v151
	s_and_b64 vcc, exec, vcc
	v_mul_u32_u24_e32 v175, 0x10001, v39
	v_pk_mul_f16 v35, v61, v175
	v_pk_mul_f16 v37, v60, v175
	;; [unrolled: 1-line block ×8, first 2 shown]
	ds_read_u16 v48, v159
	ds_read_u16 v56, v159 offset:32
	ds_read_u16 v60, v159 offset:64
	;; [unrolled: 1-line block ×23, first 2 shown]
	ds_read_u16 v53, v163
	ds_read_u16 v194, v163 offset:32
	ds_read_u16 v195, v163 offset:64
	;; [unrolled: 1-line block ×39, first 2 shown]
	s_waitcnt lgkmcnt(14)
	v_perm_b32 v48, v49, v48, s48
	v_perm_b32 v49, v53, v52, s48
	v_cvt_f32_f16_e32 v34, v35
	v_cvt_f32_f16_sdwa v35, v35 dst_sel:DWORD dst_unused:UNUSED_PAD src0_sel:WORD_1
	v_cvt_f32_f16_e32 v36, v37
	v_cvt_f32_f16_sdwa v37, v37 dst_sel:DWORD dst_unused:UNUSED_PAD src0_sel:WORD_1
	v_perm_b32 v56, v57, v56, s48
	v_perm_b32 v57, v194, v187, s48
	v_cvt_f32_f16_e32 v38, v39
	v_cvt_f32_f16_sdwa v39, v39 dst_sel:DWORD dst_unused:UNUSED_PAD src0_sel:WORD_1
	v_cvt_f32_f16_e32 v40, v41
	v_cvt_f32_f16_sdwa v41, v41 dst_sel:DWORD dst_unused:UNUSED_PAD src0_sel:WORD_1
	v_mfma_f32_16x16x16_f16 v[34:37], v[48:49], v[114:115], v[34:37]
	v_perm_b32 v52, v209, v201, s48
	s_waitcnt lgkmcnt(7)
	v_perm_b32 v53, v225, v217, s48
	v_perm_b32 v48, v210, v202, s48
	v_mfma_f32_16x16x16_f16 v[38:41], v[56:57], v[114:115], v[38:41]
	s_waitcnt lgkmcnt(6)
	v_perm_b32 v49, v226, v218, s48
	s_nop 0
	v_cvt_f16_f32_e32 v34, v34
	v_cvt_f16_f32_e32 v35, v35
	;; [unrolled: 1-line block ×4, first 2 shown]
	s_nop 0
	v_cvt_f16_f32_e32 v38, v38
	v_cvt_f16_f32_e32 v39, v39
	;; [unrolled: 1-line block ×4, first 2 shown]
	v_cvt_f32_f16_e32 v34, v34
	v_cvt_f32_f16_e32 v35, v35
	;; [unrolled: 1-line block ×8, first 2 shown]
	v_perm_b32 v60, v61, v60, s48
	v_perm_b32 v61, v195, v188, s48
	v_cvt_f32_f16_e32 v42, v43
	v_cvt_f32_f16_sdwa v43, v43 dst_sel:DWORD dst_unused:UNUSED_PAD src0_sel:WORD_1
	v_cvt_f32_f16_e32 v44, v45
	v_cvt_f32_f16_sdwa v45, v45 dst_sel:DWORD dst_unused:UNUSED_PAD src0_sel:WORD_1
	v_mfma_f32_16x16x16_f16 v[34:37], v[52:53], v[116:117], v[34:37]
	v_perm_b32 v52, v182, v65, s48
	v_perm_b32 v53, v196, v189, s48
	v_cvt_f32_f16_e32 v46, v47
	v_cvt_f32_f16_sdwa v47, v47 dst_sel:DWORD dst_unused:UNUSED_PAD src0_sel:WORD_1
	v_mfma_f32_16x16x16_f16 v[38:41], v[48:49], v[116:117], v[38:41]
	v_cvt_f32_f16_e32 v48, v64
	v_cvt_f32_f16_sdwa v49, v64 dst_sel:DWORD dst_unused:UNUSED_PAD src0_sel:WORD_1
	v_perm_b32 v56, v211, v203, s48
	v_mfma_f32_16x16x16_f16 v[42:45], v[60:61], v[114:115], v[42:45]
	s_waitcnt lgkmcnt(5)
	v_perm_b32 v57, v227, v219, s48
	v_pk_mul_f16 v51, v51, v175
	v_pk_mul_f16 v60, v50, v175
	v_mfma_f32_16x16x16_f16 v[46:49], v[52:53], v[114:115], v[46:49]
	v_perm_b32 v52, v212, v204, s48
	s_nop 1
	v_cvt_f16_f32_e32 v42, v42
	v_cvt_f16_f32_e32 v43, v43
	;; [unrolled: 1-line block ×4, first 2 shown]
	s_nop 0
	v_cvt_f16_f32_e32 v46, v46
	v_cvt_f16_f32_e32 v47, v47
	;; [unrolled: 1-line block ×4, first 2 shown]
	v_cvt_f32_f16_e32 v42, v42
	v_cvt_f32_f16_e32 v43, v43
	;; [unrolled: 1-line block ×4, first 2 shown]
	s_waitcnt lgkmcnt(4)
	v_perm_b32 v53, v228, v220, s48
	v_cvt_f32_f16_e32 v46, v46
	v_cvt_f32_f16_e32 v47, v47
	;; [unrolled: 1-line block ×4, first 2 shown]
	v_mfma_f32_16x16x16_f16 v[42:45], v[56:57], v[116:117], v[42:45]
	v_perm_b32 v56, v183, v68, s48
	v_perm_b32 v57, v197, v190, s48
	v_cvt_f32_f16_e32 v50, v51
	v_mfma_f32_16x16x16_f16 v[46:49], v[52:53], v[116:117], v[46:49]
	v_cvt_f32_f16_sdwa v51, v51 dst_sel:DWORD dst_unused:UNUSED_PAD src0_sel:WORD_1
	v_cvt_f32_f16_e32 v52, v60
	v_cvt_f32_f16_sdwa v53, v60 dst_sel:DWORD dst_unused:UNUSED_PAD src0_sel:WORD_1
	v_pk_mul_f16 v55, v55, v175
	v_pk_mul_f16 v64, v54, v175
	v_mfma_f32_16x16x16_f16 v[50:53], v[56:57], v[114:115], v[50:53]
	v_perm_b32 v56, v213, v205, s48
	s_waitcnt lgkmcnt(3)
	v_perm_b32 v57, v229, v221, s48
	v_perm_b32 v60, v184, v69, s48
	v_perm_b32 v61, v198, v191, s48
	s_nop 2
	v_cvt_f16_f32_e32 v50, v50
	v_cvt_f16_f32_e32 v51, v51
	v_cvt_f16_f32_e32 v52, v52
	v_cvt_f16_f32_e32 v53, v53
	v_cvt_f32_f16_e32 v50, v50
	v_cvt_f32_f16_e32 v51, v51
	v_cvt_f32_f16_e32 v52, v52
	v_cvt_f32_f16_e32 v53, v53
	v_cvt_f32_f16_e32 v54, v55
	v_cvt_f32_f16_sdwa v55, v55 dst_sel:DWORD dst_unused:UNUSED_PAD src0_sel:WORD_1
	v_mfma_f32_16x16x16_f16 v[50:53], v[56:57], v[116:117], v[50:53]
	v_cvt_f32_f16_e32 v56, v64
	v_cvt_f32_f16_sdwa v57, v64 dst_sel:DWORD dst_unused:UNUSED_PAD src0_sel:WORD_1
	v_pk_mul_f16 v59, v59, v175
	v_pk_mul_f16 v68, v58, v175
	v_mfma_f32_16x16x16_f16 v[54:57], v[60:61], v[114:115], v[54:57]
	v_perm_b32 v60, v214, v206, s48
	s_waitcnt lgkmcnt(2)
	v_perm_b32 v61, v230, v222, s48
	v_perm_b32 v64, v185, v180, s48
	v_perm_b32 v65, v199, v192, s48
	s_nop 2
	v_cvt_f16_f32_e32 v54, v54
	v_cvt_f16_f32_e32 v55, v55
	v_cvt_f16_f32_e32 v56, v56
	v_cvt_f16_f32_e32 v57, v57
	v_cvt_f32_f16_e32 v54, v54
	v_cvt_f32_f16_e32 v55, v55
	v_cvt_f32_f16_e32 v56, v56
	v_cvt_f32_f16_e32 v57, v57
	v_cvt_f32_f16_e32 v58, v59
	v_cvt_f32_f16_sdwa v59, v59 dst_sel:DWORD dst_unused:UNUSED_PAD src0_sel:WORD_1
	v_mfma_f32_16x16x16_f16 v[54:57], v[60:61], v[116:117], v[54:57]
	;; [unrolled: 22-line block ×3, first 2 shown]
	v_cvt_f32_f16_e32 v64, v180
	v_cvt_f32_f16_sdwa v65, v180 dst_sel:DWORD dst_unused:UNUSED_PAD src0_sel:WORD_1
	v_pk_mul_f16 v67, v67, v175
	v_pk_mul_f16 v182, v66, v175
	v_mfma_f32_16x16x16_f16 v[62:65], v[68:69], v[114:115], v[62:65]
	v_perm_b32 v68, v216, v208, s48
	s_waitcnt lgkmcnt(0)
	v_perm_b32 v69, v232, v224, s48
	v_cvt_f32_f16_e32 v66, v67
	v_cvt_f32_f16_sdwa v67, v67 dst_sel:DWORD dst_unused:UNUSED_PAD src0_sel:WORD_1
	s_nop 2
	v_cvt_f16_f32_e32 v62, v62
	v_cvt_f16_f32_e32 v63, v63
	v_cvt_f16_f32_e32 v64, v64
	v_cvt_f16_f32_e32 v65, v65
	v_cvt_f32_f16_e32 v62, v62
	v_cvt_f32_f16_e32 v63, v63
	v_cvt_f32_f16_e32 v64, v64
	v_cvt_f32_f16_e32 v65, v65
	v_pk_mul_f16 v134, v134, v175
	v_pk_mul_f16 v133, v133, v175
	v_mfma_f32_16x16x16_f16 v[62:65], v[68:69], v[116:117], v[62:65]
	ds_read_u16 v69, v159 offset:256
	ds_read_u16 v184, v159 offset:288
	;; [unrolled: 1-line block ×16, first 2 shown]
	s_waitcnt lgkmcnt(7)
	v_perm_b32 v180, v180, v69, s48
	ds_read_u16 v69, v159 offset:1312
	ds_read_u16 v186, v159 offset:1344
	;; [unrolled: 1-line block ×16, first 2 shown]
	s_waitcnt lgkmcnt(7)
	v_perm_b32 v181, v181, v69, s48
	v_cvt_f32_f16_e32 v68, v182
	v_cvt_f32_f16_sdwa v69, v182 dst_sel:DWORD dst_unused:UNUSED_PAD src0_sel:WORD_1
	v_perm_b32 v184, v185, v184, s48
	s_waitcnt lgkmcnt(6)
	v_perm_b32 v185, v187, v186, s48
	v_mfma_f32_16x16x16_f16 v[66:69], v[180:181], v[114:115], v[66:69]
	ds_read_u16 v180, v159 offset:17152
	ds_read_u16 v212, v159 offset:17184
	;; [unrolled: 1-line block ×16, first 2 shown]
	s_waitcnt lgkmcnt(7)
	v_perm_b32 v180, v181, v180, s48
	ds_read_u16 v181, v159 offset:18208
	ds_read_u16 v226, v159 offset:18240
	;; [unrolled: 1-line block ×16, first 2 shown]
	v_cvt_f16_f32_e32 v66, v66
	v_cvt_f16_f32_e32 v67, v67
	;; [unrolled: 1-line block ×4, first 2 shown]
	s_waitcnt lgkmcnt(7)
	v_perm_b32 v181, v182, v181, s48
	v_cvt_f32_f16_e32 v66, v66
	v_cvt_f32_f16_e32 v67, v67
	;; [unrolled: 1-line block ×4, first 2 shown]
	v_pk_mul_f16 v132, v132, v175
	v_pk_mul_f16 v131, v131, v175
	v_mfma_f32_16x16x16_f16 v[180:183], v[180:181], v[116:117], v[66:69]
	v_pk_mul_f16 v130, v130, v175
	v_pk_mul_f16 v129, v129, v175
	s_nop 0
	v_cvt_f32_f16_e32 v66, v134
	v_cvt_f32_f16_sdwa v67, v134 dst_sel:DWORD dst_unused:UNUSED_PAD src0_sel:WORD_1
	v_cvt_f32_f16_e32 v68, v133
	v_cvt_f32_f16_sdwa v69, v133 dst_sel:DWORD dst_unused:UNUSED_PAD src0_sel:WORD_1
	v_perm_b32 v133, v191, v190, s48
	v_pk_mul_f16 v128, v128, v175
	v_mfma_f32_16x16x16_f16 v[66:69], v[184:185], v[114:115], v[66:69]
	v_perm_b32 v184, v219, v212, s48
	s_waitcnt lgkmcnt(6)
	v_perm_b32 v185, v233, v226, s48
	v_pk_mul_f16 v127, v127, v175
	v_pk_mul_f16 v126, v126, v175
	s_nop 2
	v_cvt_f16_f32_e32 v66, v66
	v_cvt_f16_f32_e32 v67, v67
	;; [unrolled: 1-line block ×4, first 2 shown]
	v_cvt_f32_f16_e32 v66, v66
	v_cvt_f32_f16_e32 v67, v67
	;; [unrolled: 1-line block ×4, first 2 shown]
	v_pk_mul_f16 v125, v125, v175
	v_add_f32_e32 v134, v174, v32
	v_mfma_f32_16x16x16_f16 v[184:187], v[184:185], v[116:117], v[66:69]
	v_cndmask_b32_e64 v32, v32, v134, s[12:13]
	v_pk_mul_f16 v124, v124, v175
	s_nop 0
	v_cvt_f32_f16_e32 v66, v132
	v_cvt_f32_f16_sdwa v67, v132 dst_sel:DWORD dst_unused:UNUSED_PAD src0_sel:WORD_1
	v_perm_b32 v132, v189, v188, s48
	v_cvt_f32_f16_e32 v68, v131
	v_cvt_f32_f16_sdwa v69, v131 dst_sel:DWORD dst_unused:UNUSED_PAD src0_sel:WORD_1
	v_perm_b32 v131, v207, v202, s48
	v_pk_mul_f16 v122, v122, v175
	v_mfma_f32_16x16x16_f16 v[66:69], v[132:133], v[114:115], v[66:69]
	v_perm_b32 v132, v220, v213, s48
	s_waitcnt lgkmcnt(5)
	v_perm_b32 v133, v234, v227, s48
	v_pk_mul_f16 v121, v121, v175
	v_cvt_pk_f16_f32 v63, v62, v63
	s_nop 2
	v_cvt_f16_f32_e32 v66, v66
	v_cvt_f16_f32_e32 v67, v67
	;; [unrolled: 1-line block ×4, first 2 shown]
	v_cvt_f32_f16_e32 v66, v66
	v_cvt_f32_f16_e32 v67, v67
	;; [unrolled: 1-line block ×4, first 2 shown]
	v_cvt_pk_f16_f32 v62, v64, v65
	v_cvt_pk_f16_f32 v59, v58, v59
	v_mfma_f32_16x16x16_f16 v[188:191], v[132:133], v[116:117], v[66:69]
	v_cvt_pk_f16_f32 v58, v60, v61
	v_cvt_pk_f16_f32 v55, v54, v55
	s_nop 0
	v_cvt_f32_f16_e32 v66, v130
	v_cvt_f32_f16_sdwa v67, v130 dst_sel:DWORD dst_unused:UNUSED_PAD src0_sel:WORD_1
	v_perm_b32 v130, v194, v192, s48
	v_cvt_f32_f16_e32 v68, v129
	v_cvt_f32_f16_sdwa v69, v129 dst_sel:DWORD dst_unused:UNUSED_PAD src0_sel:WORD_1
	v_perm_b32 v129, v208, v203, s48
	v_cvt_pk_f16_f32 v54, v56, v57
	v_mfma_f32_16x16x16_f16 v[66:69], v[130:131], v[114:115], v[66:69]
	v_perm_b32 v130, v221, v214, s48
	s_waitcnt lgkmcnt(4)
	v_perm_b32 v131, v235, v228, s48
	v_cvt_pk_f16_f32 v51, v50, v51
	v_cvt_pk_f16_f32 v50, v52, v53
	s_nop 2
	v_cvt_f16_f32_e32 v66, v66
	v_cvt_f16_f32_e32 v67, v67
	;; [unrolled: 1-line block ×4, first 2 shown]
	v_cvt_f32_f16_e32 v66, v66
	v_cvt_f32_f16_e32 v67, v67
	;; [unrolled: 1-line block ×4, first 2 shown]
	v_cvt_pk_f16_f32 v53, v46, v47
	v_cvt_pk_f16_f32 v52, v48, v49
	v_mfma_f32_16x16x16_f16 v[130:133], v[130:131], v[116:117], v[66:69]
	v_cvt_pk_f16_f32 v57, v42, v43
	v_cvt_pk_f16_f32 v56, v44, v45
	s_nop 0
	v_cvt_f32_f16_e32 v66, v128
	v_cvt_f32_f16_sdwa v67, v128 dst_sel:DWORD dst_unused:UNUSED_PAD src0_sel:WORD_1
	v_perm_b32 v128, v195, v193, s48
	v_cvt_f32_f16_e32 v68, v127
	v_cvt_f32_f16_sdwa v69, v127 dst_sel:DWORD dst_unused:UNUSED_PAD src0_sel:WORD_1
	v_perm_b32 v127, v209, v204, s48
	v_cvt_pk_f16_f32 v130, v130, v131
	v_mfma_f32_16x16x16_f16 v[66:69], v[128:129], v[114:115], v[66:69]
	v_perm_b32 v128, v222, v215, s48
	s_waitcnt lgkmcnt(3)
	v_perm_b32 v129, v236, v229, s48
	v_cvt_pk_f16_f32 v131, v190, v191
	v_cvt_pk_f16_f32 v49, v38, v39
	s_nop 2
	v_cvt_f16_f32_e32 v66, v66
	v_cvt_f16_f32_e32 v67, v67
	;; [unrolled: 1-line block ×4, first 2 shown]
	v_cvt_f32_f16_e32 v66, v66
	v_cvt_f32_f16_e32 v67, v67
	;; [unrolled: 1-line block ×4, first 2 shown]
	v_cvt_pk_f16_f32 v48, v40, v41
	v_cvt_pk_f16_f32 v61, v34, v35
	v_mfma_f32_16x16x16_f16 v[192:195], v[128:129], v[116:117], v[66:69]
	v_cvt_pk_f16_f32 v60, v36, v37
	s_waitcnt lgkmcnt(0)
	s_nop 0
	v_cvt_f32_f16_e32 v66, v126
	v_cvt_f32_f16_sdwa v67, v126 dst_sel:DWORD dst_unused:UNUSED_PAD src0_sel:WORD_1
	v_perm_b32 v126, v199, v196, s48
	v_cvt_f32_f16_e32 v68, v125
	v_cvt_f32_f16_sdwa v69, v125 dst_sel:DWORD dst_unused:UNUSED_PAD src0_sel:WORD_1
	v_add_f32_e32 v125, v32, v173
	v_cndmask_b32_e64 v32, v32, v125, s[14:15]
	v_mfma_f32_16x16x16_f16 v[66:69], v[126:127], v[114:115], v[66:69]
	v_perm_b32 v126, v223, v216, s48
	v_perm_b32 v127, v237, v230, s48
	;; [unrolled: 1-line block ×3, first 2 shown]
	v_add_f32_e32 v134, v32, v172
	s_nop 3
	v_cvt_f16_f32_e32 v66, v66
	v_cvt_f16_f32_e32 v67, v67
	;; [unrolled: 1-line block ×4, first 2 shown]
	v_cvt_f32_f16_e32 v66, v66
	v_cvt_f32_f16_e32 v67, v67
	;; [unrolled: 1-line block ×4, first 2 shown]
	v_cndmask_b32_e64 v32, v32, v134, s[16:17]
	v_pk_mul_f16 v134, v120, v175
	v_mfma_f32_16x16x16_f16 v[126:129], v[126:127], v[116:117], v[66:69]
	v_perm_b32 v120, v201, v198, s48
	s_barrier
	s_nop 0
	v_cvt_f32_f16_e32 v66, v124
	v_cvt_f32_f16_sdwa v67, v124 dst_sel:DWORD dst_unused:UNUSED_PAD src0_sel:WORD_1
	v_perm_b32 v124, v200, v197, s48
	v_cvt_f32_f16_e32 v68, v122
	v_cvt_f32_f16_sdwa v69, v122 dst_sel:DWORD dst_unused:UNUSED_PAD src0_sel:WORD_1
	v_add_f32_e32 v122, v171, v32
	v_cndmask_b32_e64 v32, v32, v122, s[18:19]
	v_mfma_f32_16x16x16_f16 v[66:69], v[124:125], v[114:115], v[66:69]
	v_perm_b32 v124, v224, v217, s48
	v_perm_b32 v125, v238, v231, s48
	v_add_f32_e32 v122, v170, v32
	v_cndmask_b32_e64 v32, v32, v122, s[20:21]
	s_nop 3
	v_cvt_f16_f32_e32 v66, v66
	v_cvt_f16_f32_e32 v67, v67
	;; [unrolled: 1-line block ×4, first 2 shown]
	v_cvt_f32_f16_e32 v66, v66
	v_cvt_f32_f16_e32 v67, v67
	;; [unrolled: 1-line block ×4, first 2 shown]
	v_add_f32_e32 v122, v169, v32
	v_cndmask_b32_e64 v32, v32, v122, s[22:23]
	v_mfma_f32_16x16x16_f16 v[170:173], v[124:125], v[116:117], v[66:69]
	v_add_f32_e32 v33, v33, v32
	v_cvt_pk_f16_f32 v126, v126, v127
	s_nop 0
	v_cvt_f32_f16_e32 v66, v121
	v_cvt_f32_f16_sdwa v67, v121 dst_sel:DWORD dst_unused:UNUSED_PAD src0_sel:WORD_1
	v_perm_b32 v121, v211, v206, s48
	v_cvt_f32_f16_e32 v68, v134
	v_cvt_f32_f16_sdwa v69, v134 dst_sel:DWORD dst_unused:UNUSED_PAD src0_sel:WORD_1
	v_cvt_pk_f16_f32 v124, v170, v171
	v_cvt_pk_f16_f32 v122, v172, v173
	v_mfma_f32_16x16x16_f16 v[66:69], v[120:121], v[114:115], v[66:69]
	v_cvt_pk_f16_f32 v125, v128, v129
	v_cvt_pk_f16_f32 v128, v192, v193
	v_cvt_pk_f16_f32 v127, v194, v195
	v_cvt_pk_f16_f32 v129, v132, v133
	s_nop 3
	v_cvt_f16_f32_e32 v66, v66
	v_cvt_f16_f32_e32 v67, v67
	;; [unrolled: 1-line block ×4, first 2 shown]
	v_cvt_f32_f16_e32 v196, v66
	v_cvt_f32_f16_e32 v197, v67
	v_perm_b32 v66, v225, v218, s48
	v_perm_b32 v67, v239, v232, s48
	v_cvt_f32_f16_e32 v198, v68
	v_cvt_f32_f16_e32 v199, v69
	v_cndmask_b32_e64 v68, v32, v33, s[24:25]
	v_fmac_f32_e32 v68, v167, v168
	v_mfma_f32_16x16x16_f16 v[114:117], v[66:67], v[116:117], v[196:199]
	v_cvt_pk_f16_f32 v132, v188, v189
	v_cvt_pk_f16_f32 v134, v184, v185
	;; [unrolled: 1-line block ×4, first 2 shown]
	s_nop 3
	v_cvt_pk_f16_f32 v121, v114, v115
	v_cvt_pk_f16_f32 v120, v116, v117
	;; [unrolled: 1-line block ×3, first 2 shown]
	s_cbranch_vccz .LBB30_693
; %bb.689:                              ;   in Loop: Header=BB30_653 Depth=1
	v_mov_b32_e32 v167, v68
	v_mov_b32_e32 v64, v73
	s_andn2_b64 vcc, exec, s[30:31]
	s_ashr_i32 s35, s34, 31
	s_cbranch_vccz .LBB30_648
	s_branch .LBB30_653
.LBB30_690:                             ;   in Loop: Header=BB30_653 Depth=1
                                        ; implicit-def: $vgpr36_vgpr37_vgpr38_vgpr39
                                        ; implicit-def: $vgpr32_vgpr33_vgpr34_vgpr35
	s_branch .LBB30_687
.LBB30_691:
                                        ; implicit-def: $sgpr4_sgpr5
                                        ; kill: killed $sgpr4_sgpr5
	s_load_dwordx2 s[98:99], s[0:1], 0x5c
	s_branch .LBB30_7
.LBB30_692:
	v_mov_b32_e32 v73, 0xfeffffff
	v_mov_b32_e32 v68, 0
	;; [unrolled: 1-line block ×34, first 2 shown]
.LBB30_693:
	s_lshl_b32 s2, s40, 6
	v_readlane_b32 s0, v255, 3
	s_sub_i32 s18, s0, s2
	s_cmp_lg_u64 s[28:29], 0
	s_cselect_b64 s[8:9], -1, 0
	s_ashr_i32 s3, s2, 31
	s_cmp_eq_u64 s[28:29], 0
	v_readlane_b32 s1, v255, 4
	s_cbranch_scc1 .LBB30_711
; %bb.694:
	s_lshl_b64 s[0:1], s[2:3], 1
	s_add_u32 s0, s28, s0
	s_addc_u32 s1, s29, s1
	v_mov_b32_e32 v75, 0
	v_cmp_gt_i32_e32 vcc, s18, v70
	v_lshl_add_u64 v[32:33], s[0:1], 0, v[74:75]
	v_mov_b32_e32 v36, 0
	s_and_saveexec_b64 s[0:1], vcc
	s_cbranch_execz .LBB30_696
; %bb.695:
	v_mul_hi_u32 v34, s98, v141
	v_add_u32_e32 v34, v141, v34
	v_lshrrev_b32_e32 v34, s99, v34
	v_mul_lo_u32 v34, v34, s80
	v_sub_u32_e32 v34, v141, v34
	v_mad_i64_i32 v[34:35], s[4:5], v34, s62, 0
	v_lshl_add_u64 v[34:35], v[34:35], 1, v[32:33]
	global_load_ushort v36, v[34:35], off
.LBB30_696:
	s_or_b64 exec, exec, s[0:1]
	v_lshl_add_u32 v34, v70, 1, 0
	s_movk_i32 s0, 0x90
	v_mul_u32_u24_e32 v35, 0x90, v123
	v_mad_u32_u24 v37, v123, s0, v34
	s_waitcnt vmcnt(0)
	ds_write_b16 v37, v36 offset:33792
	s_and_saveexec_b64 s[0:1], vcc
	s_cbranch_execz .LBB30_698
; %bb.697:
	v_mul_hi_u32 v36, s98, v142
	v_add_u32_e32 v36, v142, v36
	v_lshrrev_b32_e32 v36, s99, v36
	v_mul_lo_u32 v36, v36, s80
	v_sub_u32_e32 v36, v142, v36
	v_mad_i64_i32 v[36:37], s[4:5], v36, s62, 0
	v_lshl_add_u64 v[36:37], v[36:37], 1, v[32:33]
	global_load_ushort v75, v[36:37], off
.LBB30_698:
	s_or_b64 exec, exec, s[0:1]
	v_add_u32_e32 v34, v34, v35
	v_mov_b32_e32 v35, 0
	v_mov_b32_e32 v36, 0
	s_waitcnt vmcnt(0)
	ds_write_b16 v34, v75 offset:34944
	s_and_saveexec_b64 s[0:1], vcc
	s_cbranch_execz .LBB30_700
; %bb.699:
	v_mul_hi_u32 v36, s98, v143
	v_add_u32_e32 v36, v143, v36
	v_lshrrev_b32_e32 v36, s99, v36
	v_mul_lo_u32 v36, v36, s80
	v_sub_u32_e32 v36, v143, v36
	v_mad_i64_i32 v[36:37], s[4:5], v36, s62, 0
	v_lshl_add_u64 v[36:37], v[36:37], 1, v[32:33]
	global_load_ushort v36, v[36:37], off
.LBB30_700:
	s_or_b64 exec, exec, s[0:1]
	s_waitcnt vmcnt(0)
	ds_write_b16 v34, v36 offset:36096
	s_and_saveexec_b64 s[0:1], vcc
	s_cbranch_execz .LBB30_702
; %bb.701:
	v_mul_hi_u32 v35, s98, v144
	v_add_u32_e32 v35, v144, v35
	v_lshrrev_b32_e32 v35, s99, v35
	v_mul_lo_u32 v35, v35, s80
	v_sub_u32_e32 v35, v144, v35
	v_mad_i64_i32 v[36:37], s[4:5], v35, s62, 0
	v_lshl_add_u64 v[36:37], v[36:37], 1, v[32:33]
	global_load_ushort v35, v[36:37], off
.LBB30_702:
	s_or_b64 exec, exec, s[0:1]
	s_waitcnt vmcnt(0)
	ds_write_b16 v34, v35 offset:37248
	v_mov_b32_e32 v35, 0
	v_mov_b32_e32 v36, 0
	s_and_saveexec_b64 s[0:1], vcc
	s_cbranch_execz .LBB30_704
; %bb.703:
	v_mul_hi_u32 v36, s98, v145
	v_add_u32_e32 v36, v145, v36
	v_lshrrev_b32_e32 v36, s99, v36
	v_mul_lo_u32 v36, v36, s80
	v_sub_u32_e32 v36, v145, v36
	v_mad_i64_i32 v[36:37], s[4:5], v36, s62, 0
	v_lshl_add_u64 v[36:37], v[36:37], 1, v[32:33]
	global_load_ushort v36, v[36:37], off
.LBB30_704:
	s_or_b64 exec, exec, s[0:1]
	s_waitcnt vmcnt(0)
	ds_write_b16 v34, v36 offset:38400
	s_and_saveexec_b64 s[0:1], vcc
	s_cbranch_execz .LBB30_706
; %bb.705:
	v_mul_hi_u32 v35, s98, v146
	v_add_u32_e32 v35, v146, v35
	v_lshrrev_b32_e32 v35, s99, v35
	v_mul_lo_u32 v35, v35, s80
	v_sub_u32_e32 v35, v146, v35
	v_mad_i64_i32 v[36:37], s[4:5], v35, s62, 0
	v_lshl_add_u64 v[36:37], v[36:37], 1, v[32:33]
	global_load_ushort v35, v[36:37], off
.LBB30_706:
	s_or_b64 exec, exec, s[0:1]
	s_waitcnt vmcnt(0)
	ds_write_b16 v34, v35 offset:39552
	v_mov_b32_e32 v35, 0
	v_mov_b32_e32 v36, 0
	s_and_saveexec_b64 s[0:1], vcc
	s_cbranch_execz .LBB30_708
; %bb.707:
	v_mul_hi_u32 v36, s98, v148
	v_add_u32_e32 v36, v148, v36
	v_lshrrev_b32_e32 v36, s99, v36
	v_mul_lo_u32 v36, v36, s80
	v_sub_u32_e32 v36, v148, v36
	v_mad_i64_i32 v[36:37], s[4:5], v36, s62, 0
	v_lshl_add_u64 v[36:37], v[36:37], 1, v[32:33]
	global_load_ushort v36, v[36:37], off
.LBB30_708:
	s_or_b64 exec, exec, s[0:1]
	s_waitcnt vmcnt(0)
	ds_write_b16 v34, v36 offset:40704
	s_and_saveexec_b64 s[0:1], vcc
	s_cbranch_execz .LBB30_710
; %bb.709:
	v_mul_hi_u32 v35, s98, v149
	v_add_u32_e32 v35, v149, v35
	v_lshrrev_b32_e32 v35, s99, v35
	v_mul_lo_u32 v35, v35, s80
	v_sub_u32_e32 v35, v149, v35
	v_mad_i64_i32 v[36:37], s[4:5], v35, s62, 0
	v_lshl_add_u64 v[32:33], v[36:37], 1, v[32:33]
	global_load_ushort v35, v[32:33], off
.LBB30_710:
	s_or_b64 exec, exec, s[0:1]
	s_waitcnt vmcnt(0)
	ds_write_b16 v34, v35 offset:41856
.LBB30_711:
	s_mul_hi_i32 s5, s2, s96
	s_mul_i32 s4, s2, s96
	s_lshl_b64 s[4:5], s[4:5], 2
	v_lshl_add_u32 v34, v123, 1, v150
	s_add_u32 s10, s39, s4
	v_mul_lo_u32 v42, s96, v34
	s_addc_u32 s11, s41, s5
	v_and_b32_e32 v32, 0x7c, v140
	v_ashrrev_i32_e32 v43, 31, v42
	s_mov_b64 s[0:1], src_private_base
	v_mov_b32_e32 v33, 0
	v_lshlrev_b32_e32 v32, 2, v32
	v_lshl_add_u64 v[36:37], v[42:43], 2, s[10:11]
	v_lshl_add_u64 v[36:37], v[36:37], 0, v[32:33]
	v_mov_b32_e32 v35, s1
	v_cmp_gt_i32_e64 s[4:5], s18, v34
	v_mov_b32_e32 v46, 0
	v_mov_b32_e32 v38, v33
	;; [unrolled: 1-line block ×5, first 2 shown]
	v_cndmask_b32_e64 v37, v35, v37, s[4:5]
	v_cndmask_b32_e64 v36, v46, v36, s[4:5]
	scratch_store_dwordx4 off, v[38:41], off
	flat_load_dwordx4 v[38:41], v[36:37]
	s_lshl_b32 s3, s96, 4
	v_add_u32_e32 v42, s3, v42
	v_ashrrev_i32_e32 v43, 31, v42
	v_mul_u32_u24_e32 v36, 0x210, v34
	v_add_u32_e32 v37, 16, v34
	v_lshl_add_u64 v[44:45], v[42:43], 2, s[10:11]
	v_add3_u32 v36, 0, v36, v32
	v_lshl_add_u64 v[44:45], v[44:45], 0, v[32:33]
	v_cmp_gt_i32_e64 s[6:7], s18, v37
	v_add_u32_e32 v42, s3, v42
	v_ashrrev_i32_e32 v43, 31, v42
	v_cndmask_b32_e64 v45, v35, v45, s[6:7]
	v_cndmask_b32_e64 v44, v46, v44, s[6:7]
	v_add_u32_e32 v37, 32, v34
	v_cmp_gt_i32_e64 s[0:1], s18, v37
	v_add_u32_e32 v37, 48, v34
	v_cmp_gt_i32_e64 s[16:17], s18, v37
	s_waitcnt vmcnt(0) lgkmcnt(0)
	ds_write_b128 v36, v[38:41]
	flat_load_dwordx4 v[38:41], v[44:45]
	v_lshl_add_u64 v[44:45], v[42:43], 2, s[10:11]
	v_lshl_add_u64 v[44:45], v[44:45], 0, v[32:33]
	v_cndmask_b32_e64 v45, v35, v45, s[0:1]
	v_cndmask_b32_e64 v44, v46, v44, s[0:1]
	v_add_u32_e32 v42, s3, v42
	v_ashrrev_i32_e32 v43, 31, v42
	v_lshl_add_u64 v[42:43], v[42:43], 2, s[10:11]
	v_lshl_add_u64 v[42:43], v[42:43], 0, v[32:33]
	v_cndmask_b32_e64 v43, v35, v43, s[16:17]
	v_cndmask_b32_e64 v42, v46, v42, s[16:17]
	v_and_b32_e32 v33, 16, v240
	v_add_u32_e32 v35, 0, v147
	v_mul_u32_u24_e32 v37, 0x210, v33
	v_add3_u32 v35, v35, v119, v37
	v_add_u32_e32 v37, 0x4000, v35
	s_mov_b32 s3, 0x3f200000
	s_waitcnt vmcnt(0) lgkmcnt(0)
	ds_write_b128 v36, v[38:41] offset:8448
	flat_load_dwordx4 v[38:41], v[44:45]
	s_waitcnt vmcnt(0) lgkmcnt(0)
	ds_write_b128 v36, v[38:41] offset:16896
	flat_load_dwordx4 v[38:41], v[42:43]
	s_waitcnt vmcnt(0) lgkmcnt(0)
	ds_write_b128 v36, v[38:41] offset:25344
	s_waitcnt lgkmcnt(0)
	s_barrier
	ds_read2_b64 v[38:41], v35 offset1:4
	ds_read2_b64 v[74:77], v37 offset0:64 offset1:68
	s_waitcnt lgkmcnt(1)
	v_mfma_f32_16x16x16_f16 v[42:45], v[38:39], v[28:29], 0
	s_waitcnt lgkmcnt(0)
	v_mfma_f32_16x16x16_f16 v[78:81], v[74:75], v[28:29], 0
	v_mfma_f32_16x16x16_f16 v[38:41], v[40:41], v[30:31], v[42:45]
	;; [unrolled: 1-line block ×3, first 2 shown]
	s_nop 3
	ds_read2_b64 v[42:45], v35 offset0:8 offset1:12
	ds_read2_b64 v[74:77], v37 offset0:72 offset1:76
	s_waitcnt lgkmcnt(1)
	v_mfma_f32_16x16x16_f16 v[38:41], v[42:43], v[24:25], v[38:41]
	s_waitcnt lgkmcnt(0)
	v_mfma_f32_16x16x16_f16 v[28:31], v[74:75], v[24:25], v[28:31]
	v_mfma_f32_16x16x16_f16 v[38:41], v[44:45], v[26:27], v[38:41]
	ds_read2_b64 v[42:45], v37 offset0:80 offset1:84
	v_mfma_f32_16x16x16_f16 v[24:27], v[76:77], v[26:27], v[28:31]
	s_nop 4
	ds_read2_b64 v[28:31], v35 offset0:16 offset1:20
	s_waitcnt lgkmcnt(0)
	v_mfma_f32_16x16x16_f16 v[38:41], v[28:29], v[20:21], v[38:41]
	v_mfma_f32_16x16x16_f16 v[24:27], v[42:43], v[20:21], v[24:27]
	v_mfma_f32_16x16x16_f16 v[28:31], v[30:31], v[22:23], v[38:41]
	v_mfma_f32_16x16x16_f16 v[20:23], v[44:45], v[22:23], v[24:27]
	s_nop 4
	ds_read2_b64 v[38:41], v37 offset0:88 offset1:92
	ds_read2_b64 v[24:27], v35 offset0:24 offset1:28
	s_waitcnt lgkmcnt(0)
	v_mfma_f32_16x16x16_f16 v[28:31], v[24:25], v[16:17], v[28:31]
	v_mfma_f32_16x16x16_f16 v[20:23], v[38:39], v[16:17], v[20:23]
	v_mfma_f32_16x16x16_f16 v[24:27], v[26:27], v[18:19], v[28:31]
	v_mfma_f32_16x16x16_f16 v[16:19], v[40:41], v[18:19], v[20:23]
	s_nop 4
	ds_read2_b64 v[28:31], v37 offset0:96 offset1:100
	;; [unrolled: 8-line block ×5, first 2 shown]
	ds_read2_b64 v[8:11], v35 offset0:56 offset1:60
	s_waitcnt lgkmcnt(0)
	v_mfma_f32_16x16x16_f16 v[12:15], v[8:9], v[0:1], v[12:15]
	s_barrier
	v_mfma_f32_16x16x16_f16 v[20:23], v[16:17], v[0:1], v[4:7]
	v_mfma_f32_16x16x16_f16 v[4:7], v[10:11], v[2:3], v[12:15]
                                        ; implicit-def: $vgpr11
	v_mfma_f32_16x16x16_f16 v[0:3], v[18:19], v[2:3], v[20:23]
	s_nop 6
	v_cmp_nlt_f32_e64 s[10:11], |v4|, s3
	s_and_saveexec_b64 s[12:13], s[10:11]
	s_xor_b64 s[10:11], exec, s[12:13]
	s_cbranch_execz .LBB30_713
; %bb.712:
	v_add_f32_e64 v8, |v4|, |v4|
	v_mul_f32_e32 v9, 0x3fb8aa3b, v8
	s_mov_b32 s3, 0x3fb8aa3b
	v_rndne_f32_e32 v10, v9
	v_sub_f32_e32 v11, v9, v10
	v_fma_f32 v9, v8, s3, -v9
	v_fmamk_f32 v9, v8, 0x32a5705f, v9
	v_add_f32_e32 v9, v11, v9
	v_exp_f32_e32 v9, v9
	v_cvt_i32_f32_e32 v10, v10
	s_mov_b32 s3, 0xc2ce8ed0
	v_cmp_ngt_f32_e32 vcc, s3, v8
	s_mov_b32 s3, 0x42b17218
	v_ldexp_f32 v9, v9, v10
	v_cndmask_b32_e32 v9, 0, v9, vcc
	v_mov_b32_e32 v10, 0x7f800000
	v_cmp_nlt_f32_e32 vcc, s3, v8
	s_nop 1
	v_cndmask_b32_e32 v8, v10, v9, vcc
	v_add_f32_e32 v8, 1.0, v8
	v_rcp_f32_e32 v8, v8
	s_nop 0
	v_fma_f32 v11, v8, -2.0, 1.0
.LBB30_713:
	s_andn2_saveexec_b64 s[10:11], s[10:11]
; %bb.714:
	v_mul_f32_e32 v8, v4, v4
	v_mov_b32_e32 v9, 0x3ca908c9
	v_fmac_f32_e32 v9, 0xbbbac73d, v8
	v_fmaak_f32 v9, v8, v9, 0xbd5c1c4e
	v_fmaak_f32 v9, v8, v9, 0x3e088382
	;; [unrolled: 1-line block ×3, first 2 shown]
	v_mul_f32_e64 v9, |v4|, v9
	v_fma_f32 v11, v8, v9, |v4|
; %bb.715:
	s_or_b64 exec, exec, s[10:11]
	s_mov_b32 s3, 0x3f200000
	v_cmp_nlt_f32_e64 s[10:11], |v5|, s3
                                        ; implicit-def: $vgpr13
	s_and_saveexec_b64 s[12:13], s[10:11]
	s_xor_b64 s[10:11], exec, s[12:13]
	s_cbranch_execz .LBB30_717
; %bb.716:
	v_add_f32_e64 v8, |v5|, |v5|
	v_mul_f32_e32 v9, 0x3fb8aa3b, v8
	s_mov_b32 s3, 0x3fb8aa3b
	v_rndne_f32_e32 v10, v9
	v_sub_f32_e32 v12, v9, v10
	v_fma_f32 v9, v8, s3, -v9
	v_fmamk_f32 v9, v8, 0x32a5705f, v9
	v_add_f32_e32 v9, v12, v9
	v_exp_f32_e32 v9, v9
	v_cvt_i32_f32_e32 v10, v10
	s_mov_b32 s3, 0xc2ce8ed0
	v_cmp_ngt_f32_e32 vcc, s3, v8
	s_mov_b32 s3, 0x42b17218
	v_ldexp_f32 v9, v9, v10
	v_cndmask_b32_e32 v9, 0, v9, vcc
	v_mov_b32_e32 v10, 0x7f800000
	v_cmp_nlt_f32_e32 vcc, s3, v8
	s_nop 1
	v_cndmask_b32_e32 v8, v10, v9, vcc
	v_add_f32_e32 v8, 1.0, v8
	v_rcp_f32_e32 v8, v8
	s_nop 0
	v_fma_f32 v13, v8, -2.0, 1.0
.LBB30_717:
	s_andn2_saveexec_b64 s[10:11], s[10:11]
; %bb.718:
	v_mul_f32_e32 v8, v5, v5
	v_mov_b32_e32 v9, 0x3ca908c9
	v_fmac_f32_e32 v9, 0xbbbac73d, v8
	v_fmaak_f32 v9, v8, v9, 0xbd5c1c4e
	v_fmaak_f32 v9, v8, v9, 0x3e088382
	;; [unrolled: 1-line block ×3, first 2 shown]
	v_mul_f32_e64 v9, |v5|, v9
	v_fma_f32 v13, v8, v9, |v5|
; %bb.719:
	s_or_b64 exec, exec, s[10:11]
	s_mov_b32 s3, 0x3f200000
	v_cmp_nlt_f32_e64 s[10:11], |v6|, s3
                                        ; implicit-def: $vgpr14
	s_and_saveexec_b64 s[12:13], s[10:11]
	s_xor_b64 s[10:11], exec, s[12:13]
	s_cbranch_execz .LBB30_721
; %bb.720:
	v_add_f32_e64 v8, |v6|, |v6|
	v_mul_f32_e32 v9, 0x3fb8aa3b, v8
	s_mov_b32 s3, 0x3fb8aa3b
	v_rndne_f32_e32 v10, v9
	v_sub_f32_e32 v12, v9, v10
	v_fma_f32 v9, v8, s3, -v9
	v_fmamk_f32 v9, v8, 0x32a5705f, v9
	v_add_f32_e32 v9, v12, v9
	v_exp_f32_e32 v9, v9
	v_cvt_i32_f32_e32 v10, v10
	s_mov_b32 s3, 0xc2ce8ed0
	v_cmp_ngt_f32_e32 vcc, s3, v8
	s_mov_b32 s3, 0x42b17218
	v_ldexp_f32 v9, v9, v10
	v_cndmask_b32_e32 v9, 0, v9, vcc
	v_mov_b32_e32 v10, 0x7f800000
	v_cmp_nlt_f32_e32 vcc, s3, v8
	s_nop 1
	v_cndmask_b32_e32 v8, v10, v9, vcc
	v_add_f32_e32 v8, 1.0, v8
	v_rcp_f32_e32 v8, v8
	s_nop 0
	v_fma_f32 v14, v8, -2.0, 1.0
.LBB30_721:
	s_andn2_saveexec_b64 s[10:11], s[10:11]
; %bb.722:
	v_mul_f32_e32 v8, v6, v6
	v_mov_b32_e32 v9, 0x3ca908c9
	v_fmac_f32_e32 v9, 0xbbbac73d, v8
	v_fmaak_f32 v9, v8, v9, 0xbd5c1c4e
	v_fmaak_f32 v9, v8, v9, 0x3e088382
	;; [unrolled: 1-line block ×3, first 2 shown]
	v_mul_f32_e64 v9, |v6|, v9
	v_fma_f32 v14, v8, v9, |v6|
; %bb.723:
	s_or_b64 exec, exec, s[10:11]
	s_mov_b32 s3, 0x3f200000
	v_cmp_nlt_f32_e64 s[10:11], |v7|, s3
                                        ; implicit-def: $vgpr15
	s_and_saveexec_b64 s[12:13], s[10:11]
	s_xor_b64 s[10:11], exec, s[12:13]
	s_cbranch_execz .LBB30_725
; %bb.724:
	v_add_f32_e64 v8, |v7|, |v7|
	v_mul_f32_e32 v9, 0x3fb8aa3b, v8
	s_mov_b32 s3, 0x3fb8aa3b
	v_rndne_f32_e32 v10, v9
	v_sub_f32_e32 v12, v9, v10
	v_fma_f32 v9, v8, s3, -v9
	v_fmamk_f32 v9, v8, 0x32a5705f, v9
	v_add_f32_e32 v9, v12, v9
	v_exp_f32_e32 v9, v9
	v_cvt_i32_f32_e32 v10, v10
	s_mov_b32 s3, 0xc2ce8ed0
	v_cmp_ngt_f32_e32 vcc, s3, v8
	s_mov_b32 s3, 0x42b17218
	v_ldexp_f32 v9, v9, v10
	v_cndmask_b32_e32 v9, 0, v9, vcc
	v_mov_b32_e32 v10, 0x7f800000
	v_cmp_nlt_f32_e32 vcc, s3, v8
	s_nop 1
	v_cndmask_b32_e32 v8, v10, v9, vcc
	v_add_f32_e32 v8, 1.0, v8
	v_rcp_f32_e32 v8, v8
	s_nop 0
	v_fma_f32 v15, v8, -2.0, 1.0
.LBB30_725:
	s_andn2_saveexec_b64 s[10:11], s[10:11]
; %bb.726:
	v_mul_f32_e32 v8, v7, v7
	v_mov_b32_e32 v9, 0x3ca908c9
	v_fmac_f32_e32 v9, 0xbbbac73d, v8
	v_fmaak_f32 v9, v8, v9, 0xbd5c1c4e
	v_fmaak_f32 v9, v8, v9, 0x3e088382
	;; [unrolled: 1-line block ×3, first 2 shown]
	v_mul_f32_e64 v9, |v7|, v9
	v_fma_f32 v15, v8, v9, |v7|
; %bb.727:
	s_or_b64 exec, exec, s[10:11]
	s_mov_b32 s3, 0x3f200000
	v_cmp_nlt_f32_e64 s[10:11], |v0|, s3
                                        ; implicit-def: $vgpr8
	s_and_saveexec_b64 s[12:13], s[10:11]
	s_xor_b64 s[10:11], exec, s[12:13]
	s_cbranch_execz .LBB30_729
; %bb.728:
	v_add_f32_e64 v8, |v0|, |v0|
	v_mul_f32_e32 v9, 0x3fb8aa3b, v8
	s_mov_b32 s3, 0x3fb8aa3b
	v_rndne_f32_e32 v10, v9
	v_sub_f32_e32 v12, v9, v10
	v_fma_f32 v9, v8, s3, -v9
	v_fmamk_f32 v9, v8, 0x32a5705f, v9
	v_add_f32_e32 v9, v12, v9
	v_exp_f32_e32 v9, v9
	v_cvt_i32_f32_e32 v10, v10
	s_mov_b32 s3, 0xc2ce8ed0
	v_cmp_ngt_f32_e32 vcc, s3, v8
	s_mov_b32 s3, 0x42b17218
	v_ldexp_f32 v9, v9, v10
	v_cndmask_b32_e32 v9, 0, v9, vcc
	v_mov_b32_e32 v10, 0x7f800000
	v_cmp_nlt_f32_e32 vcc, s3, v8
	s_nop 1
	v_cndmask_b32_e32 v8, v10, v9, vcc
	v_add_f32_e32 v8, 1.0, v8
	v_rcp_f32_e32 v8, v8
	s_nop 0
	v_fma_f32 v8, v8, -2.0, 1.0
.LBB30_729:
	s_andn2_saveexec_b64 s[10:11], s[10:11]
; %bb.730:
	v_mul_f32_e32 v8, v0, v0
	v_mov_b32_e32 v9, 0x3ca908c9
	v_fmac_f32_e32 v9, 0xbbbac73d, v8
	v_fmaak_f32 v9, v8, v9, 0xbd5c1c4e
	v_fmaak_f32 v9, v8, v9, 0x3e088382
	;; [unrolled: 1-line block ×3, first 2 shown]
	v_mul_f32_e64 v9, |v0|, v9
	v_fma_f32 v8, v8, v9, |v0|
; %bb.731:
	s_or_b64 exec, exec, s[10:11]
	s_mov_b32 s3, 0x3f200000
	v_cmp_nlt_f32_e64 s[10:11], |v1|, s3
                                        ; implicit-def: $vgpr9
	s_and_saveexec_b64 s[12:13], s[10:11]
	s_xor_b64 s[10:11], exec, s[12:13]
	s_cbranch_execz .LBB30_733
; %bb.732:
	v_add_f32_e64 v9, |v1|, |v1|
	v_mul_f32_e32 v10, 0x3fb8aa3b, v9
	s_mov_b32 s3, 0x3fb8aa3b
	v_rndne_f32_e32 v12, v10
	v_sub_f32_e32 v16, v10, v12
	v_fma_f32 v10, v9, s3, -v10
	v_fmamk_f32 v10, v9, 0x32a5705f, v10
	v_add_f32_e32 v10, v16, v10
	v_exp_f32_e32 v10, v10
	v_cvt_i32_f32_e32 v12, v12
	s_mov_b32 s3, 0xc2ce8ed0
	v_cmp_ngt_f32_e32 vcc, s3, v9
	s_mov_b32 s3, 0x42b17218
	v_ldexp_f32 v10, v10, v12
	v_cndmask_b32_e32 v10, 0, v10, vcc
	v_mov_b32_e32 v12, 0x7f800000
	v_cmp_nlt_f32_e32 vcc, s3, v9
	s_nop 1
	v_cndmask_b32_e32 v9, v12, v10, vcc
	v_add_f32_e32 v9, 1.0, v9
	v_rcp_f32_e32 v9, v9
	s_nop 0
	v_fma_f32 v9, v9, -2.0, 1.0
.LBB30_733:
	s_andn2_saveexec_b64 s[10:11], s[10:11]
; %bb.734:
	v_mul_f32_e32 v9, v1, v1
	v_mov_b32_e32 v10, 0x3ca908c9
	v_fmac_f32_e32 v10, 0xbbbac73d, v9
	v_fmaak_f32 v10, v9, v10, 0xbd5c1c4e
	v_fmaak_f32 v10, v9, v10, 0x3e088382
	;; [unrolled: 1-line block ×3, first 2 shown]
	v_mul_f32_e64 v10, |v1|, v10
	v_fma_f32 v9, v9, v10, |v1|
; %bb.735:
	s_or_b64 exec, exec, s[10:11]
	s_mov_b32 s3, 0x3f200000
	v_cmp_nlt_f32_e64 s[10:11], |v2|, s3
                                        ; implicit-def: $vgpr10
	s_and_saveexec_b64 s[12:13], s[10:11]
	s_xor_b64 s[10:11], exec, s[12:13]
	s_cbranch_execz .LBB30_737
; %bb.736:
	v_add_f32_e64 v10, |v2|, |v2|
	v_mul_f32_e32 v12, 0x3fb8aa3b, v10
	s_mov_b32 s3, 0x3fb8aa3b
	v_rndne_f32_e32 v16, v12
	v_sub_f32_e32 v17, v12, v16
	v_fma_f32 v12, v10, s3, -v12
	v_fmamk_f32 v12, v10, 0x32a5705f, v12
	v_add_f32_e32 v12, v17, v12
	v_exp_f32_e32 v12, v12
	v_cvt_i32_f32_e32 v16, v16
	s_mov_b32 s3, 0xc2ce8ed0
	v_cmp_ngt_f32_e32 vcc, s3, v10
	s_mov_b32 s3, 0x42b17218
	v_ldexp_f32 v12, v12, v16
	v_cndmask_b32_e32 v12, 0, v12, vcc
	v_mov_b32_e32 v16, 0x7f800000
	v_cmp_nlt_f32_e32 vcc, s3, v10
	s_nop 1
	v_cndmask_b32_e32 v10, v16, v12, vcc
	v_add_f32_e32 v10, 1.0, v10
	v_rcp_f32_e32 v10, v10
	s_nop 0
	v_fma_f32 v10, v10, -2.0, 1.0
.LBB30_737:
	s_andn2_saveexec_b64 s[10:11], s[10:11]
; %bb.738:
	v_mul_f32_e32 v10, v2, v2
	v_mov_b32_e32 v12, 0x3ca908c9
	v_fmac_f32_e32 v12, 0xbbbac73d, v10
	v_fmaak_f32 v12, v10, v12, 0xbd5c1c4e
	v_fmaak_f32 v12, v10, v12, 0x3e088382
	;; [unrolled: 1-line block ×3, first 2 shown]
	v_mul_f32_e64 v12, |v2|, v12
	v_fma_f32 v10, v10, v12, |v2|
; %bb.739:
	s_or_b64 exec, exec, s[10:11]
	s_mov_b32 s3, 0x3f200000
	v_cmp_nlt_f32_e64 s[10:11], |v3|, s3
                                        ; implicit-def: $vgpr16
	s_and_saveexec_b64 s[12:13], s[10:11]
	s_xor_b64 s[10:11], exec, s[12:13]
	s_cbranch_execz .LBB30_741
; %bb.740:
	v_add_f32_e64 v12, |v3|, |v3|
	v_mul_f32_e32 v16, 0x3fb8aa3b, v12
	s_mov_b32 s3, 0x3fb8aa3b
	v_rndne_f32_e32 v17, v16
	v_sub_f32_e32 v18, v16, v17
	v_fma_f32 v16, v12, s3, -v16
	v_fmamk_f32 v16, v12, 0x32a5705f, v16
	v_add_f32_e32 v16, v18, v16
	v_exp_f32_e32 v16, v16
	v_cvt_i32_f32_e32 v17, v17
	s_mov_b32 s3, 0xc2ce8ed0
	v_cmp_ngt_f32_e32 vcc, s3, v12
	s_mov_b32 s3, 0x42b17218
	v_ldexp_f32 v16, v16, v17
	v_cndmask_b32_e32 v16, 0, v16, vcc
	v_mov_b32_e32 v17, 0x7f800000
	v_cmp_nlt_f32_e32 vcc, s3, v12
	s_nop 1
	v_cndmask_b32_e32 v12, v17, v16, vcc
	v_add_f32_e32 v12, 1.0, v12
	v_rcp_f32_e32 v12, v12
	s_nop 0
	v_fma_f32 v16, v12, -2.0, 1.0
.LBB30_741:
	s_andn2_saveexec_b64 s[10:11], s[10:11]
; %bb.742:
	v_mul_f32_e32 v12, v3, v3
	v_mov_b32_e32 v16, 0x3ca908c9
	v_fmac_f32_e32 v16, 0xbbbac73d, v12
	v_fmaak_f32 v16, v12, v16, 0xbd5c1c4e
	v_fmaak_f32 v16, v12, v16, 0x3e088382
	v_fmaak_f32 v16, v12, v16, 0xbeaaaa99
	v_mul_f32_e64 v16, |v3|, v16
	v_fma_f32 v16, v12, v16, |v3|
; %bb.743:
	s_or_b64 exec, exec, s[10:11]
	s_brev_b32 s3, -2
	v_bfi_b32 v0, s3, v8, v0
	v_mul_f32_e32 v8, s93, v0
	v_bfi_b32 v0, s3, v9, v1
	v_mul_f32_e32 v9, s93, v0
	v_bfi_b32 v0, s3, v10, v2
	v_mul_f32_e32 v10, s93, v0
	v_bfi_b32 v0, s3, v11, v4
	v_mul_f32_e32 v12, s93, v0
	v_bfi_b32 v0, s3, v13, v5
	v_mul_f32_e32 v13, s93, v0
	v_bfi_b32 v0, s3, v14, v6
	v_mul_f32_e32 v14, s93, v0
	v_bfi_b32 v0, s3, v15, v7
	v_mul_f32_e32 v15, s93, v0
	v_bfi_b32 v0, s3, v16, v3
	v_mul_f32_e32 v11, s93, v0
	s_and_b64 vcc, exec, s[8:9]
	s_cbranch_vccz .LBB30_745
; %bb.744:
	v_lshrrev_b32_e32 v21, 2, v70
	v_and_b32_e32 v20, 0xfc, v21
	v_add_u16_e32 v0, v20, v33
	s_movk_i32 s3, 0x90
	v_lshrrev_b16_e32 v0, 1, v0
	v_mad_u32_u24 v2, v139, s3, 0
	v_lshlrev_b32_e32 v0, 2, v0
	s_mov_b32 s3, 0x8400
	v_add_u32_e32 v18, v20, v33
	v_add3_u32 v0, v2, v0, s3
	v_lshl_add_u32 v2, v18, 1, v2
	v_add_u32_e32 v2, 0x8400, v2
	ds_read2_b32 v[0:1], v0 offset1:1
	ds_read2_b32 v[2:3], v2 offset0:16 offset1:17
	s_mov_b64 s[8:9], 0
	s_waitcnt lgkmcnt(1)
	v_cvt_f32_f16_e32 v4, v0
	v_cvt_f32_f16_sdwa v5, v0 dst_sel:DWORD dst_unused:UNUSED_PAD src0_sel:WORD_1
	v_cvt_f32_f16_e32 v0, v1
	v_cvt_f32_f16_sdwa v1, v1 dst_sel:DWORD dst_unused:UNUSED_PAD src0_sel:WORD_1
	s_waitcnt lgkmcnt(0)
	v_cvt_f32_f16_e32 v16, v2
	v_cvt_f32_f16_e32 v6, v3
	v_cvt_f32_f16_sdwa v7, v3 dst_sel:DWORD dst_unused:UNUSED_PAD src0_sel:WORD_1
	v_cvt_f32_f16_sdwa v17, v2 dst_sel:DWORD dst_unused:UNUSED_PAD src0_sel:WORD_1
	v_pk_fma_f32 v[2:3], v[72:73], v[0:1], v[14:15] op_sel_hi:[0,1,1]
	v_pk_fma_f32 v[0:1], v[72:73], v[4:5], v[12:13] op_sel_hi:[0,1,1]
	;; [unrolled: 1-line block ×4, first 2 shown]
	s_branch .LBB30_746
.LBB30_745:
	s_mov_b64 s[8:9], -1
                                        ; implicit-def: $vgpr0_vgpr1_vgpr2_vgpr3
                                        ; implicit-def: $vgpr4_vgpr5_vgpr6_vgpr7
                                        ; implicit-def: $vgpr21
                                        ; implicit-def: $vgpr20
                                        ; implicit-def: $vgpr18
.LBB30_746:
	v_add_u32_e32 v19, 0x2100, v36
	v_add_u32_e32 v17, 0x4200, v36
	s_andn2_b64 vcc, exec, s[8:9]
	v_add_u32_e32 v16, 0x6300, v36
	s_cbranch_vccnz .LBB30_748
; %bb.747:
	v_and_b32_e32 v20, 0xfc, v138
	v_mov_b64_e32 v[4:5], v[8:9]
	v_mov_b64_e32 v[0:1], v[12:13]
	v_add_u32_e32 v18, v20, v33
	v_mov_b32_e32 v21, v138
	v_mov_b64_e32 v[6:7], v[10:11]
	v_mov_b64_e32 v[2:3], v[14:15]
.LBB30_748:
	s_mul_hi_i32 s3, s2, s82
	s_mul_i32 s2, s2, s82
	s_lshl_b64 s[2:3], s[2:3], 2
	s_add_u32 s2, s33, s2
	v_mul_lo_u32 v8, s82, v34
	s_addc_u32 s3, s38, s3
	v_ashrrev_i32_e32 v9, 31, v8
	s_mov_b64 s[8:9], src_private_base
	v_lshl_add_u64 v[10:11], v[8:9], 2, s[2:3]
	v_mov_b32_e32 v33, 0
	v_lshl_add_u64 v[10:11], v[10:11], 0, v[32:33]
	v_mov_b32_e32 v22, s9
	v_mov_b32_e32 v30, 0
	v_cndmask_b32_e64 v11, v22, v11, s[4:5]
	v_cndmask_b32_e64 v10, v30, v10, s[4:5]
	s_lshl_b32 s4, s82, 4
	v_add_u32_e32 v8, s4, v8
	v_ashrrev_i32_e32 v9, 31, v8
	v_lshl_add_u64 v[12:13], v[8:9], 2, s[2:3]
	v_add_u32_e32 v8, s4, v8
	v_ashrrev_i32_e32 v9, 31, v8
	v_lshl_add_u64 v[14:15], v[8:9], 2, s[2:3]
	;; [unrolled: 3-line block ×3, first 2 shown]
	v_lshl_add_u64 v[12:13], v[12:13], 0, v[32:33]
	v_lshl_add_u64 v[24:25], v[14:15], 0, v[32:33]
	;; [unrolled: 1-line block ×3, first 2 shown]
	v_mov_b32_e32 v32, v33
	v_mov_b32_e32 v34, v33
	;; [unrolled: 1-line block ×3, first 2 shown]
	scratch_store_dwordx4 off, v[32:35], off
	flat_load_dwordx4 v[8:11], v[10:11]
	v_cndmask_b32_e64 v13, v22, v13, s[6:7]
	v_cndmask_b32_e64 v12, v30, v12, s[6:7]
	v_mbcnt_hi_u32_b32 v43, -1, v137
	v_cmp_gt_u32_e64 s[14:15], s18, v18
	v_add_u32_e32 v26, 1, v18
	v_add_u32_e32 v31, 2, v18
	;; [unrolled: 1-line block ×7, first 2 shown]
	v_and_b32_e32 v64, 64, v43
	v_add_f32_e32 v27, 0x40051340, v1
	v_cmp_gt_u32_e64 s[12:13], s18, v26
	v_add_f32_e32 v32, 0x40051340, v2
	v_cmp_gt_u32_e64 s[10:11], s18, v31
	;; [unrolled: 2-line block ×3, first 2 shown]
	v_cmp_gt_u32_e64 s[6:7], s18, v35
	v_add_f32_e32 v38, 0x40051340, v5
	s_mov_b32 s4, 0
	s_movk_i32 s5, 0x420
	v_mul_u32_u24_e32 v45, 0x210, v20
	v_or_b32_e32 v46, 3, v21
	v_mov_b32_e32 v15, s4
	v_mov_b32_e32 v14, s4
	;; [unrolled: 1-line block ×5, first 2 shown]
	v_mad_u32_u24 v74, v136, s5, 0
	v_add_f32_e32 v40, 0x40051340, v6
	v_xor_b32_e32 v65, 32, v43
	v_cndmask_b32_e64 v25, v22, v25, s[0:1]
	v_cndmask_b32_e64 v24, v30, v24, s[0:1]
	v_cmp_gt_u32_e64 s[0:1], s18, v39
	v_xor_b32_e32 v69, 16, v43
	v_add_f32_e32 v42, 0x40051340, v7
	v_mul_i32_i24_e32 v46, 0x210, v46
	s_mov_b32 s21, 0x3fb8aa3b
	s_mov_b32 s20, 0xc2ce8ed0
	;; [unrolled: 1-line block ×3, first 2 shown]
	v_mov_b32_e32 v44, 0x7f800000
	s_mov_b32 s3, 0xc1a00000
	s_mov_b32 s2, 0x5040100
	s_waitcnt vmcnt(0) lgkmcnt(0)
	ds_write_b128 v36, v[8:11]
	flat_load_dwordx4 v[8:11], v[12:13]
	v_add_f32_e32 v12, 0x40051340, v0
	v_max_f32_e32 v13, v73, v73
	v_max_f32_e32 v47, v13, v12
	v_cndmask_b32_e64 v18, v73, v47, s[14:15]
	v_add_u32_e32 v47, 64, v64
	v_max_f32_e32 v64, v18, v18
	v_max_f32_e32 v27, v64, v27
	v_cndmask_b32_e64 v18, v18, v27, s[12:13]
	v_max_f32_e32 v26, v18, v18
	v_max_f32_e32 v26, v26, v32
	v_cndmask_b32_e64 v18, v18, v26, s[10:11]
	;; [unrolled: 3-line block ×3, first 2 shown]
	v_add_f32_e32 v36, 0x40051340, v4
	v_max_f32_e32 v26, v18, v18
	v_max_f32_e32 v26, v26, v36
	v_cndmask_b32_e64 v18, v18, v26, s[6:7]
	v_max_f32_e32 v26, v18, v18
	v_mov_b32_e32 v13, s4
	v_mov_b32_e32 v12, s4
	v_max_f32_e32 v26, v26, v38
	v_cmp_gt_u32_e64 s[4:5], s18, v37
	v_cmp_lt_i32_e32 vcc, v65, v47
	s_waitcnt vmcnt(0) lgkmcnt(0)
	ds_write_b128 v19, v[8:11]
	v_cndmask_b32_e64 v18, v18, v26, s[4:5]
	v_max_f32_e32 v26, v18, v18
	v_max_f32_e32 v26, v26, v40
	v_cndmask_b32_e64 v18, v18, v26, s[0:1]
	v_cndmask_b32_e32 v65, v43, v65, vcc
	v_cmp_lt_i32_e32 vcc, v69, v47
	v_max_f32_e32 v26, v18, v18
	v_max_f32_e32 v26, v26, v42
	v_cndmask_b32_e32 v43, v43, v69, vcc
	v_cmp_gt_u32_e32 vcc, s18, v41
	v_lshlrev_b32_e32 v72, 2, v65
	v_lshlrev_b32_e32 v69, 2, v43
	v_cndmask_b32_e32 v18, v18, v26, vcc
	flat_load_dwordx4 v[24:27], v[24:25]
	ds_bpermute_b32 v31, v72, v18
	v_max_f32_e32 v8, v18, v18
	v_add3_u32 v10, v74, v45, v135
	v_add3_u32 v11, v74, v46, v135
	s_waitcnt lgkmcnt(0)
	v_max_f32_e32 v9, v31, v31
	v_max_f32_e32 v18, v8, v9
	ds_bpermute_b32 v19, v69, v18
	v_cndmask_b32_e64 v9, v22, v29, s[16:17]
	v_cndmask_b32_e64 v8, v30, v28, s[16:17]
	s_waitcnt lgkmcnt(0)
	v_max_f32_e32 v19, v19, v19
	v_max_f32_e32 v74, v18, v19
	v_sub_f32_e32 v0, v0, v74
	v_sub_f32_e32 v1, v1, v74
	;; [unrolled: 1-line block ×6, first 2 shown]
	v_mul_f32_e32 v18, 0x3fb8aa3b, v0
	v_mul_f32_e32 v19, 0x3fb8aa3b, v1
	;; [unrolled: 1-line block ×6, first 2 shown]
	v_fma_f32 v35, v0, s21, -v18
	v_rndne_f32_e32 v36, v18
	v_fma_f32 v37, v1, s21, -v19
	v_rndne_f32_e32 v38, v19
	;; [unrolled: 2-line block ×5, first 2 shown]
	v_rndne_f32_e32 v47, v31
	v_fmac_f32_e32 v35, 0x32a5705f, v0
	v_sub_f32_e32 v18, v18, v36
	v_fmac_f32_e32 v37, 0x32a5705f, v1
	v_sub_f32_e32 v19, v19, v38
	;; [unrolled: 2-line block ×5, first 2 shown]
	v_fma_f32 v46, v5, s21, -v31
	v_sub_f32_e32 v78, v31, v47
	v_add_f32_e32 v18, v18, v35
	v_add_f32_e32 v19, v19, v37
	;; [unrolled: 1-line block ×5, first 2 shown]
	v_cvt_i32_f32_e32 v36, v36
	v_exp_f32_e32 v18, v18
	v_sub_f32_e32 v6, v6, v74
	v_cvt_i32_f32_e32 v38, v38
	v_exp_f32_e32 v19, v19
	v_sub_f32_e32 v7, v7, v74
	v_mul_f32_e32 v32, 0x3fb8aa3b, v6
	v_cvt_i32_f32_e32 v40, v40
	v_sub_f32_e32 v22, v73, v74
	v_mul_f32_e32 v33, 0x3fb8aa3b, v7
	v_fma_f32 v64, v6, s21, -v32
	v_rndne_f32_e32 v65, v32
	v_cvt_i32_f32_e32 v42, v42
	v_fmac_f32_e32 v46, 0x32a5705f, v5
	v_mul_f32_e32 v34, 0x3fb8aa3b, v22
	v_fma_f32 v73, v7, s21, -v33
	v_rndne_f32_e32 v75, v33
	v_cvt_i32_f32_e32 v45, v45
	v_fmac_f32_e32 v64, 0x32a5705f, v6
	v_sub_f32_e32 v32, v32, v65
	v_ldexp_f32 v18, v18, v36
	v_cmp_ngt_f32_e64 s[16:17], s20, v0
	v_fma_f32 v76, v22, s21, -v34
	v_rndne_f32_e32 v77, v34
	v_cvt_i32_f32_e32 v47, v47
	s_waitcnt vmcnt(0)
	ds_write_b128 v17, v[24:27]
	flat_load_dwordx4 v[28:31], v[8:9]
	v_exp_f32_e32 v25, v35
	v_exp_f32_e32 v26, v37
	v_add_f32_e32 v8, v78, v46
	v_exp_f32_e32 v27, v39
	v_fmac_f32_e32 v73, 0x32a5705f, v7
	v_sub_f32_e32 v33, v33, v75
	v_add_f32_e32 v9, v32, v64
	v_exp_f32_e32 v8, v8
	v_ldexp_f32 v19, v19, v38
	v_cndmask_b32_e64 v18, 0, v18, s[16:17]
	v_cmp_ngt_f32_e64 s[16:17], s20, v1
	v_cvt_i32_f32_e32 v65, v65
	v_fmac_f32_e32 v76, 0x32a5705f, v22
	v_sub_f32_e32 v34, v34, v77
	v_add_f32_e32 v17, v33, v73
	v_exp_f32_e32 v9, v9
	v_ldexp_f32 v25, v25, v40
	v_cndmask_b32_e64 v19, 0, v19, s[16:17]
	v_cmp_ngt_f32_e64 s[16:17], s20, v2
	v_cvt_i32_f32_e32 v75, v75
	v_add_f32_e32 v24, v34, v76
	v_exp_f32_e32 v17, v17
	v_ldexp_f32 v26, v26, v42
	v_cndmask_b32_e64 v25, 0, v25, s[16:17]
	v_cmp_ngt_f32_e64 s[16:17], s20, v3
	v_cvt_i32_f32_e32 v77, v77
	v_exp_f32_e32 v24, v24
	v_ldexp_f32 v27, v27, v45
	v_cndmask_b32_e64 v26, 0, v26, s[16:17]
	v_cmp_ngt_f32_e64 s[16:17], s20, v4
	v_ldexp_f32 v8, v8, v47
	v_ldexp_f32 v9, v9, v65
	v_cndmask_b32_e64 v27, 0, v27, s[16:17]
	v_cmp_ngt_f32_e64 s[16:17], s20, v5
	v_ldexp_f32 v17, v17, v75
	v_ldexp_f32 v24, v24, v77
	v_cndmask_b32_e64 v8, 0, v8, s[16:17]
	v_cmp_ngt_f32_e64 s[16:17], s20, v6
	s_waitcnt vmcnt(0) lgkmcnt(0)
	ds_write_b128 v16, v[28:31]
	v_cndmask_b32_e64 v9, 0, v9, s[16:17]
	v_cmp_ngt_f32_e64 s[16:17], s20, v7
	s_waitcnt lgkmcnt(0)
	s_barrier
	v_cndmask_b32_e64 v17, 0, v17, s[16:17]
	v_cmp_ngt_f32_e64 s[16:17], s20, v22
	s_nop 1
	v_cndmask_b32_e64 v24, 0, v24, s[16:17]
	v_cmp_nlt_f32_e64 s[16:17], s19, v0
	s_nop 1
	v_cndmask_b32_e64 v0, v44, v18, s[16:17]
	v_cmp_nlt_f32_e64 s[16:17], s19, v1
	v_cndmask_b32_e64 v0, 0, v0, s[14:15]
	v_cmp_le_f32_e64 s[14:15], s3, v22
	v_cndmask_b32_e64 v18, v44, v19, s[16:17]
	v_cmp_nlt_f32_e64 s[16:17], s19, v2
	s_nop 1
	v_cndmask_b32_e64 v19, v44, v25, s[16:17]
	v_cmp_nlt_f32_e64 s[16:17], s19, v3
	v_cndmask_b32_e64 v3, v13, v18, s[12:13]
	v_cvt_pk_f16_f32 v46, v0, v3
	v_cndmask_b32_e64 v26, v44, v26, s[16:17]
	v_cmp_nlt_f32_e64 s[16:17], s19, v4
	s_nop 1
	v_cndmask_b32_e64 v27, v44, v27, s[16:17]
	v_cmp_nlt_f32_e64 s[16:17], s19, v5
	v_cndmask_b32_e64 v2, v14, v27, s[6:7]
	s_nop 0
	v_cndmask_b32_e64 v34, v44, v8, s[16:17]
	v_cmp_nlt_f32_e64 s[16:17], s19, v6
	v_cndmask_b32_e64 v6, v12, v19, s[10:11]
	v_cndmask_b32_e64 v1, v21, v34, s[4:5]
	;; [unrolled: 1-line block ×3, first 2 shown]
	v_cmp_nlt_f32_e64 s[16:17], s19, v7
	v_cndmask_b32_e64 v7, v15, v26, s[8:9]
	v_cvt_pk_f16_f32 v47, v6, v7
	v_cndmask_b32_e64 v73, v44, v17, s[16:17]
	v_cmp_nlt_f32_e64 s[16:17], s19, v22
	v_cndmask_b32_e64 v4, v20, v35, s[0:1]
	v_cndmask_b32_e32 v17, v23, v73, vcc
	v_cndmask_b32_e64 v5, v44, v24, s[16:17]
	v_cndmask_b32_e64 v75, 0, v5, s[14:15]
	v_cvt_f16_f32_e32 v5, v75
	v_mul_u32_u24_e32 v36, 0x10001, v5
	v_pk_mul_f16 v3, v61, v36
	v_pk_mul_f16 v5, v60, v36
	v_cvt_f32_f16_e32 v6, v3
	v_cvt_f32_f16_sdwa v7, v3 dst_sel:DWORD dst_unused:UNUSED_PAD src0_sel:WORD_1
	v_cvt_f32_f16_e32 v8, v5
	v_cvt_f32_f16_sdwa v9, v5 dst_sel:DWORD dst_unused:UNUSED_PAD src0_sel:WORD_1
	ds_read_u16 v3, v10
	ds_read_u16 v5, v10 offset:32
	ds_read_u16 v16, v10 offset:64
	;; [unrolled: 1-line block ×23, first 2 shown]
	ds_read_u16 v14, v11
	ds_read_u16 v32, v11 offset:32
	ds_read_u16 v40, v11 offset:64
	;; [unrolled: 1-line block ×23, first 2 shown]
	s_waitcnt lgkmcnt(14)
	v_perm_b32 v13, v14, v13, s2
	v_perm_b32 v12, v12, v3, s2
	ds_read_u16 v3, v11 offset:16896
	ds_read_u16 v96, v11 offset:16928
	;; [unrolled: 1-line block ×8, first 2 shown]
	v_mfma_f32_16x16x16_f16 v[6:9], v[12:13], v[46:47], v[6:9]
	s_waitcnt lgkmcnt(7)
	v_perm_b32 v15, v3, v15, s2
	v_pk_mul_f16 v20, v49, v36
	v_pk_mul_f16 v108, v48, v36
	s_nop 3
	v_cvt_f16_f32_e32 v3, v6
	v_cvt_f16_f32_e32 v7, v7
	;; [unrolled: 1-line block ×4, first 2 shown]
	v_cvt_f32_f16_e32 v6, v3
	ds_read_u16 v3, v10 offset:17424
	ds_read_u16 v12, v10 offset:17456
	;; [unrolled: 1-line block ×8, first 2 shown]
	s_waitcnt lgkmcnt(7)
	v_perm_b32 v14, v3, v22, s2
	v_cvt_f32_f16_e32 v7, v7
	v_cvt_f32_f16_e32 v8, v8
	v_cvt_f32_f16_e32 v9, v9
	v_cvt_pk_f16_f32 v49, v4, v17
	v_cvt_pk_f16_f32 v48, v2, v1
	v_cvt_f32_f16_e32 v2, v20
	v_cvt_f32_f16_sdwa v3, v20 dst_sel:DWORD dst_unused:UNUSED_PAD src0_sel:WORD_1
	v_mfma_f32_16x16x16_f16 v[22:25], v[14:15], v[48:49], v[6:9]
	v_cvt_f32_f16_e32 v4, v108
	v_pk_mul_f16 v133, v133, v36
	s_nop 0
	v_perm_b32 v7, v32, v31, s2
	v_perm_b32 v6, v30, v5, s2
	v_cvt_f32_f16_sdwa v5, v108 dst_sel:DWORD dst_unused:UNUSED_PAD src0_sel:WORD_1
	v_pk_mul_f16 v8, v56, v36
	s_nop 0
	v_mfma_f32_16x16x16_f16 v[2:5], v[6:7], v[46:47], v[2:5]
	v_perm_b32 v7, v96, v89, s2
	s_waitcnt lgkmcnt(6)
	v_perm_b32 v6, v12, v33, s2
	s_nop 4
	v_cvt_f16_f32_e32 v1, v2
	v_cvt_f16_f32_e32 v3, v3
	v_cvt_f16_f32_e32 v4, v4
	v_cvt_f16_f32_e32 v5, v5
	v_cvt_f32_f16_e32 v2, v1
	v_cvt_f32_f16_e32 v3, v3
	v_cvt_f32_f16_e32 v4, v4
	v_cvt_f32_f16_e32 v5, v5
	v_pk_mul_f16 v1, v57, v36
	s_nop 0
	v_mfma_f32_16x16x16_f16 v[30:33], v[6:7], v[48:49], v[2:5]
	v_perm_b32 v7, v40, v39, s2
	v_perm_b32 v6, v38, v16, s2
	s_nop 0
	v_cvt_f32_f16_e32 v2, v1
	v_cvt_f32_f16_sdwa v3, v1 dst_sel:DWORD dst_unused:UNUSED_PAD src0_sel:WORD_1
	v_cvt_f32_f16_e32 v4, v8
	v_cvt_f32_f16_sdwa v5, v8 dst_sel:DWORD dst_unused:UNUSED_PAD src0_sel:WORD_1
	v_pk_mul_f16 v8, v52, v36
	s_nop 0
	v_mfma_f32_16x16x16_f16 v[2:5], v[6:7], v[46:47], v[2:5]
	v_perm_b32 v7, v97, v90, s2
	s_waitcnt lgkmcnt(5)
	v_perm_b32 v6, v13, v41, s2
	s_nop 4
	v_cvt_f16_f32_e32 v1, v2
	v_cvt_f16_f32_e32 v3, v3
	v_cvt_f16_f32_e32 v4, v4
	v_cvt_f16_f32_e32 v5, v5
	v_cvt_f32_f16_e32 v2, v1
	v_cvt_f32_f16_e32 v3, v3
	v_cvt_f32_f16_e32 v4, v4
	v_cvt_f32_f16_e32 v5, v5
	v_pk_mul_f16 v1, v53, v36
	s_nop 0
	v_mfma_f32_16x16x16_f16 v[38:41], v[6:7], v[48:49], v[2:5]
	v_perm_b32 v7, v44, v43, s2
	v_perm_b32 v6, v42, v21, s2
	s_nop 0
	v_cvt_f32_f16_e32 v2, v1
	v_cvt_f32_f16_sdwa v3, v1 dst_sel:DWORD dst_unused:UNUSED_PAD src0_sel:WORD_1
	v_cvt_f32_f16_e32 v4, v8
	v_cvt_f32_f16_sdwa v5, v8 dst_sel:DWORD dst_unused:UNUSED_PAD src0_sel:WORD_1
	v_pk_mul_f16 v8, v50, v36
	s_nop 0
	v_mfma_f32_16x16x16_f16 v[2:5], v[6:7], v[46:47], v[2:5]
	v_perm_b32 v7, v98, v91, s2
	s_waitcnt lgkmcnt(4)
	v_perm_b32 v6, v103, v45, s2
	s_nop 4
	v_cvt_f16_f32_e32 v1, v2
	v_cvt_f16_f32_e32 v3, v3
	v_cvt_f16_f32_e32 v4, v4
	v_cvt_f16_f32_e32 v5, v5
	v_cvt_f32_f16_e32 v2, v1
	v_cvt_f32_f16_e32 v3, v3
	v_cvt_f32_f16_e32 v4, v4
	v_cvt_f32_f16_e32 v5, v5
	v_pk_mul_f16 v1, v51, v36
	s_nop 0
	v_mfma_f32_16x16x16_f16 v[42:45], v[6:7], v[48:49], v[2:5]
	v_perm_b32 v7, v81, v77, s2
	v_perm_b32 v6, v60, v28, s2
	s_nop 0
	v_cvt_f32_f16_e32 v2, v1
	v_cvt_f32_f16_sdwa v3, v1 dst_sel:DWORD dst_unused:UNUSED_PAD src0_sel:WORD_1
	v_cvt_f32_f16_e32 v4, v8
	v_cvt_f32_f16_sdwa v5, v8 dst_sel:DWORD dst_unused:UNUSED_PAD src0_sel:WORD_1
	v_pk_mul_f16 v8, v54, v36
	s_nop 0
	v_mfma_f32_16x16x16_f16 v[2:5], v[6:7], v[46:47], v[2:5]
	v_perm_b32 v7, v99, v92, s2
	s_waitcnt lgkmcnt(3)
	v_perm_b32 v6, v104, v85, s2
	s_nop 4
	v_cvt_f16_f32_e32 v1, v2
	v_cvt_f16_f32_e32 v3, v3
	v_cvt_f16_f32_e32 v4, v4
	v_cvt_f16_f32_e32 v5, v5
	v_cvt_f32_f16_e32 v2, v1
	v_cvt_f32_f16_e32 v3, v3
	v_cvt_f32_f16_e32 v4, v4
	v_cvt_f32_f16_e32 v5, v5
	v_pk_mul_f16 v1, v55, v36
	s_nop 0
	v_mfma_f32_16x16x16_f16 v[50:53], v[6:7], v[48:49], v[2:5]
	v_perm_b32 v7, v82, v78, s2
	v_perm_b32 v6, v61, v29, s2
	s_nop 0
	v_cvt_f32_f16_e32 v2, v1
	v_cvt_f32_f16_sdwa v3, v1 dst_sel:DWORD dst_unused:UNUSED_PAD src0_sel:WORD_1
	v_cvt_f32_f16_e32 v4, v8
	v_cvt_f32_f16_sdwa v5, v8 dst_sel:DWORD dst_unused:UNUSED_PAD src0_sel:WORD_1
	v_pk_mul_f16 v8, v58, v36
	s_nop 0
	v_mfma_f32_16x16x16_f16 v[2:5], v[6:7], v[46:47], v[2:5]
	v_perm_b32 v7, v100, v93, s2
	s_waitcnt lgkmcnt(2)
	v_perm_b32 v6, v105, v86, s2
	s_nop 4
	v_cvt_f16_f32_e32 v1, v2
	v_cvt_f16_f32_e32 v3, v3
	v_cvt_f16_f32_e32 v4, v4
	v_cvt_f16_f32_e32 v5, v5
	v_cvt_f32_f16_e32 v2, v1
	v_cvt_f32_f16_e32 v3, v3
	v_cvt_f32_f16_e32 v4, v4
	v_cvt_f32_f16_e32 v5, v5
	v_pk_mul_f16 v1, v59, v36
	s_nop 0
	v_mfma_f32_16x16x16_f16 v[54:57], v[6:7], v[48:49], v[2:5]
	v_perm_b32 v7, v83, v79, s2
	v_perm_b32 v6, v65, v37, s2
	s_nop 0
	v_cvt_f32_f16_e32 v2, v1
	v_cvt_f32_f16_sdwa v3, v1 dst_sel:DWORD dst_unused:UNUSED_PAD src0_sel:WORD_1
	v_cvt_f32_f16_e32 v4, v8
	v_cvt_f32_f16_sdwa v5, v8 dst_sel:DWORD dst_unused:UNUSED_PAD src0_sel:WORD_1
	v_pk_mul_f16 v8, v62, v36
	s_nop 0
	v_mfma_f32_16x16x16_f16 v[2:5], v[6:7], v[46:47], v[2:5]
	v_perm_b32 v7, v101, v94, s2
	s_waitcnt lgkmcnt(1)
	v_perm_b32 v6, v106, v87, s2
	s_nop 4
	v_cvt_f16_f32_e32 v1, v2
	v_cvt_f16_f32_e32 v3, v3
	v_cvt_f16_f32_e32 v4, v4
	v_cvt_f16_f32_e32 v5, v5
	v_cvt_f32_f16_e32 v2, v1
	v_cvt_f32_f16_e32 v3, v3
	v_cvt_f32_f16_e32 v4, v4
	v_cvt_f32_f16_e32 v5, v5
	v_pk_mul_f16 v1, v63, v36
	s_nop 0
	v_mfma_f32_16x16x16_f16 v[58:61], v[6:7], v[48:49], v[2:5]
	v_perm_b32 v7, v84, v80, s2
	v_perm_b32 v6, v76, v64, s2
	s_nop 0
	v_cvt_f32_f16_e32 v2, v1
	v_cvt_f32_f16_sdwa v3, v1 dst_sel:DWORD dst_unused:UNUSED_PAD src0_sel:WORD_1
	v_cvt_f32_f16_e32 v4, v8
	v_cvt_f32_f16_sdwa v5, v8 dst_sel:DWORD dst_unused:UNUSED_PAD src0_sel:WORD_1
	v_pk_mul_f16 v8, v66, v36
	s_nop 0
	v_mfma_f32_16x16x16_f16 v[2:5], v[6:7], v[46:47], v[2:5]
	v_perm_b32 v7, v102, v95, s2
	s_waitcnt lgkmcnt(0)
	v_perm_b32 v6, v107, v88, s2
	s_nop 4
	v_cvt_f16_f32_e32 v1, v2
	v_cvt_f16_f32_e32 v3, v3
	;; [unrolled: 1-line block ×4, first 2 shown]
	v_cvt_f32_f16_e32 v2, v1
	v_cvt_f32_f16_e32 v3, v3
	;; [unrolled: 1-line block ×4, first 2 shown]
	v_pk_mul_f16 v1, v67, v36
	s_nop 0
	v_mfma_f32_16x16x16_f16 v[62:65], v[6:7], v[48:49], v[2:5]
	s_nop 2
	v_cvt_f32_f16_e32 v2, v1
	v_cvt_f32_f16_sdwa v3, v1 dst_sel:DWORD dst_unused:UNUSED_PAD src0_sel:WORD_1
	ds_read_u16 v1, v10 offset:1312
	ds_read_u16 v9, v10 offset:1344
	;; [unrolled: 1-line block ×16, first 2 shown]
	s_waitcnt lgkmcnt(7)
	v_perm_b32 v7, v5, v1, s2
	ds_read_u16 v1, v10 offset:256
	ds_read_u16 v15, v10 offset:288
	;; [unrolled: 1-line block ×16, first 2 shown]
	s_waitcnt lgkmcnt(7)
	v_perm_b32 v6, v5, v1, s2
	v_cvt_f32_f16_e32 v4, v8
	v_cvt_f32_f16_sdwa v5, v8 dst_sel:DWORD dst_unused:UNUSED_PAD src0_sel:WORD_1
	v_cvt_f32_f16_e32 v8, v133
	s_nop 0
	v_mfma_f32_16x16x16_f16 v[2:5], v[6:7], v[46:47], v[2:5]
	s_nop 7
	v_cvt_f16_f32_e32 v1, v2
	v_cvt_f16_f32_e32 v3, v3
	;; [unrolled: 1-line block ×4, first 2 shown]
	v_cvt_f32_f16_e32 v2, v1
	ds_read_u16 v1, v10 offset:18208
	ds_read_u16 v90, v10 offset:18240
	;; [unrolled: 1-line block ×16, first 2 shown]
	s_waitcnt lgkmcnt(7)
	v_perm_b32 v7, v6, v1, s2
	ds_read_u16 v1, v10 offset:17152
	ds_read_u16 v104, v10 offset:17184
	;; [unrolled: 1-line block ×16, first 2 shown]
	s_waitcnt lgkmcnt(7)
	v_perm_b32 v6, v6, v1, s2
	v_cvt_f32_f16_e32 v3, v3
	v_cvt_f32_f16_e32 v4, v4
	;; [unrolled: 1-line block ×3, first 2 shown]
	v_pk_mul_f16 v1, v134, v36
	v_perm_b32 v11, v12, v9, s2
	v_perm_b32 v10, v21, v15, s2
	v_mfma_f32_16x16x16_f16 v[2:5], v[6:7], v[48:49], v[2:5]
	v_cvt_f32_f16_e32 v6, v1
	v_cvt_f32_f16_sdwa v7, v1 dst_sel:DWORD dst_unused:UNUSED_PAD src0_sel:WORD_1
	v_cvt_f32_f16_sdwa v9, v133 dst_sel:DWORD dst_unused:UNUSED_PAD src0_sel:WORD_1
	v_pk_mul_f16 v21, v131, v36
	v_perm_b32 v15, v14, v13, s2
	v_mfma_f32_16x16x16_f16 v[6:9], v[10:11], v[46:47], v[6:9]
	v_perm_b32 v11, v97, v90, s2
	s_waitcnt lgkmcnt(6)
	v_perm_b32 v10, v111, v104, s2
	v_perm_b32 v14, v77, v16, s2
	v_cvt_f32_f16_e32 v12, v21
	s_nop 2
	v_cvt_f16_f32_e32 v1, v6
	v_cvt_f16_f32_e32 v7, v7
	;; [unrolled: 1-line block ×4, first 2 shown]
	v_cvt_f32_f16_e32 v6, v1
	v_cvt_f32_f16_e32 v7, v7
	;; [unrolled: 1-line block ×4, first 2 shown]
	v_pk_mul_f16 v1, v132, v36
	v_cvt_f32_f16_sdwa v13, v21 dst_sel:DWORD dst_unused:UNUSED_PAD src0_sel:WORD_1
	v_mfma_f32_16x16x16_f16 v[6:9], v[10:11], v[48:49], v[6:9]
	v_cvt_f32_f16_e32 v10, v1
	v_cvt_f32_f16_sdwa v11, v1 dst_sel:DWORD dst_unused:UNUSED_PAD src0_sel:WORD_1
	v_pk_mul_f16 v77, v129, v36
	v_perm_b32 v21, v20, v17, s2
	v_mfma_f32_16x16x16_f16 v[10:13], v[14:15], v[46:47], v[10:13]
	v_perm_b32 v15, v98, v91, s2
	s_waitcnt lgkmcnt(5)
	v_perm_b32 v14, v112, v105, s2
	v_perm_b32 v20, v78, v76, s2
	v_cvt_f32_f16_e32 v16, v77
	s_nop 2
	v_cvt_f16_f32_e32 v1, v10
	v_cvt_f16_f32_e32 v11, v11
	;; [unrolled: 1-line block ×4, first 2 shown]
	v_cvt_f32_f16_e32 v10, v1
	v_cvt_f32_f16_e32 v11, v11
	;; [unrolled: 1-line block ×4, first 2 shown]
	v_pk_mul_f16 v1, v130, v36
	v_cvt_f32_f16_sdwa v17, v77 dst_sel:DWORD dst_unused:UNUSED_PAD src0_sel:WORD_1
	v_mfma_f32_16x16x16_f16 v[10:13], v[14:15], v[48:49], v[10:13]
	v_cvt_f32_f16_e32 v14, v1
	v_cvt_f32_f16_sdwa v15, v1 dst_sel:DWORD dst_unused:UNUSED_PAD src0_sel:WORD_1
	v_pk_mul_f16 v90, v127, v36
	s_waitcnt lgkmcnt(0)
	v_mfma_f32_16x16x16_f16 v[14:17], v[20:21], v[46:47], v[14:17]
	v_perm_b32 v21, v99, v92, s2
	v_perm_b32 v20, v113, v106, s2
	v_cvt_f32_f16_e32 v78, v90
	s_barrier
	s_nop 3
	v_cvt_f16_f32_e32 v1, v14
	v_cvt_f16_f32_e32 v15, v15
	;; [unrolled: 1-line block ×4, first 2 shown]
	v_cvt_f32_f16_e32 v14, v1
	v_cvt_f32_f16_e32 v15, v15
	v_cvt_f32_f16_e32 v16, v16
	v_cvt_f32_f16_e32 v17, v17
	v_pk_mul_f16 v1, v128, v36
	s_nop 0
	v_mfma_f32_16x16x16_f16 v[14:17], v[20:21], v[48:49], v[14:17]
	v_perm_b32 v21, v67, v28, s2
	v_perm_b32 v20, v86, v79, s2
	v_cvt_f32_f16_e32 v76, v1
	v_cvt_f32_f16_sdwa v77, v1 dst_sel:DWORD dst_unused:UNUSED_PAD src0_sel:WORD_1
	v_cvt_f32_f16_sdwa v79, v90 dst_sel:DWORD dst_unused:UNUSED_PAD src0_sel:WORD_1
	v_add_f32_e32 v1, v18, v0
	v_cndmask_b32_e64 v28, v0, v1, s[12:13]
	v_add_f32_e32 v67, v28, v19
	v_mfma_f32_16x16x16_f16 v[18:21], v[20:21], v[46:47], v[76:79]
	v_cndmask_b32_e64 v28, v28, v67, s[10:11]
	v_pk_mul_f16 v67, v126, v36
	v_add_f32_e32 v26, v28, v26
	v_pk_mul_f16 v79, v125, v36
	v_cvt_f32_f16_e32 v76, v67
	s_nop 2
	v_cvt_f16_f32_e32 v0, v18
	v_cvt_f16_f32_e32 v1, v19
	;; [unrolled: 1-line block ×4, first 2 shown]
	v_cvt_f32_f16_e32 v18, v0
	v_cvt_f32_f16_e32 v19, v1
	v_perm_b32 v1, v100, v93, s2
	v_perm_b32 v0, v114, v107, s2
	v_cvt_f32_f16_e32 v20, v20
	v_cvt_f32_f16_e32 v21, v21
	v_cvt_f32_f16_sdwa v77, v67 dst_sel:DWORD dst_unused:UNUSED_PAD src0_sel:WORD_1
	v_cvt_f32_f16_e32 v78, v79
	v_mfma_f32_16x16x16_f16 v[18:21], v[0:1], v[48:49], v[18:21]
	v_perm_b32 v1, v80, v29, s2
	v_perm_b32 v0, v87, v83, s2
	v_cvt_f32_f16_sdwa v79, v79 dst_sel:DWORD dst_unused:UNUSED_PAD src0_sel:WORD_1
	v_cndmask_b32_e64 v67, v28, v26, s[8:9]
	v_add_f32_e32 v80, v27, v67
	v_mfma_f32_16x16x16_f16 v[26:29], v[0:1], v[46:47], v[76:79]
	v_cndmask_b32_e64 v67, v67, v80, s[6:7]
	v_add_f32_e32 v34, v34, v67
	s_nop 0
	v_pk_mul_f16 v77, v124, v36
	v_pk_mul_f16 v79, v122, v36
	s_nop 2
	v_cvt_f16_f32_e32 v0, v26
	v_cvt_f16_f32_e32 v1, v27
	;; [unrolled: 1-line block ×4, first 2 shown]
	v_cvt_f32_f16_e32 v26, v0
	v_cvt_f32_f16_e32 v27, v1
	v_perm_b32 v1, v101, v94, s2
	v_perm_b32 v0, v115, v108, s2
	v_cvt_f32_f16_e32 v28, v28
	v_cvt_f32_f16_e32 v29, v29
	;; [unrolled: 1-line block ×3, first 2 shown]
	v_cvt_f32_f16_sdwa v77, v77 dst_sel:DWORD dst_unused:UNUSED_PAD src0_sel:WORD_1
	v_mfma_f32_16x16x16_f16 v[26:29], v[0:1], v[48:49], v[26:29]
	v_perm_b32 v1, v81, v37, s2
	v_perm_b32 v0, v88, v84, s2
	v_cvt_f32_f16_e32 v78, v79
	v_cvt_f32_f16_sdwa v79, v79 dst_sel:DWORD dst_unused:UNUSED_PAD src0_sel:WORD_1
	v_cndmask_b32_e64 v34, v67, v34, s[4:5]
	v_add_f32_e32 v35, v35, v34
	v_mfma_f32_16x16x16_f16 v[76:79], v[0:1], v[46:47], v[76:79]
	v_pk_mul_f16 v80, v121, v36
	v_pk_mul_f16 v81, v120, v36
	s_nop 5
	v_cvt_f16_f32_e32 v0, v76
	v_cvt_f16_f32_e32 v1, v77
	;; [unrolled: 1-line block ×4, first 2 shown]
	v_cvt_f32_f16_e32 v76, v0
	v_cvt_f32_f16_e32 v77, v1
	v_perm_b32 v1, v102, v95, s2
	v_perm_b32 v0, v116, v109, s2
	v_cvt_f32_f16_e32 v78, v37
	v_cvt_f32_f16_e32 v79, v67
	v_cndmask_b32_e64 v67, v34, v35, s[0:1]
	v_cmp_gt_u32_e64 s[0:1], 16, v70
	v_mfma_f32_16x16x16_f16 v[34:37], v[0:1], v[48:49], v[76:79]
	v_perm_b32 v1, v82, v66, s2
	v_perm_b32 v0, v89, v85, s2
	s_nop 0
	v_cvt_f32_f16_e32 v76, v80
	v_cvt_f32_f16_sdwa v77, v80 dst_sel:DWORD dst_unused:UNUSED_PAD src0_sel:WORD_1
	v_cvt_f32_f16_e32 v78, v81
	v_cvt_f32_f16_sdwa v79, v81 dst_sel:DWORD dst_unused:UNUSED_PAD src0_sel:WORD_1
	v_add_f32_e32 v66, v73, v67
	v_cndmask_b32_e32 v66, v67, v66, vcc
	v_mfma_f32_16x16x16_f16 v[76:79], v[0:1], v[46:47], v[76:79]
	v_fmac_f32_e32 v66, v68, v75
	ds_bpermute_b32 v67, v72, v66
	s_nop 5
	v_cvt_f16_f32_e32 v0, v76
	v_cvt_f16_f32_e32 v1, v77
	;; [unrolled: 1-line block ×4, first 2 shown]
	v_cvt_f32_f16_e32 v76, v0
	v_cvt_f32_f16_e32 v77, v1
	v_perm_b32 v1, v103, v96, s2
	v_perm_b32 v0, v117, v110, s2
	v_cvt_f32_f16_e32 v78, v46
	v_cvt_f32_f16_e32 v79, v47
	s_nop 1
	v_mfma_f32_16x16x16_f16 v[46:49], v[0:1], v[48:49], v[76:79]
	s_waitcnt lgkmcnt(0)
	v_add_f32_e32 v0, v66, v67
	ds_bpermute_b32 v1, v69, v0
	s_and_saveexec_b64 s[2:3], s[0:1]
	s_cbranch_execz .LBB30_750
; %bb.749:
	s_waitcnt lgkmcnt(0)
	v_add_f32_e32 v0, v0, v1
	v_or_b32_e32 v1, v240, v70
	s_movk_i32 s4, 0x110
	v_mad_u32_u24 v1, v1, s4, 0
	ds_write2_b32 v1, v74, v0 offset0:64 offset1:65
.LBB30_750:
	s_or_b64 exec, exec, s[2:3]
	v_and_b32_e32 v0, 1, v123
	v_cmp_eq_u32_e32 vcc, 0, v0
	v_cmp_eq_u32_e64 s[4:5], 1, v0
	s_waitcnt lgkmcnt(0)
	s_barrier
	s_and_saveexec_b64 s[2:3], s[4:5]
	s_xor_b64 s[2:3], exec, s[2:3]
	s_cbranch_execz .LBB30_752
; %bb.751:
	s_barrier
                                        ; implicit-def: $vgpr241
                                        ; implicit-def: $vgpr69
.LBB30_752:
	s_andn2_saveexec_b64 s[2:3], s[2:3]
	s_cbranch_execz .LBB30_758
; %bb.753:
	v_and_or_b32 v1, v70, 31, v240
	s_movk_i32 s4, 0x110
	v_mad_u32_u24 v0, v1, s4, 0
	ds_read_b64 v[72:73], v0 offset:256
	s_mov_b32 s4, 0x3fb8aa3b
	s_mov_b32 s6, 0x42b17218
	s_waitcnt lgkmcnt(0)
	s_barrier
	ds_bpermute_b32 v0, v69, v72
	v_max_f32_e32 v66, v72, v72
	s_waitcnt lgkmcnt(0)
	v_max_f32_e32 v0, v0, v0
	v_max_f32_e32 v0, v66, v0
	v_sub_f32_e32 v66, v72, v0
	v_mul_f32_e32 v67, 0x3fb8aa3b, v66
	v_fma_f32 v68, v66, s4, -v67
	v_rndne_f32_e32 v72, v67
	v_fmamk_f32 v68, v66, 0x32a5705f, v68
	v_sub_f32_e32 v67, v67, v72
	v_add_f32_e32 v67, v67, v68
	v_cvt_i32_f32_e32 v72, v72
	v_exp_f32_e32 v67, v67
	s_mov_b32 s4, 0xc2ce8ed0
	v_cmp_ngt_f32_e64 s[4:5], s4, v66
	v_mov_b32_e32 v68, 0x7f800000
	v_ldexp_f32 v67, v67, v72
	v_cndmask_b32_e64 v67, 0, v67, s[4:5]
	v_cmp_nlt_f32_e64 s[4:5], s6, v66
	s_nop 1
	v_cndmask_b32_e64 v66, v68, v67, s[4:5]
	v_mul_f32_e32 v67, v73, v66
	ds_bpermute_b32 v67, v69, v67
	v_cmp_gt_u32_e64 s[4:5], 32, v70
	s_waitcnt lgkmcnt(0)
	v_fmac_f32_e32 v67, v73, v66
	s_and_saveexec_b64 s[6:7], s[4:5]
; %bb.754:
	v_mul_u32_u24_e32 v1, 0x110, v1
	v_add_u32_e32 v1, 0, v1
	ds_write_b64 v1, v[66:67] offset:256
; %bb.755:
	s_or_b64 exec, exec, s[6:7]
	s_and_saveexec_b64 s[4:5], s[0:1]
	s_cbranch_execz .LBB30_757
; %bb.756:
	v_readlane_b32 s0, v255, 7
	s_add_i32 s0, s0, s49
	s_lshl_b32 s0, s0, 6
	s_mov_b32 s1, 0
	s_lshl_b64 s[0:1], s[0:1], 3
	s_add_u32 s0, s78, s0
	v_or_b32_e32 v1, v241, v70
	s_addc_u32 s1, s79, s1
	v_lshlrev_b32_e32 v66, 3, v1
	v_mov_b32_e32 v1, v67
	global_store_dwordx2 v66, v[0:1], s[0:1]
.LBB30_757:
	s_or_b64 exec, exec, s[4:5]
.LBB30_758:
	s_or_b64 exec, exec, s[2:3]
	s_mov_b32 s3, 0
	s_lshl_b32 s2, s49, 13
	v_or_b32_e32 v0, v240, v118
	s_lshl_b64 s[0:1], s[2:3], 3
	v_mul_u32_u24_e32 v0, 0x110, v0
	s_add_u32 s5, s78, s0
	v_cvt_pk_f16_f32 v24, v24, v25
	v_cvt_pk_f16_f32 v22, v22, v23
	s_movk_i32 s6, 0x110
	v_add3_u32 v1, 0, v0, v119
	s_addc_u32 s4, s79, s1
	v_lshrrev_b32_e32 v0, 1, v123
	v_cvt_pk_f16_f32 v23, v32, v33
	v_cvt_pk_f16_f32 v25, v30, v31
	;; [unrolled: 1-line block ×14, first 2 shown]
	ds_write2_b32 v1, v22, v24 offset1:1
	ds_write2_b32 v1, v25, v23 offset0:8 offset1:9
	ds_write2_b32 v1, v31, v30 offset0:16 offset1:17
	;; [unrolled: 1-line block ×7, first 2 shown]
	s_waitcnt lgkmcnt(0)
	s_barrier
	s_and_saveexec_b64 s[0:1], vcc
	s_cbranch_execz .LBB30_760
; %bb.759:
	v_bfe_u32 v32, v123, 1, 4
	s_movk_i32 s7, 0x3e0
	v_and_or_b32 v24, v123, s7, v32
	v_mad_u32_u24 v22, v24, s6, v71
	ds_read2st64_b32 v[22:23], v22 offset1:17
	s_load_dword s2, s[54:55], 0x10
	v_mad_u32_u24 v24, v24, s6, 0
	ds_read2st64_b32 v[24:25], v24 offset0:1 offset1:18
	s_movk_i32 s7, 0x7e0
	s_waitcnt lgkmcnt(0)
	v_cvt_f32_f16_e32 v30, v22
	v_cvt_f32_f16_sdwa v31, v22 dst_sel:DWORD dst_unused:UNUSED_PAD src0_sel:WORD_1
	v_cvt_f32_f16_e32 v22, v23
	v_cvt_f32_f16_sdwa v23, v23 dst_sel:DWORD dst_unused:UNUSED_PAD src0_sel:WORD_1
	s_lshr_b32 s2, s2, 16
	s_cmp_lg_u32 s2, 0
	v_pk_fma_f32 v[30:31], v[24:25], v[30:31], 0 op_sel_hi:[0,1,0]
	v_mov_b32_e32 v24, v25
	s_cselect_b64 s[8:9], -1, 0
	v_pk_fma_f32 v[22:23], v[24:25], v[22:23], v[30:31] op_sel_hi:[0,1,1]
	v_add_u32_e32 v30, 4, v0
	s_cmp_lg_u64 s[8:9], 0
	v_readlane_b32 s2, v255, 7
	v_lshlrev_b32_e32 v24, 1, v30
	v_and_b32_e32 v25, 15, v30
	s_addc_u32 s2, s2, 0
	v_and_or_b32 v31, v24, s7, v25
	s_lshl_b32 s2, s2, 7
	v_mad_u32_u24 v24, v31, s6, v71
	s_lshl_b64 s[2:3], s[2:3], 3
	ds_read2st64_b32 v[24:25], v24 offset1:17
	s_add_u32 s2, s5, s2
	v_lshlrev_b32_e32 v33, 6, v123
	s_addc_u32 s3, s4, s3
	v_add_lshl_u32 v33, v33, v70, 3
	global_store_dwordx2 v33, v[22:23], s[2:3]
	v_mad_u32_u24 v22, v31, s6, 0
	ds_read2st64_b32 v[22:23], v22 offset0:1 offset1:18
	v_lshlrev_b32_e32 v33, 7, v30
	s_waitcnt lgkmcnt(1)
	v_cvt_f32_f16_e32 v30, v24
	v_cvt_f32_f16_sdwa v31, v24 dst_sel:DWORD dst_unused:UNUSED_PAD src0_sel:WORD_1
	v_cvt_f32_f16_e32 v24, v25
	v_cvt_f32_f16_sdwa v25, v25 dst_sel:DWORD dst_unused:UNUSED_PAD src0_sel:WORD_1
	v_add_lshl_u32 v33, v33, v70, 3
	s_waitcnt lgkmcnt(0)
	v_pk_fma_f32 v[30:31], v[22:23], v[30:31], 0 op_sel_hi:[0,1,0]
	v_mov_b32_e32 v22, v23
	v_pk_fma_f32 v[22:23], v[22:23], v[24:25], v[30:31] op_sel_hi:[0,1,1]
	v_add_u32_e32 v30, 8, v0
	v_lshlrev_b32_e32 v24, 1, v30
	v_and_b32_e32 v25, 15, v30
	v_and_or_b32 v31, v24, s7, v25
	v_mad_u32_u24 v24, v31, s6, v71
	ds_read2st64_b32 v[24:25], v24 offset1:17
	global_store_dwordx2 v33, v[22:23], s[2:3]
	v_mad_u32_u24 v22, v31, s6, 0
	ds_read2st64_b32 v[22:23], v22 offset0:1 offset1:18
	v_lshlrev_b32_e32 v33, 7, v30
	s_waitcnt lgkmcnt(1)
	v_cvt_f32_f16_e32 v30, v24
	v_cvt_f32_f16_sdwa v31, v24 dst_sel:DWORD dst_unused:UNUSED_PAD src0_sel:WORD_1
	v_cvt_f32_f16_e32 v24, v25
	v_cvt_f32_f16_sdwa v25, v25 dst_sel:DWORD dst_unused:UNUSED_PAD src0_sel:WORD_1
	v_add_lshl_u32 v33, v33, v70, 3
	s_waitcnt lgkmcnt(0)
	v_pk_fma_f32 v[30:31], v[22:23], v[30:31], 0 op_sel_hi:[0,1,0]
	v_mov_b32_e32 v22, v23
	v_pk_fma_f32 v[22:23], v[22:23], v[24:25], v[30:31] op_sel_hi:[0,1,1]
	v_add_u32_e32 v30, 12, v0
	v_lshlrev_b32_e32 v24, 1, v30
	v_and_b32_e32 v25, 15, v30
	v_and_or_b32 v31, v24, s7, v25
	v_mad_u32_u24 v24, v31, s6, v71
	ds_read2st64_b32 v[24:25], v24 offset1:17
	global_store_dwordx2 v33, v[22:23], s[2:3]
	v_mad_u32_u24 v22, v31, s6, 0
	ds_read2st64_b32 v[22:23], v22 offset0:1 offset1:18
	v_lshlrev_b32_e32 v33, 7, v30
	s_waitcnt lgkmcnt(1)
	v_cvt_f32_f16_e32 v30, v24
	v_cvt_f32_f16_sdwa v31, v24 dst_sel:DWORD dst_unused:UNUSED_PAD src0_sel:WORD_1
	v_cvt_f32_f16_e32 v24, v25
	v_cvt_f32_f16_sdwa v25, v25 dst_sel:DWORD dst_unused:UNUSED_PAD src0_sel:WORD_1
	v_add_lshl_u32 v33, v33, v70, 3
	s_waitcnt lgkmcnt(0)
	v_pk_fma_f32 v[30:31], v[22:23], v[30:31], 0 op_sel_hi:[0,1,0]
	v_mov_b32_e32 v22, v23
	v_pk_fma_f32 v[22:23], v[22:23], v[24:25], v[30:31] op_sel_hi:[0,1,1]
	v_add_u32_e32 v30, 16, v0
	v_lshlrev_b32_e32 v24, 1, v30
	v_and_or_b32 v31, v24, s7, v32
	v_mad_u32_u24 v24, v31, s6, v71
	ds_read2st64_b32 v[24:25], v24 offset1:17
	global_store_dwordx2 v33, v[22:23], s[2:3]
	v_mad_u32_u24 v22, v31, s6, 0
	ds_read2st64_b32 v[22:23], v22 offset0:1 offset1:18
	v_lshlrev_b32_e32 v33, 7, v30
	s_waitcnt lgkmcnt(1)
	v_cvt_f32_f16_e32 v30, v24
	v_cvt_f32_f16_sdwa v31, v24 dst_sel:DWORD dst_unused:UNUSED_PAD src0_sel:WORD_1
	v_cvt_f32_f16_e32 v24, v25
	v_cvt_f32_f16_sdwa v25, v25 dst_sel:DWORD dst_unused:UNUSED_PAD src0_sel:WORD_1
	v_add_lshl_u32 v33, v33, v70, 3
	s_waitcnt lgkmcnt(0)
	v_pk_fma_f32 v[30:31], v[22:23], v[30:31], 0 op_sel_hi:[0,1,0]
	v_mov_b32_e32 v22, v23
	v_pk_fma_f32 v[22:23], v[22:23], v[24:25], v[30:31] op_sel_hi:[0,1,1]
	v_add_u32_e32 v30, 20, v0
	v_lshlrev_b32_e32 v24, 1, v30
	v_and_b32_e32 v25, 15, v30
	v_and_or_b32 v31, v24, s7, v25
	v_mad_u32_u24 v24, v31, s6, v71
	ds_read2st64_b32 v[24:25], v24 offset1:17
	global_store_dwordx2 v33, v[22:23], s[2:3]
	v_mad_u32_u24 v22, v31, s6, 0
	ds_read2st64_b32 v[22:23], v22 offset0:1 offset1:18
	v_lshlrev_b32_e32 v33, 7, v30
	s_waitcnt lgkmcnt(1)
	v_cvt_f32_f16_e32 v30, v24
	v_cvt_f32_f16_sdwa v31, v24 dst_sel:DWORD dst_unused:UNUSED_PAD src0_sel:WORD_1
	v_cvt_f32_f16_e32 v24, v25
	v_cvt_f32_f16_sdwa v25, v25 dst_sel:DWORD dst_unused:UNUSED_PAD src0_sel:WORD_1
	v_add_lshl_u32 v33, v33, v70, 3
	s_waitcnt lgkmcnt(0)
	v_pk_fma_f32 v[30:31], v[22:23], v[30:31], 0 op_sel_hi:[0,1,0]
	v_mov_b32_e32 v22, v23
	v_pk_fma_f32 v[22:23], v[22:23], v[24:25], v[30:31] op_sel_hi:[0,1,1]
	v_add_u32_e32 v30, 24, v0
	v_lshlrev_b32_e32 v24, 1, v30
	v_and_b32_e32 v25, 15, v30
	;; [unrolled: 20-line block ×3, first 2 shown]
	v_and_or_b32 v31, v24, s7, v25
	v_mad_u32_u24 v24, v31, s6, v71
	ds_read2st64_b32 v[24:25], v24 offset1:17
	global_store_dwordx2 v33, v[22:23], s[2:3]
	v_mad_u32_u24 v22, v31, s6, 0
	ds_read2st64_b32 v[22:23], v22 offset0:1 offset1:18
	v_lshlrev_b32_e32 v33, 7, v30
	s_waitcnt lgkmcnt(1)
	v_cvt_f32_f16_e32 v30, v24
	v_cvt_f32_f16_sdwa v31, v24 dst_sel:DWORD dst_unused:UNUSED_PAD src0_sel:WORD_1
	v_cvt_f32_f16_e32 v24, v25
	v_cvt_f32_f16_sdwa v25, v25 dst_sel:DWORD dst_unused:UNUSED_PAD src0_sel:WORD_1
	v_add_lshl_u32 v33, v33, v70, 3
	s_waitcnt lgkmcnt(0)
	v_pk_fma_f32 v[30:31], v[22:23], v[30:31], 0 op_sel_hi:[0,1,0]
	v_mov_b32_e32 v22, v23
	v_pk_fma_f32 v[22:23], v[22:23], v[24:25], v[30:31] op_sel_hi:[0,1,1]
	v_add_u32_e32 v30, 32, v0
	v_lshlrev_b32_e32 v24, 1, v30
	v_and_or_b32 v31, v24, s7, v32
	v_mad_u32_u24 v24, v31, s6, v71
	ds_read2st64_b32 v[24:25], v24 offset1:17
	global_store_dwordx2 v33, v[22:23], s[2:3]
	v_mad_u32_u24 v22, v31, s6, 0
	ds_read2st64_b32 v[22:23], v22 offset0:1 offset1:18
	v_lshlrev_b32_e32 v33, 7, v30
	s_waitcnt lgkmcnt(1)
	v_cvt_f32_f16_e32 v30, v24
	v_cvt_f32_f16_sdwa v31, v24 dst_sel:DWORD dst_unused:UNUSED_PAD src0_sel:WORD_1
	v_cvt_f32_f16_e32 v24, v25
	v_cvt_f32_f16_sdwa v25, v25 dst_sel:DWORD dst_unused:UNUSED_PAD src0_sel:WORD_1
	v_add_lshl_u32 v33, v33, v70, 3
	s_waitcnt lgkmcnt(0)
	v_pk_fma_f32 v[30:31], v[22:23], v[30:31], 0 op_sel_hi:[0,1,0]
	v_mov_b32_e32 v22, v23
	v_pk_fma_f32 v[22:23], v[22:23], v[24:25], v[30:31] op_sel_hi:[0,1,1]
	v_add_u32_e32 v30, 36, v0
	v_lshlrev_b32_e32 v24, 1, v30
	v_and_b32_e32 v25, 15, v30
	v_and_or_b32 v31, v24, s7, v25
	v_mad_u32_u24 v24, v31, s6, v71
	ds_read2st64_b32 v[24:25], v24 offset1:17
	global_store_dwordx2 v33, v[22:23], s[2:3]
	v_mad_u32_u24 v22, v31, s6, 0
	ds_read2st64_b32 v[22:23], v22 offset0:1 offset1:18
	v_lshlrev_b32_e32 v33, 7, v30
	s_waitcnt lgkmcnt(1)
	v_cvt_f32_f16_e32 v30, v24
	v_cvt_f32_f16_sdwa v31, v24 dst_sel:DWORD dst_unused:UNUSED_PAD src0_sel:WORD_1
	v_cvt_f32_f16_e32 v24, v25
	v_cvt_f32_f16_sdwa v25, v25 dst_sel:DWORD dst_unused:UNUSED_PAD src0_sel:WORD_1
	v_add_lshl_u32 v33, v33, v70, 3
	s_waitcnt lgkmcnt(0)
	v_pk_fma_f32 v[30:31], v[22:23], v[30:31], 0 op_sel_hi:[0,1,0]
	v_mov_b32_e32 v22, v23
	v_pk_fma_f32 v[22:23], v[22:23], v[24:25], v[30:31] op_sel_hi:[0,1,1]
	v_add_u32_e32 v30, 40, v0
	v_lshlrev_b32_e32 v24, 1, v30
	v_and_b32_e32 v25, 15, v30
	;; [unrolled: 20-line block ×3, first 2 shown]
	v_and_or_b32 v31, v24, s7, v25
	v_mad_u32_u24 v24, v31, s6, v71
	ds_read2st64_b32 v[24:25], v24 offset1:17
	global_store_dwordx2 v33, v[22:23], s[2:3]
	v_mad_u32_u24 v22, v31, s6, 0
	ds_read2st64_b32 v[22:23], v22 offset0:1 offset1:18
	v_lshlrev_b32_e32 v33, 7, v30
	s_waitcnt lgkmcnt(1)
	v_cvt_f32_f16_e32 v30, v24
	v_cvt_f32_f16_sdwa v31, v24 dst_sel:DWORD dst_unused:UNUSED_PAD src0_sel:WORD_1
	v_cvt_f32_f16_e32 v24, v25
	v_cvt_f32_f16_sdwa v25, v25 dst_sel:DWORD dst_unused:UNUSED_PAD src0_sel:WORD_1
	v_add_lshl_u32 v33, v33, v70, 3
	s_waitcnt lgkmcnt(0)
	v_pk_fma_f32 v[30:31], v[22:23], v[30:31], 0 op_sel_hi:[0,1,0]
	v_mov_b32_e32 v22, v23
	v_pk_fma_f32 v[22:23], v[22:23], v[24:25], v[30:31] op_sel_hi:[0,1,1]
	v_add_u32_e32 v30, 48, v0
	v_lshlrev_b32_e32 v24, 1, v30
	v_and_or_b32 v31, v24, s7, v32
	v_mad_u32_u24 v24, v31, s6, v71
	ds_read2st64_b32 v[24:25], v24 offset1:17
	global_store_dwordx2 v33, v[22:23], s[2:3]
	v_mad_u32_u24 v22, v31, s6, 0
	ds_read2st64_b32 v[22:23], v22 offset0:1 offset1:18
	v_lshlrev_b32_e32 v32, 7, v30
	s_waitcnt lgkmcnt(1)
	v_cvt_f32_f16_e32 v30, v24
	v_cvt_f32_f16_sdwa v31, v24 dst_sel:DWORD dst_unused:UNUSED_PAD src0_sel:WORD_1
	v_cvt_f32_f16_e32 v24, v25
	v_cvt_f32_f16_sdwa v25, v25 dst_sel:DWORD dst_unused:UNUSED_PAD src0_sel:WORD_1
	v_add_lshl_u32 v32, v32, v70, 3
	s_waitcnt lgkmcnt(0)
	v_pk_fma_f32 v[30:31], v[22:23], v[30:31], 0 op_sel_hi:[0,1,0]
	v_mov_b32_e32 v22, v23
	v_pk_fma_f32 v[22:23], v[22:23], v[24:25], v[30:31] op_sel_hi:[0,1,1]
	v_add_u32_e32 v30, 52, v0
	v_lshlrev_b32_e32 v24, 1, v30
	v_and_b32_e32 v25, 15, v30
	v_and_or_b32 v31, v24, s7, v25
	v_mad_u32_u24 v24, v31, s6, v71
	ds_read2st64_b32 v[24:25], v24 offset1:17
	global_store_dwordx2 v32, v[22:23], s[2:3]
	v_mad_u32_u24 v22, v31, s6, 0
	ds_read2st64_b32 v[22:23], v22 offset0:1 offset1:18
	v_lshlrev_b32_e32 v32, 7, v30
	s_waitcnt lgkmcnt(1)
	v_cvt_f32_f16_e32 v30, v24
	v_cvt_f32_f16_sdwa v31, v24 dst_sel:DWORD dst_unused:UNUSED_PAD src0_sel:WORD_1
	v_cvt_f32_f16_e32 v24, v25
	v_cvt_f32_f16_sdwa v25, v25 dst_sel:DWORD dst_unused:UNUSED_PAD src0_sel:WORD_1
	v_add_lshl_u32 v32, v32, v70, 3
	s_waitcnt lgkmcnt(0)
	v_pk_fma_f32 v[30:31], v[22:23], v[30:31], 0 op_sel_hi:[0,1,0]
	v_mov_b32_e32 v22, v23
	v_pk_fma_f32 v[22:23], v[22:23], v[24:25], v[30:31] op_sel_hi:[0,1,1]
	v_add_u32_e32 v30, 56, v0
	v_lshlrev_b32_e32 v24, 1, v30
	v_and_b32_e32 v25, 15, v30
	;; [unrolled: 20-line block ×3, first 2 shown]
	v_and_or_b32 v31, v24, s7, v25
	v_mad_u32_u24 v24, v31, s6, v71
	ds_read2st64_b32 v[24:25], v24 offset1:17
	global_store_dwordx2 v32, v[22:23], s[2:3]
	v_mad_u32_u24 v22, v31, s6, 0
	ds_read2st64_b32 v[22:23], v22 offset0:1 offset1:18
	v_lshlrev_b32_e32 v32, 7, v30
	s_waitcnt lgkmcnt(1)
	v_cvt_f32_f16_e32 v30, v24
	v_cvt_f32_f16_sdwa v31, v24 dst_sel:DWORD dst_unused:UNUSED_PAD src0_sel:WORD_1
	v_cvt_f32_f16_e32 v24, v25
	v_cvt_f32_f16_sdwa v25, v25 dst_sel:DWORD dst_unused:UNUSED_PAD src0_sel:WORD_1
	v_add_lshl_u32 v32, v32, v70, 3
	s_waitcnt lgkmcnt(0)
	v_pk_fma_f32 v[30:31], v[22:23], v[30:31], 0 op_sel_hi:[0,1,0]
	v_mov_b32_e32 v22, v23
	v_pk_fma_f32 v[22:23], v[22:23], v[24:25], v[30:31] op_sel_hi:[0,1,1]
	global_store_dwordx2 v32, v[22:23], s[2:3]
.LBB30_760:
	s_or_b64 exec, exec, s[0:1]
	v_cvt_pk_f16_f32 v4, v4, v5
	v_cvt_pk_f16_f32 v2, v2, v3
	;; [unrolled: 1-line block ×16, first 2 shown]
	s_barrier
	ds_write2_b32 v1, v2, v4 offset1:1
	ds_write2_b32 v1, v5, v3 offset0:8 offset1:9
	ds_write2_b32 v1, v7, v6 offset0:16 offset1:17
	;; [unrolled: 1-line block ×7, first 2 shown]
	s_waitcnt lgkmcnt(0)
	s_barrier
	s_and_saveexec_b64 s[0:1], vcc
	s_cbranch_execz .LBB30_762
; %bb.761:
	s_load_dword s2, s[54:55], 0x10
	v_bfe_u32 v1, v123, 1, 4
	s_movk_i32 s6, 0x3e0
	v_and_or_b32 v4, v123, s6, v1
	s_mov_b32 s3, 0
	s_waitcnt lgkmcnt(0)
	s_lshr_b32 s2, s2, 16
	s_cmp_lg_u32 s2, 0
	s_cselect_b64 s[6:7], -1, 0
	s_cmp_lg_u64 s[6:7], 0
	v_readlane_b32 s2, v255, 7
	s_addc_u32 s2, s2, 0
	s_lshl_b32 s2, s2, 7
	s_lshl_b64 s[2:3], s[2:3], 3
	s_add_u32 s2, s5, s2
	s_movk_i32 s5, 0x110
	v_mad_u32_u24 v2, v4, s5, v71
	ds_read2st64_b32 v[2:3], v2 offset1:17
	v_mad_u32_u24 v4, v4, s5, 0
	ds_read2st64_b32 v[4:5], v4 offset0:1 offset1:18
	s_addc_u32 s3, s4, s3
	s_movk_i32 s4, 0x7e0
	s_waitcnt lgkmcnt(1)
	v_cvt_f32_f16_e32 v6, v2
	v_cvt_f32_f16_sdwa v7, v2 dst_sel:DWORD dst_unused:UNUSED_PAD src0_sel:WORD_1
	v_cvt_f32_f16_e32 v2, v3
	v_cvt_f32_f16_sdwa v3, v3 dst_sel:DWORD dst_unused:UNUSED_PAD src0_sel:WORD_1
	v_lshlrev_b32_e32 v8, 6, v123
	s_waitcnt lgkmcnt(0)
	v_pk_fma_f32 v[6:7], v[4:5], v[6:7], 0 op_sel_hi:[0,1,0]
	v_mov_b32_e32 v4, v5
	v_pk_fma_f32 v[2:3], v[4:5], v[2:3], v[6:7] op_sel_hi:[0,1,1]
	v_add_u32_e32 v6, 4, v0
	v_lshlrev_b32_e32 v4, 1, v6
	v_and_b32_e32 v5, 15, v6
	v_and_or_b32 v7, v4, s4, v5
	v_mad_u32_u24 v4, v7, s5, v71
	ds_read2st64_b32 v[4:5], v4 offset1:17
	v_add_lshl_u32 v8, v70, v8, 3
	global_store_dwordx2 v8, v[2:3], s[2:3] offset:512
	v_mad_u32_u24 v2, v7, s5, 0
	ds_read2st64_b32 v[2:3], v2 offset0:1 offset1:18
	v_lshlrev_b32_e32 v8, 7, v6
	s_waitcnt lgkmcnt(1)
	v_cvt_f32_f16_e32 v6, v4
	v_cvt_f32_f16_sdwa v7, v4 dst_sel:DWORD dst_unused:UNUSED_PAD src0_sel:WORD_1
	v_cvt_f32_f16_e32 v4, v5
	v_cvt_f32_f16_sdwa v5, v5 dst_sel:DWORD dst_unused:UNUSED_PAD src0_sel:WORD_1
	v_add_lshl_u32 v8, v70, v8, 3
	s_waitcnt lgkmcnt(0)
	v_pk_fma_f32 v[6:7], v[2:3], v[6:7], 0 op_sel_hi:[0,1,0]
	v_mov_b32_e32 v2, v3
	v_pk_fma_f32 v[2:3], v[2:3], v[4:5], v[6:7] op_sel_hi:[0,1,1]
	v_add_u32_e32 v6, 8, v0
	v_lshlrev_b32_e32 v4, 1, v6
	v_and_b32_e32 v5, 15, v6
	v_and_or_b32 v7, v4, s4, v5
	v_mad_u32_u24 v4, v7, s5, v71
	ds_read2st64_b32 v[4:5], v4 offset1:17
	global_store_dwordx2 v8, v[2:3], s[2:3] offset:512
	v_mad_u32_u24 v2, v7, s5, 0
	ds_read2st64_b32 v[2:3], v2 offset0:1 offset1:18
	v_lshlrev_b32_e32 v8, 7, v6
	s_waitcnt lgkmcnt(1)
	v_cvt_f32_f16_e32 v6, v4
	v_cvt_f32_f16_sdwa v7, v4 dst_sel:DWORD dst_unused:UNUSED_PAD src0_sel:WORD_1
	v_cvt_f32_f16_e32 v4, v5
	v_cvt_f32_f16_sdwa v5, v5 dst_sel:DWORD dst_unused:UNUSED_PAD src0_sel:WORD_1
	v_add_lshl_u32 v8, v70, v8, 3
	s_waitcnt lgkmcnt(0)
	v_pk_fma_f32 v[6:7], v[2:3], v[6:7], 0 op_sel_hi:[0,1,0]
	v_mov_b32_e32 v2, v3
	v_pk_fma_f32 v[2:3], v[2:3], v[4:5], v[6:7] op_sel_hi:[0,1,1]
	v_add_u32_e32 v6, 12, v0
	v_lshlrev_b32_e32 v4, 1, v6
	v_and_b32_e32 v5, 15, v6
	v_and_or_b32 v7, v4, s4, v5
	v_mad_u32_u24 v4, v7, s5, v71
	ds_read2st64_b32 v[4:5], v4 offset1:17
	global_store_dwordx2 v8, v[2:3], s[2:3] offset:512
	v_mad_u32_u24 v2, v7, s5, 0
	ds_read2st64_b32 v[2:3], v2 offset0:1 offset1:18
	v_lshlrev_b32_e32 v8, 7, v6
	s_waitcnt lgkmcnt(1)
	v_cvt_f32_f16_e32 v6, v4
	v_cvt_f32_f16_sdwa v7, v4 dst_sel:DWORD dst_unused:UNUSED_PAD src0_sel:WORD_1
	v_cvt_f32_f16_e32 v4, v5
	v_cvt_f32_f16_sdwa v5, v5 dst_sel:DWORD dst_unused:UNUSED_PAD src0_sel:WORD_1
	v_add_lshl_u32 v8, v70, v8, 3
	s_waitcnt lgkmcnt(0)
	v_pk_fma_f32 v[6:7], v[2:3], v[6:7], 0 op_sel_hi:[0,1,0]
	v_mov_b32_e32 v2, v3
	v_pk_fma_f32 v[2:3], v[2:3], v[4:5], v[6:7] op_sel_hi:[0,1,1]
	v_add_u32_e32 v6, 16, v0
	v_lshlrev_b32_e32 v4, 1, v6
	v_and_or_b32 v7, v4, s4, v1
	v_mad_u32_u24 v4, v7, s5, v71
	ds_read2st64_b32 v[4:5], v4 offset1:17
	global_store_dwordx2 v8, v[2:3], s[2:3] offset:512
	v_mad_u32_u24 v2, v7, s5, 0
	ds_read2st64_b32 v[2:3], v2 offset0:1 offset1:18
	v_lshlrev_b32_e32 v8, 7, v6
	s_waitcnt lgkmcnt(1)
	v_cvt_f32_f16_e32 v6, v4
	v_cvt_f32_f16_sdwa v7, v4 dst_sel:DWORD dst_unused:UNUSED_PAD src0_sel:WORD_1
	v_cvt_f32_f16_e32 v4, v5
	v_cvt_f32_f16_sdwa v5, v5 dst_sel:DWORD dst_unused:UNUSED_PAD src0_sel:WORD_1
	v_add_lshl_u32 v8, v70, v8, 3
	s_waitcnt lgkmcnt(0)
	v_pk_fma_f32 v[6:7], v[2:3], v[6:7], 0 op_sel_hi:[0,1,0]
	v_mov_b32_e32 v2, v3
	v_pk_fma_f32 v[2:3], v[2:3], v[4:5], v[6:7] op_sel_hi:[0,1,1]
	v_add_u32_e32 v6, 20, v0
	v_lshlrev_b32_e32 v4, 1, v6
	v_and_b32_e32 v5, 15, v6
	v_and_or_b32 v7, v4, s4, v5
	v_mad_u32_u24 v4, v7, s5, v71
	ds_read2st64_b32 v[4:5], v4 offset1:17
	global_store_dwordx2 v8, v[2:3], s[2:3] offset:512
	v_mad_u32_u24 v2, v7, s5, 0
	ds_read2st64_b32 v[2:3], v2 offset0:1 offset1:18
	v_lshlrev_b32_e32 v8, 7, v6
	s_waitcnt lgkmcnt(1)
	v_cvt_f32_f16_e32 v6, v4
	v_cvt_f32_f16_sdwa v7, v4 dst_sel:DWORD dst_unused:UNUSED_PAD src0_sel:WORD_1
	v_cvt_f32_f16_e32 v4, v5
	v_cvt_f32_f16_sdwa v5, v5 dst_sel:DWORD dst_unused:UNUSED_PAD src0_sel:WORD_1
	v_add_lshl_u32 v8, v70, v8, 3
	s_waitcnt lgkmcnt(0)
	v_pk_fma_f32 v[6:7], v[2:3], v[6:7], 0 op_sel_hi:[0,1,0]
	v_mov_b32_e32 v2, v3
	v_pk_fma_f32 v[2:3], v[2:3], v[4:5], v[6:7] op_sel_hi:[0,1,1]
	v_add_u32_e32 v6, 24, v0
	v_lshlrev_b32_e32 v4, 1, v6
	v_and_b32_e32 v5, 15, v6
	;; [unrolled: 20-line block ×3, first 2 shown]
	v_and_or_b32 v7, v4, s4, v5
	v_mad_u32_u24 v4, v7, s5, v71
	ds_read2st64_b32 v[4:5], v4 offset1:17
	global_store_dwordx2 v8, v[2:3], s[2:3] offset:512
	v_mad_u32_u24 v2, v7, s5, 0
	ds_read2st64_b32 v[2:3], v2 offset0:1 offset1:18
	v_lshlrev_b32_e32 v8, 7, v6
	s_waitcnt lgkmcnt(1)
	v_cvt_f32_f16_e32 v6, v4
	v_cvt_f32_f16_sdwa v7, v4 dst_sel:DWORD dst_unused:UNUSED_PAD src0_sel:WORD_1
	v_cvt_f32_f16_e32 v4, v5
	v_cvt_f32_f16_sdwa v5, v5 dst_sel:DWORD dst_unused:UNUSED_PAD src0_sel:WORD_1
	v_add_lshl_u32 v8, v70, v8, 3
	s_waitcnt lgkmcnt(0)
	v_pk_fma_f32 v[6:7], v[2:3], v[6:7], 0 op_sel_hi:[0,1,0]
	v_mov_b32_e32 v2, v3
	v_pk_fma_f32 v[2:3], v[2:3], v[4:5], v[6:7] op_sel_hi:[0,1,1]
	v_add_u32_e32 v6, 32, v0
	v_lshlrev_b32_e32 v4, 1, v6
	v_and_or_b32 v7, v4, s4, v1
	v_mad_u32_u24 v4, v7, s5, v71
	ds_read2st64_b32 v[4:5], v4 offset1:17
	global_store_dwordx2 v8, v[2:3], s[2:3] offset:512
	v_mad_u32_u24 v2, v7, s5, 0
	ds_read2st64_b32 v[2:3], v2 offset0:1 offset1:18
	v_lshlrev_b32_e32 v8, 7, v6
	s_waitcnt lgkmcnt(1)
	v_cvt_f32_f16_e32 v6, v4
	v_cvt_f32_f16_sdwa v7, v4 dst_sel:DWORD dst_unused:UNUSED_PAD src0_sel:WORD_1
	v_cvt_f32_f16_e32 v4, v5
	v_cvt_f32_f16_sdwa v5, v5 dst_sel:DWORD dst_unused:UNUSED_PAD src0_sel:WORD_1
	v_add_lshl_u32 v8, v70, v8, 3
	s_waitcnt lgkmcnt(0)
	v_pk_fma_f32 v[6:7], v[2:3], v[6:7], 0 op_sel_hi:[0,1,0]
	v_mov_b32_e32 v2, v3
	v_pk_fma_f32 v[2:3], v[2:3], v[4:5], v[6:7] op_sel_hi:[0,1,1]
	v_add_u32_e32 v6, 36, v0
	v_lshlrev_b32_e32 v4, 1, v6
	v_and_b32_e32 v5, 15, v6
	v_and_or_b32 v7, v4, s4, v5
	v_mad_u32_u24 v4, v7, s5, v71
	ds_read2st64_b32 v[4:5], v4 offset1:17
	global_store_dwordx2 v8, v[2:3], s[2:3] offset:512
	v_mad_u32_u24 v2, v7, s5, 0
	ds_read2st64_b32 v[2:3], v2 offset0:1 offset1:18
	v_lshlrev_b32_e32 v8, 7, v6
	s_waitcnt lgkmcnt(1)
	v_cvt_f32_f16_e32 v6, v4
	v_cvt_f32_f16_sdwa v7, v4 dst_sel:DWORD dst_unused:UNUSED_PAD src0_sel:WORD_1
	v_cvt_f32_f16_e32 v4, v5
	v_cvt_f32_f16_sdwa v5, v5 dst_sel:DWORD dst_unused:UNUSED_PAD src0_sel:WORD_1
	v_add_lshl_u32 v8, v70, v8, 3
	s_waitcnt lgkmcnt(0)
	v_pk_fma_f32 v[6:7], v[2:3], v[6:7], 0 op_sel_hi:[0,1,0]
	v_mov_b32_e32 v2, v3
	v_pk_fma_f32 v[2:3], v[2:3], v[4:5], v[6:7] op_sel_hi:[0,1,1]
	v_add_u32_e32 v6, 40, v0
	v_lshlrev_b32_e32 v4, 1, v6
	v_and_b32_e32 v5, 15, v6
	;; [unrolled: 20-line block ×3, first 2 shown]
	v_and_or_b32 v7, v4, s4, v5
	v_mad_u32_u24 v4, v7, s5, v71
	ds_read2st64_b32 v[4:5], v4 offset1:17
	global_store_dwordx2 v8, v[2:3], s[2:3] offset:512
	v_mad_u32_u24 v2, v7, s5, 0
	ds_read2st64_b32 v[2:3], v2 offset0:1 offset1:18
	v_lshlrev_b32_e32 v8, 7, v6
	s_waitcnt lgkmcnt(1)
	v_cvt_f32_f16_e32 v6, v4
	v_cvt_f32_f16_sdwa v7, v4 dst_sel:DWORD dst_unused:UNUSED_PAD src0_sel:WORD_1
	v_cvt_f32_f16_e32 v4, v5
	v_cvt_f32_f16_sdwa v5, v5 dst_sel:DWORD dst_unused:UNUSED_PAD src0_sel:WORD_1
	v_add_lshl_u32 v8, v70, v8, 3
	s_waitcnt lgkmcnt(0)
	v_pk_fma_f32 v[6:7], v[2:3], v[6:7], 0 op_sel_hi:[0,1,0]
	v_mov_b32_e32 v2, v3
	v_pk_fma_f32 v[2:3], v[2:3], v[4:5], v[6:7] op_sel_hi:[0,1,1]
	v_add_u32_e32 v6, 48, v0
	v_lshlrev_b32_e32 v4, 1, v6
	v_and_or_b32 v1, v4, s4, v1
	v_mad_u32_u24 v4, v1, s5, v71
	ds_read2st64_b32 v[4:5], v4 offset1:17
	v_mad_u32_u24 v1, v1, s5, 0
	global_store_dwordx2 v8, v[2:3], s[2:3] offset:512
	ds_read2st64_b32 v[2:3], v1 offset0:1 offset1:18
	v_lshlrev_b32_e32 v8, 7, v6
	s_waitcnt lgkmcnt(1)
	v_cvt_f32_f16_e32 v6, v4
	v_cvt_f32_f16_sdwa v7, v4 dst_sel:DWORD dst_unused:UNUSED_PAD src0_sel:WORD_1
	v_cvt_f32_f16_e32 v4, v5
	v_cvt_f32_f16_sdwa v5, v5 dst_sel:DWORD dst_unused:UNUSED_PAD src0_sel:WORD_1
	v_add_lshl_u32 v1, v70, v8, 3
	s_waitcnt lgkmcnt(0)
	v_pk_fma_f32 v[6:7], v[2:3], v[6:7], 0 op_sel_hi:[0,1,0]
	v_mov_b32_e32 v2, v3
	v_pk_fma_f32 v[2:3], v[2:3], v[4:5], v[6:7] op_sel_hi:[0,1,1]
	v_add_u32_e32 v6, 52, v0
	v_lshlrev_b32_e32 v4, 1, v6
	v_and_b32_e32 v5, 15, v6
	v_and_or_b32 v7, v4, s4, v5
	v_mad_u32_u24 v4, v7, s5, v71
	ds_read2st64_b32 v[4:5], v4 offset1:17
	global_store_dwordx2 v1, v[2:3], s[2:3] offset:512
	v_mad_u32_u24 v1, v7, s5, 0
	ds_read2st64_b32 v[2:3], v1 offset0:1 offset1:18
	v_lshlrev_b32_e32 v8, 7, v6
	s_waitcnt lgkmcnt(1)
	v_cvt_f32_f16_e32 v6, v4
	v_cvt_f32_f16_sdwa v7, v4 dst_sel:DWORD dst_unused:UNUSED_PAD src0_sel:WORD_1
	v_cvt_f32_f16_e32 v4, v5
	v_cvt_f32_f16_sdwa v5, v5 dst_sel:DWORD dst_unused:UNUSED_PAD src0_sel:WORD_1
	v_add_lshl_u32 v1, v70, v8, 3
	s_waitcnt lgkmcnt(0)
	v_pk_fma_f32 v[6:7], v[2:3], v[6:7], 0 op_sel_hi:[0,1,0]
	v_mov_b32_e32 v2, v3
	v_pk_fma_f32 v[2:3], v[2:3], v[4:5], v[6:7] op_sel_hi:[0,1,1]
	v_add_u32_e32 v6, 56, v0
	v_lshlrev_b32_e32 v4, 1, v6
	v_and_b32_e32 v5, 15, v6
	v_and_or_b32 v7, v4, s4, v5
	v_mad_u32_u24 v4, v7, s5, v71
	ds_read2st64_b32 v[4:5], v4 offset1:17
	global_store_dwordx2 v1, v[2:3], s[2:3] offset:512
	v_mad_u32_u24 v1, v7, s5, 0
	;; [unrolled: 20-line block ×3, first 2 shown]
	ds_read2st64_b32 v[2:3], v2 offset0:1 offset1:18
	v_lshlrev_b32_e32 v6, 7, v4
	s_waitcnt lgkmcnt(1)
	v_cvt_f32_f16_e32 v4, v0
	v_cvt_f32_f16_sdwa v5, v0 dst_sel:DWORD dst_unused:UNUSED_PAD src0_sel:WORD_1
	v_cvt_f32_f16_e32 v0, v1
	v_cvt_f32_f16_sdwa v1, v1 dst_sel:DWORD dst_unused:UNUSED_PAD src0_sel:WORD_1
	v_add_lshl_u32 v6, v70, v6, 3
	s_waitcnt lgkmcnt(0)
	v_pk_fma_f32 v[4:5], v[2:3], v[4:5], 0 op_sel_hi:[0,1,0]
	v_mov_b32_e32 v2, v3
	v_pk_fma_f32 v[0:1], v[2:3], v[0:1], v[4:5] op_sel_hi:[0,1,1]
	global_store_dwordx2 v6, v[0:1], s[2:3] offset:512
.LBB30_762:
	s_or_b64 exec, exec, s[0:1]
	s_barrier
	s_endpgm
	.section	.rodata,"a",@progbits
	.p2align	6, 0x0
	.amdhsa_kernel _ZL18flash_attn_ext_f16ILi256ELi256ELi64ELi1ELb1ELb0EEvPKcS1_S1_S1_S1_PKiPfP15HIP_vector_typeIfLj2EEffffjfiS5_IjLj3EEiiiiiiiiiiiliiliiiiil
		.amdhsa_group_segment_fixed_size 0
		.amdhsa_private_segment_fixed_size 144
		.amdhsa_kernarg_size 464
		.amdhsa_user_sgpr_count 2
		.amdhsa_user_sgpr_dispatch_ptr 0
		.amdhsa_user_sgpr_queue_ptr 0
		.amdhsa_user_sgpr_kernarg_segment_ptr 1
		.amdhsa_user_sgpr_dispatch_id 0
		.amdhsa_user_sgpr_kernarg_preload_length 0
		.amdhsa_user_sgpr_kernarg_preload_offset 0
		.amdhsa_user_sgpr_private_segment_size 0
		.amdhsa_uses_dynamic_stack 0
		.amdhsa_enable_private_segment 1
		.amdhsa_system_sgpr_workgroup_id_x 1
		.amdhsa_system_sgpr_workgroup_id_y 0
		.amdhsa_system_sgpr_workgroup_id_z 0
		.amdhsa_system_sgpr_workgroup_info 0
		.amdhsa_system_vgpr_workitem_id 1
		.amdhsa_next_free_vgpr 256
		.amdhsa_next_free_sgpr 100
		.amdhsa_accum_offset 256
		.amdhsa_reserve_vcc 1
		.amdhsa_float_round_mode_32 0
		.amdhsa_float_round_mode_16_64 0
		.amdhsa_float_denorm_mode_32 3
		.amdhsa_float_denorm_mode_16_64 3
		.amdhsa_dx10_clamp 1
		.amdhsa_ieee_mode 1
		.amdhsa_fp16_overflow 0
		.amdhsa_tg_split 0
		.amdhsa_exception_fp_ieee_invalid_op 0
		.amdhsa_exception_fp_denorm_src 0
		.amdhsa_exception_fp_ieee_div_zero 0
		.amdhsa_exception_fp_ieee_overflow 0
		.amdhsa_exception_fp_ieee_underflow 0
		.amdhsa_exception_fp_ieee_inexact 0
		.amdhsa_exception_int_div_zero 0
	.end_amdhsa_kernel
	.section	.text._ZL18flash_attn_ext_f16ILi256ELi256ELi64ELi1ELb1ELb0EEvPKcS1_S1_S1_S1_PKiPfP15HIP_vector_typeIfLj2EEffffjfiS5_IjLj3EEiiiiiiiiiiiliiliiiiil,"axG",@progbits,_ZL18flash_attn_ext_f16ILi256ELi256ELi64ELi1ELb1ELb0EEvPKcS1_S1_S1_S1_PKiPfP15HIP_vector_typeIfLj2EEffffjfiS5_IjLj3EEiiiiiiiiiiiliiliiiiil,comdat
.Lfunc_end30:
	.size	_ZL18flash_attn_ext_f16ILi256ELi256ELi64ELi1ELb1ELb0EEvPKcS1_S1_S1_S1_PKiPfP15HIP_vector_typeIfLj2EEffffjfiS5_IjLj3EEiiiiiiiiiiiliiliiiiil, .Lfunc_end30-_ZL18flash_attn_ext_f16ILi256ELi256ELi64ELi1ELb1ELb0EEvPKcS1_S1_S1_S1_PKiPfP15HIP_vector_typeIfLj2EEffffjfiS5_IjLj3EEiiiiiiiiiiiliiliiiiil
                                        ; -- End function
	.set _ZL18flash_attn_ext_f16ILi256ELi256ELi64ELi1ELb1ELb0EEvPKcS1_S1_S1_S1_PKiPfP15HIP_vector_typeIfLj2EEffffjfiS5_IjLj3EEiiiiiiiiiiiliiliiiiil.num_vgpr, 256
	.set _ZL18flash_attn_ext_f16ILi256ELi256ELi64ELi1ELb1ELb0EEvPKcS1_S1_S1_S1_PKiPfP15HIP_vector_typeIfLj2EEffffjfiS5_IjLj3EEiiiiiiiiiiiliiliiiiil.num_agpr, 0
	.set _ZL18flash_attn_ext_f16ILi256ELi256ELi64ELi1ELb1ELb0EEvPKcS1_S1_S1_S1_PKiPfP15HIP_vector_typeIfLj2EEffffjfiS5_IjLj3EEiiiiiiiiiiiliiliiiiil.numbered_sgpr, 100
	.set _ZL18flash_attn_ext_f16ILi256ELi256ELi64ELi1ELb1ELb0EEvPKcS1_S1_S1_S1_PKiPfP15HIP_vector_typeIfLj2EEffffjfiS5_IjLj3EEiiiiiiiiiiiliiliiiiil.num_named_barrier, 0
	.set _ZL18flash_attn_ext_f16ILi256ELi256ELi64ELi1ELb1ELb0EEvPKcS1_S1_S1_S1_PKiPfP15HIP_vector_typeIfLj2EEffffjfiS5_IjLj3EEiiiiiiiiiiiliiliiiiil.private_seg_size, 144
	.set _ZL18flash_attn_ext_f16ILi256ELi256ELi64ELi1ELb1ELb0EEvPKcS1_S1_S1_S1_PKiPfP15HIP_vector_typeIfLj2EEffffjfiS5_IjLj3EEiiiiiiiiiiiliiliiiiil.uses_vcc, 1
	.set _ZL18flash_attn_ext_f16ILi256ELi256ELi64ELi1ELb1ELb0EEvPKcS1_S1_S1_S1_PKiPfP15HIP_vector_typeIfLj2EEffffjfiS5_IjLj3EEiiiiiiiiiiiliiliiiiil.uses_flat_scratch, 0
	.set _ZL18flash_attn_ext_f16ILi256ELi256ELi64ELi1ELb1ELb0EEvPKcS1_S1_S1_S1_PKiPfP15HIP_vector_typeIfLj2EEffffjfiS5_IjLj3EEiiiiiiiiiiiliiliiiiil.has_dyn_sized_stack, 0
	.set _ZL18flash_attn_ext_f16ILi256ELi256ELi64ELi1ELb1ELb0EEvPKcS1_S1_S1_S1_PKiPfP15HIP_vector_typeIfLj2EEffffjfiS5_IjLj3EEiiiiiiiiiiiliiliiiiil.has_recursion, 0
	.set _ZL18flash_attn_ext_f16ILi256ELi256ELi64ELi1ELb1ELb0EEvPKcS1_S1_S1_S1_PKiPfP15HIP_vector_typeIfLj2EEffffjfiS5_IjLj3EEiiiiiiiiiiiliiliiiiil.has_indirect_call, 0
	.section	.AMDGPU.csdata,"",@progbits
; Kernel info:
; codeLenInByte = 88548
; TotalNumSgprs: 106
; NumVgprs: 256
; NumAgprs: 0
; TotalNumVgprs: 256
; ScratchSize: 144
; MemoryBound: 0
; FloatMode: 240
; IeeeMode: 1
; LDSByteSize: 0 bytes/workgroup (compile time only)
; SGPRBlocks: 13
; VGPRBlocks: 31
; NumSGPRsForWavesPerEU: 106
; NumVGPRsForWavesPerEU: 256
; AccumOffset: 256
; Occupancy: 2
; WaveLimiterHint : 1
; COMPUTE_PGM_RSRC2:SCRATCH_EN: 1
; COMPUTE_PGM_RSRC2:USER_SGPR: 2
; COMPUTE_PGM_RSRC2:TRAP_HANDLER: 0
; COMPUTE_PGM_RSRC2:TGID_X_EN: 1
; COMPUTE_PGM_RSRC2:TGID_Y_EN: 0
; COMPUTE_PGM_RSRC2:TGID_Z_EN: 0
; COMPUTE_PGM_RSRC2:TIDIG_COMP_CNT: 1
; COMPUTE_PGM_RSRC3_GFX90A:ACCUM_OFFSET: 63
; COMPUTE_PGM_RSRC3_GFX90A:TG_SPLIT: 0
	.section	.text._ZL33flash_attn_stream_k_fixup_uniformILi256ELi64ELi1EEvPfPK15HIP_vector_typeIfLj2EEiiiiiiS1_IjLj3EES5_S5_,"axG",@progbits,_ZL33flash_attn_stream_k_fixup_uniformILi256ELi64ELi1EEvPfPK15HIP_vector_typeIfLj2EEiiiiiiS1_IjLj3EES5_S5_,comdat
	.globl	_ZL33flash_attn_stream_k_fixup_uniformILi256ELi64ELi1EEvPfPK15HIP_vector_typeIfLj2EEiiiiiiS1_IjLj3EES5_S5_ ; -- Begin function _ZL33flash_attn_stream_k_fixup_uniformILi256ELi64ELi1EEvPfPK15HIP_vector_typeIfLj2EEiiiiiiS1_IjLj3EES5_S5_
	.p2align	8
	.type	_ZL33flash_attn_stream_k_fixup_uniformILi256ELi64ELi1EEvPfPK15HIP_vector_typeIfLj2EEiiiiiiS1_IjLj3EES5_S5_,@function
_ZL33flash_attn_stream_k_fixup_uniformILi256ELi64ELi1EEvPfPK15HIP_vector_typeIfLj2EEiiiiiiS1_IjLj3EES5_S5_: ; @_ZL33flash_attn_stream_k_fixup_uniformILi256ELi64ELi1EEvPfPK15HIP_vector_typeIfLj2EEiiiiiiS1_IjLj3EES5_S5_
; %bb.0:
	s_load_dwordx8 s[8:15], s[0:1], 0x1c
	s_load_dwordx2 s[6:7], s[0:1], 0x10
	s_load_dwordx4 s[20:23], s[0:1], 0x3c
	s_waitcnt lgkmcnt(0)
	s_mul_hi_u32 s5, s11, s2
	s_add_i32 s5, s2, s5
	s_lshr_b32 s5, s5, s12
	s_mul_i32 s11, s5, s13
	s_sub_i32 s11, s2, s11
	s_mul_hi_u32 s12, s11, s14
	s_add_i32 s12, s11, s12
	s_lshr_b32 s16, s12, s15
	s_mul_i32 s12, s16, s20
	s_sub_i32 s12, s11, s12
	;; [unrolled: 5-line block ×3, first 2 shown]
	s_lshl_b32 s12, s17, 6
	s_add_i32 s12, s12, s3
	s_cmp_lt_i32 s12, s6
	s_cselect_b64 s[12:13], -1, 0
	s_add_i32 s14, s11, s4
	s_cmp_lt_i32 s14, s9
	s_cselect_b64 s[14:15], -1, 0
	s_and_b64 s[12:13], s[12:13], s[14:15]
	s_andn2_b64 vcc, exec, s[12:13]
	s_cbranch_vccnz .LBB31_6
; %bb.1:
	s_load_dwordx4 s[12:15], s[0:1], 0x0
	s_mul_i32 s0, s5, s6
	s_add_i32 s0, s0, s3
	s_mul_i32 s0, s0, s7
	s_mul_i32 s16, s16, s9
	s_add_i32 s0, s0, s4
	s_add_i32 s0, s0, s16
	s_mul_i32 s1, s7, s17
	s_add_i32 s0, s0, s11
	s_lshl_b32 s1, s1, 14
	s_lshl_b32 s0, s0, 8
	s_add_i32 s1, s1, s0
	v_or_b32_e32 v4, s1, v0
	s_waitcnt lgkmcnt(0)
	v_mov_b32_e32 v2, s12
	v_mov_b32_e32 v3, s13
	v_ashrrev_i32_e32 v5, 31, v4
	v_lshl_add_u64 v[2:3], v[4:5], 2, v[2:3]
	global_load_dword v5, v[2:3], off
	s_mul_i32 s6, s10, s2
	s_add_i32 s7, s6, s10
	s_add_i32 s3, s3, s4
	s_lshl_b32 s0, s7, 6
	s_add_i32 s0, s3, s0
	s_sub_i32 s0, s0, 64
	s_ashr_i32 s1, s0, 31
	s_lshl_b64 s[0:1], s[0:1], 3
	s_add_u32 s0, s14, s0
	s_addc_u32 s1, s15, s1
	s_load_dword s9, s[0:1], 0x4
	s_add_i32 s4, s7, -2
	s_cmp_lt_i32 s4, s6
	s_cbranch_scc1 .LBB31_4
; %bb.2:
	s_lshl_b32 s4, s8, 8
	s_ashr_i32 s5, s4, 31
	s_lshl_b64 s[4:5], s[4:5], 2
	s_add_u32 s4, s14, s4
	s_addc_u32 s5, s15, s5
	s_add_i32 s2, s2, 1
	s_mul_i32 s2, s10, s2
	s_load_dword s0, s[0:1], 0x0
	s_lshl_b32 s1, s3, 8
	s_lshl_b32 s10, s2, 14
	s_add_i32 s1, s1, s10
	v_or_b32_e32 v0, s1, v0
	s_lshl_b32 s1, s2, 6
	s_add_i32 s1, s3, s1
	s_lshl_b32 s2, s8, 6
	s_add_i32 s1, s1, s2
	s_add_i32 s7, s7, -1
	v_add_u32_e32 v0, 0xffff8000, v0
	s_add_i32 s2, s1, 0xffffff80
	s_waitcnt lgkmcnt(0)
	v_mov_b32_e32 v7, s0
	v_mov_b32_e32 v4, s9
	s_mov_b32 s8, 0x3fb8aa3b
	s_mov_b32 s9, 0xc2ce8ed0
	;; [unrolled: 1-line block ×3, first 2 shown]
	v_mov_b32_e32 v6, 0x7f800000
	s_mov_b32 s11, 0xc1a00000
.LBB31_3:                               ; =>This Inner Loop Header: Depth=1
	v_ashrrev_i32_e32 v1, 31, v0
	v_lshl_add_u64 v[8:9], v[0:1], 2, s[4:5]
	global_load_dword v9, v[8:9], off
	s_ashr_i32 s3, s2, 31
	s_lshl_b64 s[0:1], s[2:3], 3
	s_add_u32 s0, s14, s0
	s_addc_u32 s1, s15, s1
	s_load_dwordx2 s[0:1], s[0:1], 0x0
	v_max_f32_e32 v1, v7, v7
	s_add_i32 s7, s7, -1
	s_sub_i32 s2, s2, 64
	v_add_u32_e32 v0, 0xffffc000, v0
	s_waitcnt lgkmcnt(0)
	v_max_f32_e64 v10, s0, s0
	v_max_f32_e32 v1, v1, v10
	v_sub_f32_e32 v11, s0, v1
	v_sub_f32_e32 v10, v7, v1
	v_mul_f32_e32 v12, 0x3fb8aa3b, v11
	v_mov_b32_e32 v7, v1
	v_mul_f32_e32 v1, 0x3fb8aa3b, v10
	v_fma_f32 v15, v11, s8, -v12
	v_rndne_f32_e32 v16, v12
	v_fma_f32 v13, v10, s8, -v1
	v_rndne_f32_e32 v14, v1
	v_fmac_f32_e32 v15, 0x32a5705f, v11
	v_sub_f32_e32 v12, v12, v16
	v_fmac_f32_e32 v13, 0x32a5705f, v10
	v_sub_f32_e32 v1, v1, v14
	v_add_f32_e32 v12, v12, v15
	v_cvt_i32_f32_e32 v16, v16
	v_add_f32_e32 v1, v1, v13
	v_exp_f32_e32 v12, v12
	v_cvt_i32_f32_e32 v14, v14
	v_exp_f32_e32 v1, v1
	v_cmp_ngt_f32_e32 vcc, s9, v11
	v_ldexp_f32 v12, v12, v16
	v_mov_b32_e32 v8, s1
	v_ldexp_f32 v1, v1, v14
	v_cmp_ngt_f32_e64 s[0:1], s9, v10
	v_cndmask_b32_e32 v12, 0, v12, vcc
	v_cmp_nlt_f32_e32 vcc, s10, v11
	v_cndmask_b32_e64 v1, 0, v1, s[0:1]
	v_cmp_nlt_f32_e64 s[0:1], s10, v10
	v_cndmask_b32_e32 v12, v6, v12, vcc
	v_cmp_le_f32_e32 vcc, s11, v11
	v_cndmask_b32_e64 v1, v6, v1, s[0:1]
	v_cmp_le_f32_e64 s[0:1], s11, v10
	v_cndmask_b32_e32 v12, 0, v12, vcc
	s_cmp_le_i32 s7, s6
	v_cndmask_b32_e64 v10, 0, v1, s[0:1]
	s_waitcnt vmcnt(0)
	v_pk_mul_f32 v[8:9], v[8:9], v[12:13] op_sel_hi:[1,0]
	s_nop 0
	v_pk_fma_f32 v[4:5], v[4:5], v[10:11], v[8:9] op_sel_hi:[1,0,1]
	s_cbranch_scc0 .LBB31_3
	s_branch .LBB31_5
.LBB31_4:
	s_waitcnt lgkmcnt(0)
	v_mov_b32_e32 v4, s9
.LBB31_5:
	s_waitcnt vmcnt(0)
	v_div_scale_f32 v0, s[0:1], v4, v4, v5
	v_rcp_f32_e32 v1, v0
	v_div_scale_f32 v6, vcc, v5, v4, v5
	v_fma_f32 v7, -v0, v1, 1.0
	v_fmac_f32_e32 v1, v7, v1
	v_mul_f32_e32 v7, v6, v1
	v_fma_f32 v8, -v0, v7, v6
	v_fmac_f32_e32 v7, v8, v1
	v_fma_f32 v0, -v0, v7, v6
	v_div_fmas_f32 v0, v0, v1, v7
	v_div_fixup_f32 v0, v0, v4, v5
	global_store_dword v[2:3], v0, off
.LBB31_6:
	s_endpgm
	.section	.rodata,"a",@progbits
	.p2align	6, 0x0
	.amdhsa_kernel _ZL33flash_attn_stream_k_fixup_uniformILi256ELi64ELi1EEvPfPK15HIP_vector_typeIfLj2EEiiiiiiS1_IjLj3EES5_S5_
		.amdhsa_group_segment_fixed_size 0
		.amdhsa_private_segment_fixed_size 0
		.amdhsa_kernarg_size 76
		.amdhsa_user_sgpr_count 2
		.amdhsa_user_sgpr_dispatch_ptr 0
		.amdhsa_user_sgpr_queue_ptr 0
		.amdhsa_user_sgpr_kernarg_segment_ptr 1
		.amdhsa_user_sgpr_dispatch_id 0
		.amdhsa_user_sgpr_kernarg_preload_length 0
		.amdhsa_user_sgpr_kernarg_preload_offset 0
		.amdhsa_user_sgpr_private_segment_size 0
		.amdhsa_uses_dynamic_stack 0
		.amdhsa_enable_private_segment 0
		.amdhsa_system_sgpr_workgroup_id_x 1
		.amdhsa_system_sgpr_workgroup_id_y 1
		.amdhsa_system_sgpr_workgroup_id_z 1
		.amdhsa_system_sgpr_workgroup_info 0
		.amdhsa_system_vgpr_workitem_id 0
		.amdhsa_next_free_vgpr 17
		.amdhsa_next_free_sgpr 24
		.amdhsa_accum_offset 20
		.amdhsa_reserve_vcc 1
		.amdhsa_float_round_mode_32 0
		.amdhsa_float_round_mode_16_64 0
		.amdhsa_float_denorm_mode_32 3
		.amdhsa_float_denorm_mode_16_64 3
		.amdhsa_dx10_clamp 1
		.amdhsa_ieee_mode 1
		.amdhsa_fp16_overflow 0
		.amdhsa_tg_split 0
		.amdhsa_exception_fp_ieee_invalid_op 0
		.amdhsa_exception_fp_denorm_src 0
		.amdhsa_exception_fp_ieee_div_zero 0
		.amdhsa_exception_fp_ieee_overflow 0
		.amdhsa_exception_fp_ieee_underflow 0
		.amdhsa_exception_fp_ieee_inexact 0
		.amdhsa_exception_int_div_zero 0
	.end_amdhsa_kernel
	.section	.text._ZL33flash_attn_stream_k_fixup_uniformILi256ELi64ELi1EEvPfPK15HIP_vector_typeIfLj2EEiiiiiiS1_IjLj3EES5_S5_,"axG",@progbits,_ZL33flash_attn_stream_k_fixup_uniformILi256ELi64ELi1EEvPfPK15HIP_vector_typeIfLj2EEiiiiiiS1_IjLj3EES5_S5_,comdat
.Lfunc_end31:
	.size	_ZL33flash_attn_stream_k_fixup_uniformILi256ELi64ELi1EEvPfPK15HIP_vector_typeIfLj2EEiiiiiiS1_IjLj3EES5_S5_, .Lfunc_end31-_ZL33flash_attn_stream_k_fixup_uniformILi256ELi64ELi1EEvPfPK15HIP_vector_typeIfLj2EEiiiiiiS1_IjLj3EES5_S5_
                                        ; -- End function
	.set _ZL33flash_attn_stream_k_fixup_uniformILi256ELi64ELi1EEvPfPK15HIP_vector_typeIfLj2EEiiiiiiS1_IjLj3EES5_S5_.num_vgpr, 17
	.set _ZL33flash_attn_stream_k_fixup_uniformILi256ELi64ELi1EEvPfPK15HIP_vector_typeIfLj2EEiiiiiiS1_IjLj3EES5_S5_.num_agpr, 0
	.set _ZL33flash_attn_stream_k_fixup_uniformILi256ELi64ELi1EEvPfPK15HIP_vector_typeIfLj2EEiiiiiiS1_IjLj3EES5_S5_.numbered_sgpr, 24
	.set _ZL33flash_attn_stream_k_fixup_uniformILi256ELi64ELi1EEvPfPK15HIP_vector_typeIfLj2EEiiiiiiS1_IjLj3EES5_S5_.num_named_barrier, 0
	.set _ZL33flash_attn_stream_k_fixup_uniformILi256ELi64ELi1EEvPfPK15HIP_vector_typeIfLj2EEiiiiiiS1_IjLj3EES5_S5_.private_seg_size, 0
	.set _ZL33flash_attn_stream_k_fixup_uniformILi256ELi64ELi1EEvPfPK15HIP_vector_typeIfLj2EEiiiiiiS1_IjLj3EES5_S5_.uses_vcc, 1
	.set _ZL33flash_attn_stream_k_fixup_uniformILi256ELi64ELi1EEvPfPK15HIP_vector_typeIfLj2EEiiiiiiS1_IjLj3EES5_S5_.uses_flat_scratch, 0
	.set _ZL33flash_attn_stream_k_fixup_uniformILi256ELi64ELi1EEvPfPK15HIP_vector_typeIfLj2EEiiiiiiS1_IjLj3EES5_S5_.has_dyn_sized_stack, 0
	.set _ZL33flash_attn_stream_k_fixup_uniformILi256ELi64ELi1EEvPfPK15HIP_vector_typeIfLj2EEiiiiiiS1_IjLj3EES5_S5_.has_recursion, 0
	.set _ZL33flash_attn_stream_k_fixup_uniformILi256ELi64ELi1EEvPfPK15HIP_vector_typeIfLj2EEiiiiiiS1_IjLj3EES5_S5_.has_indirect_call, 0
	.section	.AMDGPU.csdata,"",@progbits
; Kernel info:
; codeLenInByte = 820
; TotalNumSgprs: 30
; NumVgprs: 17
; NumAgprs: 0
; TotalNumVgprs: 17
; ScratchSize: 0
; MemoryBound: 0
; FloatMode: 240
; IeeeMode: 1
; LDSByteSize: 0 bytes/workgroup (compile time only)
; SGPRBlocks: 3
; VGPRBlocks: 2
; NumSGPRsForWavesPerEU: 30
; NumVGPRsForWavesPerEU: 17
; AccumOffset: 20
; Occupancy: 8
; WaveLimiterHint : 0
; COMPUTE_PGM_RSRC2:SCRATCH_EN: 0
; COMPUTE_PGM_RSRC2:USER_SGPR: 2
; COMPUTE_PGM_RSRC2:TRAP_HANDLER: 0
; COMPUTE_PGM_RSRC2:TGID_X_EN: 1
; COMPUTE_PGM_RSRC2:TGID_Y_EN: 1
; COMPUTE_PGM_RSRC2:TGID_Z_EN: 1
; COMPUTE_PGM_RSRC2:TIDIG_COMP_CNT: 0
; COMPUTE_PGM_RSRC3_GFX90A:ACCUM_OFFSET: 4
; COMPUTE_PGM_RSRC3_GFX90A:TG_SPLIT: 0
	.section	.text._ZL33flash_attn_stream_k_fixup_generalILi256ELi64ELi1EEvPfPK15HIP_vector_typeIfLj2EEiiiiS1_IjLj3EES5_S5_S5_,"axG",@progbits,_ZL33flash_attn_stream_k_fixup_generalILi256ELi64ELi1EEvPfPK15HIP_vector_typeIfLj2EEiiiiS1_IjLj3EES5_S5_S5_,comdat
	.globl	_ZL33flash_attn_stream_k_fixup_generalILi256ELi64ELi1EEvPfPK15HIP_vector_typeIfLj2EEiiiiS1_IjLj3EES5_S5_S5_ ; -- Begin function _ZL33flash_attn_stream_k_fixup_generalILi256ELi64ELi1EEvPfPK15HIP_vector_typeIfLj2EEiiiiS1_IjLj3EES5_S5_S5_
	.p2align	8
	.type	_ZL33flash_attn_stream_k_fixup_generalILi256ELi64ELi1EEvPfPK15HIP_vector_typeIfLj2EEiiiiS1_IjLj3EES5_S5_S5_,@function
_ZL33flash_attn_stream_k_fixup_generalILi256ELi64ELi1EEvPfPK15HIP_vector_typeIfLj2EEiiiiS1_IjLj3EES5_S5_S5_: ; @_ZL33flash_attn_stream_k_fixup_generalILi256ELi64ELi1EEvPfPK15HIP_vector_typeIfLj2EEiiiiS1_IjLj3EES5_S5_S5_
; %bb.0:
	s_load_dwordx4 s[8:11], s[0:1], 0x10
	s_load_dword s22, s[0:1], 0x50
	s_mov_b32 s12, 0
	s_waitcnt lgkmcnt(0)
	s_mul_hi_i32 s13, s11, s2
	s_cmp_lg_u64 s[12:13], 0
	s_mul_i32 s5, s11, s2
	s_cbranch_scc0 .LBB32_20
; %bb.1:
	s_add_u32 s6, s22, 0
	s_addc_u32 s7, 0, 0
	s_xor_b64 s[6:7], s[6:7], 0
	v_cvt_f32_u32_e32 v1, s6
	v_cvt_f32_u32_e32 v2, s7
	s_sub_u32 s12, 0, s6
	s_subb_u32 s18, 0, s7
	v_fmamk_f32 v1, v2, 0x4f800000, v1
	v_rcp_f32_e32 v1, v1
	s_nop 0
	v_mul_f32_e32 v1, 0x5f7ffffc, v1
	v_mul_f32_e32 v2, 0x2f800000, v1
	v_trunc_f32_e32 v2, v2
	v_fmamk_f32 v1, v2, 0xcf800000, v1
	v_cvt_u32_f32_e32 v2, v2
	v_cvt_u32_f32_e32 v1, v1
	v_readfirstlane_b32 s19, v2
	v_readfirstlane_b32 s14, v1
	s_mul_i32 s15, s12, s19
	s_mul_hi_u32 s21, s12, s14
	s_mul_i32 s20, s18, s14
	s_add_i32 s15, s21, s15
	s_add_i32 s15, s15, s20
	s_mul_i32 s23, s12, s14
	s_mul_i32 s21, s14, s15
	s_mul_hi_u32 s24, s14, s23
	s_mul_hi_u32 s20, s14, s15
	s_add_u32 s21, s24, s21
	s_addc_u32 s20, 0, s20
	s_mul_hi_u32 s25, s19, s23
	s_mul_i32 s23, s19, s23
	s_add_u32 s21, s21, s23
	s_mul_hi_u32 s24, s19, s15
	s_addc_u32 s20, s20, s25
	s_addc_u32 s21, s24, 0
	s_mul_i32 s15, s19, s15
	s_add_u32 s15, s20, s15
	s_addc_u32 s20, 0, s21
	s_add_u32 s21, s14, s15
	s_cselect_b64 s[14:15], -1, 0
	s_cmp_lg_u64 s[14:15], 0
	s_addc_u32 s19, s19, s20
	s_mul_i32 s14, s12, s19
	s_mul_hi_u32 s15, s12, s21
	s_add_i32 s14, s15, s14
	s_mul_i32 s18, s18, s21
	s_add_i32 s14, s14, s18
	s_mul_i32 s12, s12, s21
	s_mul_hi_u32 s18, s19, s12
	s_mul_i32 s20, s19, s12
	s_mul_i32 s24, s21, s14
	s_mul_hi_u32 s12, s21, s12
	s_mul_hi_u32 s23, s21, s14
	s_add_u32 s12, s12, s24
	s_addc_u32 s23, 0, s23
	s_add_u32 s12, s12, s20
	s_mul_hi_u32 s15, s19, s14
	s_addc_u32 s12, s23, s18
	s_addc_u32 s15, s15, 0
	s_mul_i32 s14, s19, s14
	s_add_u32 s12, s12, s14
	s_addc_u32 s18, 0, s15
	s_add_u32 s20, s21, s12
	s_cselect_b64 s[14:15], -1, 0
	s_cmp_lg_u64 s[14:15], 0
	s_addc_u32 s18, s19, s18
	s_ashr_i32 s14, s13, 31
	s_add_u32 s12, s5, s14
	s_mov_b32 s15, s14
	s_addc_u32 s13, s13, s14
	s_xor_b64 s[12:13], s[12:13], s[14:15]
	s_mul_i32 s21, s12, s18
	s_mul_hi_u32 s23, s12, s20
	s_mul_hi_u32 s19, s12, s18
	s_add_u32 s21, s23, s21
	s_addc_u32 s19, 0, s19
	s_mul_hi_u32 s24, s13, s20
	s_mul_i32 s20, s13, s20
	s_add_u32 s20, s21, s20
	s_mul_hi_u32 s23, s13, s18
	s_addc_u32 s19, s19, s24
	s_addc_u32 s20, s23, 0
	s_mul_i32 s18, s13, s18
	s_add_u32 s23, s19, s18
	s_addc_u32 s24, 0, s20
	s_mul_i32 s18, s6, s24
	s_mul_hi_u32 s19, s6, s23
	s_add_i32 s18, s19, s18
	s_mul_i32 s19, s7, s23
	s_add_i32 s25, s18, s19
	s_sub_i32 s20, s13, s25
	s_mul_i32 s18, s6, s23
	s_sub_u32 s12, s12, s18
	s_cselect_b64 s[18:19], -1, 0
	s_cmp_lg_u64 s[18:19], 0
	s_subb_u32 s26, s20, s7
	s_sub_u32 s27, s12, s6
	s_cselect_b64 s[20:21], -1, 0
	s_cmp_lg_u64 s[20:21], 0
	s_subb_u32 s20, s26, 0
	s_cmp_ge_u32 s20, s7
	s_cselect_b32 s21, -1, 0
	s_cmp_ge_u32 s27, s6
	s_cselect_b32 s26, -1, 0
	s_cmp_eq_u32 s20, s7
	s_cselect_b32 s20, s26, s21
	s_add_u32 s21, s23, 1
	s_addc_u32 s26, s24, 0
	s_add_u32 s27, s23, 2
	s_addc_u32 s28, s24, 0
	s_cmp_lg_u32 s20, 0
	s_cselect_b32 s20, s27, s21
	s_cselect_b32 s21, s28, s26
	s_cmp_lg_u64 s[18:19], 0
	s_subb_u32 s13, s13, s25
	s_cmp_ge_u32 s13, s7
	s_cselect_b32 s18, -1, 0
	s_cmp_ge_u32 s12, s6
	s_cselect_b32 s6, -1, 0
	s_cmp_eq_u32 s13, s7
	s_cselect_b32 s6, s6, s18
	s_cmp_lg_u32 s6, 0
	s_cselect_b32 s7, s21, s24
	s_cselect_b32 s6, s20, s23
	s_xor_b64 s[12:13], s[14:15], 0
	s_xor_b64 s[6:7], s[6:7], s[12:13]
	s_sub_u32 s6, s6, s12
	s_load_dwordx4 s[12:15], s[0:1], 0x44
	s_cbranch_execnz .LBB32_3
.LBB32_2:
	v_cvt_f32_u32_e32 v1, s22
	s_sub_i32 s6, 0, s22
	v_rcp_iflag_f32_e32 v1, v1
	s_nop 0
	v_mul_f32_e32 v1, 0x4f7ffffe, v1
	v_cvt_u32_f32_e32 v1, v1
	s_nop 0
	v_readfirstlane_b32 s7, v1
	s_mul_i32 s6, s6, s7
	s_mul_hi_u32 s6, s7, s6
	s_add_i32 s7, s7, s6
	s_mul_hi_u32 s6, s5, s7
	s_waitcnt lgkmcnt(0)
	s_mul_i32 s15, s6, s22
	s_sub_i32 s5, s5, s15
	s_add_i32 s7, s6, 1
	s_sub_i32 s15, s5, s22
	s_cmp_ge_u32 s5, s22
	s_cselect_b32 s6, s7, s6
	s_cselect_b32 s5, s15, s5
	s_add_i32 s7, s6, 1
	s_cmp_ge_u32 s5, s22
	s_cselect_b32 s6, s7, s6
.LBB32_3:
	s_add_i32 s5, s2, 1
	s_mul_hi_i32 s21, s11, s5
	s_mov_b32 s20, 0
	s_cmp_lg_u64 s[20:21], 0
	s_mul_i32 s5, s11, s5
	s_cbranch_scc0 .LBB32_21
; %bb.4:
	s_add_u32 s16, s22, 0
	s_addc_u32 s17, 0, 0
	s_xor_b64 s[18:19], s[16:17], 0
	v_cvt_f32_u32_e32 v1, s18
	v_cvt_f32_u32_e32 v2, s19
	s_sub_u32 s7, 0, s18
	s_waitcnt lgkmcnt(0)
	s_subb_u32 s15, 0, s19
	v_fmamk_f32 v1, v2, 0x4f800000, v1
	v_rcp_f32_e32 v1, v1
	s_nop 0
	v_mul_f32_e32 v1, 0x5f7ffffc, v1
	v_mul_f32_e32 v2, 0x2f800000, v1
	v_trunc_f32_e32 v2, v2
	v_fmamk_f32 v1, v2, 0xcf800000, v1
	v_cvt_u32_f32_e32 v2, v2
	v_cvt_u32_f32_e32 v1, v1
	v_readfirstlane_b32 s20, v2
	v_readfirstlane_b32 s23, v1
	s_mul_i32 s24, s7, s20
	s_mul_hi_u32 s26, s7, s23
	s_mul_i32 s25, s15, s23
	s_add_i32 s24, s26, s24
	s_add_i32 s24, s24, s25
	s_mul_i32 s27, s7, s23
	s_mul_i32 s26, s23, s24
	s_mul_hi_u32 s28, s23, s27
	s_mul_hi_u32 s25, s23, s24
	s_add_u32 s26, s28, s26
	s_addc_u32 s25, 0, s25
	s_mul_hi_u32 s29, s20, s27
	s_mul_i32 s27, s20, s27
	s_add_u32 s26, s26, s27
	s_mul_hi_u32 s28, s20, s24
	s_addc_u32 s25, s25, s29
	s_addc_u32 s26, s28, 0
	s_mul_i32 s24, s20, s24
	s_add_u32 s24, s25, s24
	s_addc_u32 s26, 0, s26
	s_add_u32 s23, s23, s24
	s_cselect_b64 s[24:25], -1, 0
	s_cmp_lg_u64 s[24:25], 0
	s_addc_u32 s20, s20, s26
	s_mul_i32 s24, s7, s20
	s_mul_hi_u32 s25, s7, s23
	s_add_i32 s24, s25, s24
	s_mul_i32 s15, s15, s23
	s_add_i32 s24, s24, s15
	s_mul_i32 s7, s7, s23
	s_mul_hi_u32 s25, s20, s7
	s_mul_i32 s26, s20, s7
	s_mul_i32 s28, s23, s24
	s_mul_hi_u32 s7, s23, s7
	s_mul_hi_u32 s27, s23, s24
	s_add_u32 s7, s7, s28
	s_addc_u32 s27, 0, s27
	s_add_u32 s7, s7, s26
	s_mul_hi_u32 s15, s20, s24
	s_addc_u32 s7, s27, s25
	s_addc_u32 s15, s15, 0
	s_mul_i32 s24, s20, s24
	s_add_u32 s7, s7, s24
	s_addc_u32 s15, 0, s15
	s_add_u32 s7, s23, s7
	s_cselect_b64 s[24:25], -1, 0
	s_cmp_lg_u64 s[24:25], 0
	s_addc_u32 s15, s20, s15
	s_ashr_i32 s24, s21, 31
	s_add_u32 s20, s5, s24
	s_mov_b32 s25, s24
	s_addc_u32 s21, s21, s24
	s_xor_b64 s[20:21], s[20:21], s[24:25]
	s_mul_i32 s26, s20, s15
	s_mul_hi_u32 s27, s20, s7
	s_mul_hi_u32 s23, s20, s15
	s_add_u32 s26, s27, s26
	s_addc_u32 s23, 0, s23
	s_mul_hi_u32 s28, s21, s7
	s_mul_i32 s7, s21, s7
	s_add_u32 s7, s26, s7
	s_mul_hi_u32 s27, s21, s15
	s_addc_u32 s7, s23, s28
	s_addc_u32 s23, s27, 0
	s_mul_i32 s15, s21, s15
	s_add_u32 s7, s7, s15
	s_addc_u32 s15, 0, s23
	s_mul_i32 s23, s18, s15
	s_mul_hi_u32 s26, s18, s7
	s_add_i32 s23, s26, s23
	s_mul_i32 s26, s19, s7
	s_add_i32 s23, s23, s26
	s_sub_i32 s28, s21, s23
	s_mul_i32 s26, s18, s7
	s_sub_u32 s20, s20, s26
	s_cselect_b64 s[26:27], -1, 0
	s_cmp_lg_u64 s[26:27], 0
	s_subb_u32 s30, s28, s19
	s_sub_u32 s31, s20, s18
	s_cselect_b64 s[28:29], -1, 0
	s_cmp_lg_u64 s[28:29], 0
	s_subb_u32 s28, s30, 0
	s_cmp_ge_u32 s28, s19
	s_cselect_b32 s29, -1, 0
	s_cmp_ge_u32 s31, s18
	s_cselect_b32 s30, -1, 0
	s_cmp_eq_u32 s28, s19
	s_cselect_b32 s28, s30, s29
	s_add_u32 s29, s7, 1
	s_addc_u32 s30, s15, 0
	s_add_u32 s31, s7, 2
	s_addc_u32 s33, s15, 0
	s_cmp_lg_u32 s28, 0
	s_cselect_b32 s28, s31, s29
	s_cselect_b32 s29, s33, s30
	s_cmp_lg_u64 s[26:27], 0
	s_subb_u32 s21, s21, s23
	s_cmp_ge_u32 s21, s19
	s_cselect_b32 s23, -1, 0
	s_cmp_ge_u32 s20, s18
	s_cselect_b32 s18, -1, 0
	s_cmp_eq_u32 s21, s19
	s_cselect_b32 s18, s18, s23
	s_cmp_lg_u32 s18, 0
	s_cselect_b32 s19, s29, s15
	s_cselect_b32 s18, s28, s7
	s_xor_b64 s[20:21], s[24:25], 0
	s_xor_b64 s[18:19], s[18:19], s[20:21]
	s_sub_u32 s18, s18, s20
	s_cbranch_execnz .LBB32_6
.LBB32_5:
	v_cvt_f32_u32_e32 v1, s22
	s_sub_i32 s7, 0, s22
	v_rcp_iflag_f32_e32 v1, v1
	s_nop 0
	v_mul_f32_e32 v1, 0x4f7ffffe, v1
	v_cvt_u32_f32_e32 v1, v1
	s_waitcnt lgkmcnt(0)
	v_readfirstlane_b32 s15, v1
	s_mul_i32 s7, s7, s15
	s_mul_hi_u32 s7, s15, s7
	s_add_i32 s15, s15, s7
	s_mul_hi_u32 s7, s5, s15
	s_mul_i32 s16, s7, s22
	s_sub_i32 s5, s5, s16
	s_add_i32 s15, s7, 1
	s_sub_i32 s16, s5, s22
	s_cmp_ge_u32 s5, s22
	s_cselect_b32 s7, s15, s7
	s_cselect_b32 s5, s16, s5
	s_add_i32 s15, s7, 1
	s_cmp_ge_u32 s5, s22
	s_cselect_b32 s18, s15, s7
.LBB32_6:
	s_cmp_eq_u32 s6, s18
	s_waitcnt lgkmcnt(0)
	s_mul_hi_u32 s5, s6, s12
	s_cselect_b64 s[16:17], -1, 0
	s_add_i32 s5, s5, s6
	s_lshr_b32 s7, s5, s13
	s_mul_i32 s5, s7, s14
	s_cmp_eq_u32 s5, s6
	s_mul_hi_u32 s5, s18, s12
	s_cselect_b64 s[20:21], -1, 0
	s_add_i32 s5, s5, s18
	s_lshr_b32 s5, s5, s13
	s_cmp_eq_u32 s7, s5
	s_mul_i32 s5, s5, s14
	s_cselect_b64 s[24:25], -1, 0
	s_cmp_lg_u32 s5, s18
	s_cselect_b64 s[18:19], -1, 0
	s_and_b64 s[18:19], s[24:25], s[18:19]
	s_or_b64 s[16:17], s[16:17], s[20:21]
	s_or_b64 s[16:17], s[16:17], s[18:19]
	s_and_b64 vcc, exec, s[16:17]
	s_cbranch_vccnz .LBB32_23
; %bb.7:
	s_load_dwordx8 s[24:31], s[0:1], 0x20
	s_load_dword s15, s[0:1], 0x40
	s_waitcnt lgkmcnt(0)
	s_mul_hi_u32 s5, s6, s24
	s_add_i32 s5, s5, s6
	s_lshr_b32 s5, s5, s25
	s_mul_i32 s16, s5, s26
	s_sub_i32 s16, s6, s16
	s_mul_hi_u32 s17, s16, s27
	s_add_i32 s17, s16, s17
	s_lshr_b32 s21, s17, s28
	s_mul_i32 s17, s21, s29
	s_sub_i32 s16, s16, s17
	;; [unrolled: 5-line block ×3, first 2 shown]
	s_mul_hi_u32 s16, s15, s12
	s_add_i32 s15, s15, s16
	s_lshr_b32 s23, s15, s13
	s_lshl_b32 s15, s23, 6
	s_add_i32 s15, s15, s3
	s_cmp_lt_i32 s15, s8
	s_cselect_b64 s[16:17], -1, 0
	s_add_i32 s15, s20, s4
	s_cmp_lt_i32 s15, s10
	s_cselect_b64 s[18:19], -1, 0
	s_and_b64 s[16:17], s[16:17], s[18:19]
	s_andn2_b64 vcc, exec, s[16:17]
	s_cbranch_vccnz .LBB32_23
; %bb.8:
	s_load_dwordx4 s[16:19], s[0:1], 0x0
	s_mov_b32 s0, 0
	s_lshl_b32 s24, s22, 8
	s_mov_b32 s25, s0
	s_add_i32 s15, s3, s4
	s_waitcnt lgkmcnt(0)
	v_mov_b32_e32 v2, s16
	v_mov_b32_e32 v3, s17
	s_lshl_b64 s[16:17], s[24:25], 2
	s_add_u32 s16, s18, s16
	s_mul_i32 s1, s5, s8
	s_addc_u32 s17, s19, s17
	s_add_i32 s1, s1, s3
	s_mul_i32 s1, s1, s9
	s_mul_i32 s21, s21, s10
	s_add_i32 s1, s1, s4
	s_add_i32 s1, s1, s21
	s_mul_i32 s5, s9, s23
	s_add_i32 s1, s1, s20
	s_lshl_b32 s5, s5, 14
	s_lshl_b32 s1, s1, 8
	s_add_i32 s5, s5, s1
	v_or_b32_e32 v4, s5, v0
	v_ashrrev_i32_e32 v5, 31, v4
	v_lshl_add_u64 v[2:3], v[4:5], 2, v[2:3]
	global_load_dword v1, v[2:3], off
	v_cvt_f32_u32_e32 v4, s22
	s_lshl_b32 s1, s2, 6
	s_add_i32 s4, s1, s15
	s_ashr_i32 s5, s4, 31
	s_lshl_b64 s[4:5], s[4:5], 3
	v_rcp_iflag_f32_e32 v4, v4
	s_add_u32 s4, s18, s4
	s_addc_u32 s5, s19, s5
	s_load_dwordx2 s[4:5], s[4:5], 0x0
	v_mul_f32_e32 v4, 0x4f7ffffe, v4
	v_cvt_u32_f32_e32 v7, v4
	s_add_i32 s24, s2, -1
	v_lshl_or_b32 v6, s15, 8, v0
	s_waitcnt lgkmcnt(0)
	v_mov_b32_e32 v0, s5
	v_mov_b32_e32 v9, s4
	s_mov_b32 s10, 0x3fb8aa3b
	s_mov_b32 s20, 0xc2ce8ed0
	;; [unrolled: 1-line block ×4, first 2 shown]
	v_mov_b32_e32 v8, 0x7f800000
	s_mul_hi_i32 s1, s24, s11
	s_cmp_lg_u64 s[0:1], 0
	s_mul_i32 s8, s24, s11
	s_cbranch_scc0 .LBB32_19
.LBB32_9:
	s_add_u32 s2, s22, 0
	s_addc_u32 s3, 0, 0
	s_xor_b64 s[2:3], s[2:3], 0
	v_cvt_f32_u32_e32 v4, s2
	v_cvt_f32_u32_e32 v5, s3
	s_sub_u32 s9, 0, s2
	s_subb_u32 s25, 0, s3
	v_fmac_f32_e32 v4, 0x4f800000, v5
	v_rcp_f32_e32 v4, v4
	s_nop 0
	v_mul_f32_e32 v4, 0x5f7ffffc, v4
	v_mul_f32_e32 v5, 0x2f800000, v4
	v_trunc_f32_e32 v5, v5
	v_fmac_f32_e32 v4, 0xcf800000, v5
	v_cvt_u32_f32_e32 v5, v5
	v_cvt_u32_f32_e32 v4, v4
	v_readfirstlane_b32 s26, v5
	v_readfirstlane_b32 s4, v4
	s_mul_i32 s5, s9, s26
	s_mul_hi_u32 s28, s9, s4
	s_mul_i32 s27, s25, s4
	s_add_i32 s5, s28, s5
	s_mul_i32 s29, s9, s4
	s_add_i32 s5, s5, s27
	s_mul_i32 s28, s4, s5
	s_mul_hi_u32 s30, s4, s29
	s_mul_hi_u32 s27, s4, s5
	s_add_u32 s28, s30, s28
	s_addc_u32 s27, 0, s27
	s_mul_hi_u32 s31, s26, s29
	s_mul_i32 s29, s26, s29
	s_add_u32 s28, s28, s29
	s_mul_hi_u32 s30, s26, s5
	s_addc_u32 s27, s27, s31
	s_addc_u32 s28, s30, 0
	s_mul_i32 s5, s26, s5
	s_add_u32 s5, s27, s5
	s_addc_u32 s27, 0, s28
	s_add_u32 s28, s4, s5
	s_cselect_b64 s[4:5], -1, 0
	s_cmp_lg_u64 s[4:5], 0
	s_addc_u32 s26, s26, s27
	s_mul_i32 s4, s9, s26
	s_mul_hi_u32 s5, s9, s28
	s_add_i32 s4, s5, s4
	s_mul_i32 s25, s25, s28
	s_add_i32 s4, s4, s25
	s_mul_i32 s9, s9, s28
	s_mul_hi_u32 s25, s26, s9
	s_mul_i32 s27, s26, s9
	s_mul_i32 s30, s28, s4
	s_mul_hi_u32 s9, s28, s9
	s_mul_hi_u32 s29, s28, s4
	s_add_u32 s9, s9, s30
	s_addc_u32 s29, 0, s29
	s_add_u32 s9, s9, s27
	s_mul_hi_u32 s5, s26, s4
	s_addc_u32 s9, s29, s25
	s_addc_u32 s5, s5, 0
	s_mul_i32 s4, s26, s4
	s_add_u32 s4, s9, s4
	s_addc_u32 s9, 0, s5
	s_add_u32 s25, s28, s4
	s_cselect_b64 s[4:5], -1, 0
	s_cmp_lg_u64 s[4:5], 0
	s_addc_u32 s9, s26, s9
	s_ashr_i32 s4, s1, 31
	s_add_u32 s26, s8, s4
	s_mov_b32 s5, s4
	s_addc_u32 s27, s1, s4
	s_xor_b64 s[26:27], s[26:27], s[4:5]
	s_mul_i32 s28, s26, s9
	s_mul_hi_u32 s29, s26, s25
	s_mul_hi_u32 s1, s26, s9
	s_add_u32 s28, s29, s28
	s_addc_u32 s1, 0, s1
	s_mul_hi_u32 s30, s27, s25
	s_mul_i32 s25, s27, s25
	s_add_u32 s25, s28, s25
	s_mul_hi_u32 s29, s27, s9
	s_addc_u32 s1, s1, s30
	s_addc_u32 s25, s29, 0
	s_mul_i32 s9, s27, s9
	s_add_u32 s1, s1, s9
	s_addc_u32 s9, 0, s25
	s_mul_i32 s25, s2, s9
	s_mul_hi_u32 s28, s2, s1
	s_add_i32 s25, s28, s25
	s_mul_i32 s28, s3, s1
	s_add_i32 s25, s25, s28
	s_sub_i32 s30, s27, s25
	s_mul_i32 s28, s2, s1
	s_sub_u32 s26, s26, s28
	s_cselect_b64 s[28:29], -1, 0
	s_cmp_lg_u64 s[28:29], 0
	s_subb_u32 s33, s30, s3
	s_sub_u32 s34, s26, s2
	s_cselect_b64 s[30:31], -1, 0
	s_cmp_lg_u64 s[30:31], 0
	s_subb_u32 s30, s33, 0
	s_cmp_ge_u32 s30, s3
	s_cselect_b32 s31, -1, 0
	s_cmp_ge_u32 s34, s2
	s_cselect_b32 s33, -1, 0
	s_cmp_eq_u32 s30, s3
	s_cselect_b32 s30, s33, s31
	s_add_u32 s31, s1, 1
	s_addc_u32 s33, s9, 0
	s_add_u32 s34, s1, 2
	s_addc_u32 s35, s9, 0
	s_cmp_lg_u32 s30, 0
	s_cselect_b32 s30, s34, s31
	s_cselect_b32 s31, s35, s33
	s_cmp_lg_u64 s[28:29], 0
	s_subb_u32 s25, s27, s25
	s_cmp_ge_u32 s25, s3
	s_cselect_b32 s27, -1, 0
	s_cmp_ge_u32 s26, s2
	s_cselect_b32 s2, -1, 0
	s_cmp_eq_u32 s25, s3
	s_cselect_b32 s2, s2, s27
	s_cmp_lg_u32 s2, 0
	s_cselect_b32 s3, s31, s9
	s_cselect_b32 s2, s30, s1
	s_xor_b64 s[4:5], s[4:5], 0
	s_xor_b64 s[2:3], s[2:3], s[4:5]
	s_sub_u32 s4, s2, s4
	s_cbranch_execnz .LBB32_11
.LBB32_10:
	s_sub_i32 s1, 0, s22
	v_readfirstlane_b32 s2, v7
	s_mul_i32 s1, s1, s2
	s_mul_hi_u32 s1, s2, s1
	s_add_i32 s2, s2, s1
	s_mul_hi_u32 s1, s8, s2
	s_mul_i32 s3, s1, s22
	s_sub_i32 s3, s8, s3
	s_add_i32 s2, s1, 1
	s_sub_i32 s4, s3, s22
	s_cmp_ge_u32 s3, s22
	s_cselect_b32 s1, s2, s1
	s_cselect_b32 s3, s4, s3
	s_add_i32 s2, s1, 1
	s_cmp_ge_u32 s3, s22
	s_cselect_b32 s4, s2, s1
.LBB32_11:
	s_cmp_lg_u32 s6, s4
	s_cbranch_scc0 .LBB32_15
; %bb.12:
	s_add_i32 s1, s24, s22
	s_lshl_b32 s1, s1, 6
	s_add_i32 s2, s1, s15
	s_mov_b32 s3, s0
	s_lshl_b64 s[2:3], s[2:3], 3
	s_add_u32 s8, s18, s2
	s_mul_hi_u32 s1, s4, s12
	s_addc_u32 s9, s19, s3
	s_add_i32 s1, s1, s4
	s_lshr_b32 s1, s1, s13
	s_mul_i32 s2, s1, s14
	s_cmp_eq_u32 s2, s4
	s_cselect_b64 s[2:3], -1, 0
	s_cmp_lt_u32 s1, s7
	s_cselect_b64 s[26:27], -1, 0
	s_or_b64 s[26:27], s[26:27], s[2:3]
	s_mov_b64 s[2:3], -1
	s_and_b64 vcc, exec, s[26:27]
	s_mov_b32 s1, s24
	s_mov_b32 s25, s6
	s_cbranch_vccnz .LBB32_14
; %bb.13:
	s_add_i32 s1, s24, -1
	s_mov_b64 s[2:3], 0
	s_mov_b32 s25, s4
.LBB32_14:
	v_lshl_add_u32 v4, s24, 14, v6
	v_ashrrev_i32_e32 v5, 31, v4
	v_lshl_add_u64 v[4:5], v[4:5], 2, s[16:17]
	global_load_dword v5, v[4:5], off
	s_load_dwordx2 s[4:5], s[8:9], 0x0
	v_max_f32_e32 v4, v9, v9
	s_waitcnt lgkmcnt(0)
	v_max_f32_e64 v10, s4, s4
	v_max_f32_e32 v10, v4, v10
	v_sub_f32_e32 v11, v9, v10
	v_sub_f32_e32 v13, s4, v10
	v_mul_f32_e32 v4, 0x3fb8aa3b, v11
	v_mul_f32_e32 v12, 0x3fb8aa3b, v13
	v_fma_f32 v14, v11, s10, -v4
	v_rndne_f32_e32 v15, v4
	v_fma_f32 v16, v13, s10, -v12
	v_rndne_f32_e32 v17, v12
	v_fmac_f32_e32 v14, 0x32a5705f, v11
	v_sub_f32_e32 v4, v4, v15
	v_fmac_f32_e32 v16, 0x32a5705f, v13
	v_sub_f32_e32 v12, v12, v17
	v_add_f32_e32 v4, v4, v14
	v_cvt_i32_f32_e32 v15, v15
	v_add_f32_e32 v12, v12, v16
	v_exp_f32_e32 v14, v4
	v_cvt_i32_f32_e32 v17, v17
	v_exp_f32_e32 v12, v12
	v_cmp_ngt_f32_e32 vcc, s20, v11
	v_ldexp_f32 v14, v14, v15
	v_mov_b32_e32 v4, s5
	v_ldexp_f32 v12, v12, v17
	v_cndmask_b32_e32 v14, 0, v14, vcc
	v_cmp_ngt_f32_e32 vcc, s20, v13
	s_nop 1
	v_cndmask_b32_e32 v12, 0, v12, vcc
	v_cmp_nlt_f32_e32 vcc, s21, v11
	s_nop 1
	v_cndmask_b32_e32 v14, v8, v14, vcc
	v_cmp_nlt_f32_e32 vcc, s21, v13
	s_nop 1
	v_cndmask_b32_e32 v15, v8, v12, vcc
	v_cmp_le_f32_e32 vcc, s23, v11
	s_nop 1
	v_cndmask_b32_e32 v12, 0, v14, vcc
	v_cmp_le_f32_e32 vcc, s23, v13
	s_nop 1
	v_cndmask_b32_e32 v14, 0, v15, vcc
	s_waitcnt vmcnt(0)
	v_pk_mul_f32 v[4:5], v[4:5], v[14:15] op_sel_hi:[1,0]
	s_nop 0
	v_pk_fma_f32 v[4:5], v[0:1], v[12:13], v[4:5] op_sel_hi:[1,0,1]
	s_cbranch_execz .LBB32_16
	s_branch .LBB32_17
.LBB32_15:
                                        ; implicit-def: $vgpr4_vgpr5
                                        ; implicit-def: $sgpr2_sgpr3
                                        ; implicit-def: $vgpr10
                                        ; implicit-def: $sgpr1
                                        ; implicit-def: $sgpr25
.LBB32_16:
	s_add_i32 s1, s24, -1
	s_mov_b64 s[2:3], 0
	s_mov_b32 s25, s6
	v_mov_b32_e32 v10, v9
	s_waitcnt vmcnt(0)
	v_mov_b64_e32 v[4:5], v[0:1]
.LBB32_17:
	s_andn2_b64 vcc, exec, s[2:3]
	s_cbranch_vccz .LBB32_22
; %bb.18:
	s_mov_b32 s6, s25
	s_mov_b32 s24, s1
	v_mov_b32_e32 v9, v10
	s_waitcnt vmcnt(0)
	v_mov_b64_e32 v[0:1], v[4:5]
	s_mul_hi_i32 s1, s24, s11
	s_cmp_lg_u64 s[0:1], 0
	s_mul_i32 s8, s24, s11
	s_cbranch_scc1 .LBB32_9
.LBB32_19:
                                        ; implicit-def: $sgpr4_sgpr5
	s_branch .LBB32_10
.LBB32_20:
                                        ; implicit-def: $sgpr6_sgpr7
	s_load_dwordx4 s[12:15], s[0:1], 0x44
	s_branch .LBB32_2
.LBB32_21:
                                        ; implicit-def: $sgpr18_sgpr19
	s_branch .LBB32_5
.LBB32_22:
	v_div_scale_f32 v0, s[0:1], v4, v4, v5
	s_waitcnt vmcnt(0)
	v_rcp_f32_e32 v1, v0
	v_div_scale_f32 v6, vcc, v5, v4, v5
	v_fma_f32 v7, -v0, v1, 1.0
	v_fmac_f32_e32 v1, v7, v1
	v_mul_f32_e32 v7, v6, v1
	v_fma_f32 v8, -v0, v7, v6
	v_fmac_f32_e32 v7, v8, v1
	v_fma_f32 v0, -v0, v7, v6
	v_div_fmas_f32 v0, v0, v1, v7
	v_div_fixup_f32 v0, v0, v4, v5
	global_store_dword v[2:3], v0, off
.LBB32_23:
	s_endpgm
	.section	.rodata,"a",@progbits
	.p2align	6, 0x0
	.amdhsa_kernel _ZL33flash_attn_stream_k_fixup_generalILi256ELi64ELi1EEvPfPK15HIP_vector_typeIfLj2EEiiiiS1_IjLj3EES5_S5_S5_
		.amdhsa_group_segment_fixed_size 0
		.amdhsa_private_segment_fixed_size 0
		.amdhsa_kernarg_size 336
		.amdhsa_user_sgpr_count 2
		.amdhsa_user_sgpr_dispatch_ptr 0
		.amdhsa_user_sgpr_queue_ptr 0
		.amdhsa_user_sgpr_kernarg_segment_ptr 1
		.amdhsa_user_sgpr_dispatch_id 0
		.amdhsa_user_sgpr_kernarg_preload_length 0
		.amdhsa_user_sgpr_kernarg_preload_offset 0
		.amdhsa_user_sgpr_private_segment_size 0
		.amdhsa_uses_dynamic_stack 0
		.amdhsa_enable_private_segment 0
		.amdhsa_system_sgpr_workgroup_id_x 1
		.amdhsa_system_sgpr_workgroup_id_y 1
		.amdhsa_system_sgpr_workgroup_id_z 1
		.amdhsa_system_sgpr_workgroup_info 0
		.amdhsa_system_vgpr_workitem_id 0
		.amdhsa_next_free_vgpr 18
		.amdhsa_next_free_sgpr 36
		.amdhsa_accum_offset 20
		.amdhsa_reserve_vcc 1
		.amdhsa_float_round_mode_32 0
		.amdhsa_float_round_mode_16_64 0
		.amdhsa_float_denorm_mode_32 3
		.amdhsa_float_denorm_mode_16_64 3
		.amdhsa_dx10_clamp 1
		.amdhsa_ieee_mode 1
		.amdhsa_fp16_overflow 0
		.amdhsa_tg_split 0
		.amdhsa_exception_fp_ieee_invalid_op 0
		.amdhsa_exception_fp_denorm_src 0
		.amdhsa_exception_fp_ieee_div_zero 0
		.amdhsa_exception_fp_ieee_overflow 0
		.amdhsa_exception_fp_ieee_underflow 0
		.amdhsa_exception_fp_ieee_inexact 0
		.amdhsa_exception_int_div_zero 0
	.end_amdhsa_kernel
	.section	.text._ZL33flash_attn_stream_k_fixup_generalILi256ELi64ELi1EEvPfPK15HIP_vector_typeIfLj2EEiiiiS1_IjLj3EES5_S5_S5_,"axG",@progbits,_ZL33flash_attn_stream_k_fixup_generalILi256ELi64ELi1EEvPfPK15HIP_vector_typeIfLj2EEiiiiS1_IjLj3EES5_S5_S5_,comdat
.Lfunc_end32:
	.size	_ZL33flash_attn_stream_k_fixup_generalILi256ELi64ELi1EEvPfPK15HIP_vector_typeIfLj2EEiiiiS1_IjLj3EES5_S5_S5_, .Lfunc_end32-_ZL33flash_attn_stream_k_fixup_generalILi256ELi64ELi1EEvPfPK15HIP_vector_typeIfLj2EEiiiiS1_IjLj3EES5_S5_S5_
                                        ; -- End function
	.set _ZL33flash_attn_stream_k_fixup_generalILi256ELi64ELi1EEvPfPK15HIP_vector_typeIfLj2EEiiiiS1_IjLj3EES5_S5_S5_.num_vgpr, 18
	.set _ZL33flash_attn_stream_k_fixup_generalILi256ELi64ELi1EEvPfPK15HIP_vector_typeIfLj2EEiiiiS1_IjLj3EES5_S5_S5_.num_agpr, 0
	.set _ZL33flash_attn_stream_k_fixup_generalILi256ELi64ELi1EEvPfPK15HIP_vector_typeIfLj2EEiiiiS1_IjLj3EES5_S5_S5_.numbered_sgpr, 36
	.set _ZL33flash_attn_stream_k_fixup_generalILi256ELi64ELi1EEvPfPK15HIP_vector_typeIfLj2EEiiiiS1_IjLj3EES5_S5_S5_.num_named_barrier, 0
	.set _ZL33flash_attn_stream_k_fixup_generalILi256ELi64ELi1EEvPfPK15HIP_vector_typeIfLj2EEiiiiS1_IjLj3EES5_S5_S5_.private_seg_size, 0
	.set _ZL33flash_attn_stream_k_fixup_generalILi256ELi64ELi1EEvPfPK15HIP_vector_typeIfLj2EEiiiiS1_IjLj3EES5_S5_S5_.uses_vcc, 1
	.set _ZL33flash_attn_stream_k_fixup_generalILi256ELi64ELi1EEvPfPK15HIP_vector_typeIfLj2EEiiiiS1_IjLj3EES5_S5_S5_.uses_flat_scratch, 0
	.set _ZL33flash_attn_stream_k_fixup_generalILi256ELi64ELi1EEvPfPK15HIP_vector_typeIfLj2EEiiiiS1_IjLj3EES5_S5_S5_.has_dyn_sized_stack, 0
	.set _ZL33flash_attn_stream_k_fixup_generalILi256ELi64ELi1EEvPfPK15HIP_vector_typeIfLj2EEiiiiS1_IjLj3EES5_S5_S5_.has_recursion, 0
	.set _ZL33flash_attn_stream_k_fixup_generalILi256ELi64ELi1EEvPfPK15HIP_vector_typeIfLj2EEiiiiS1_IjLj3EES5_S5_S5_.has_indirect_call, 0
	.section	.AMDGPU.csdata,"",@progbits
; Kernel info:
; codeLenInByte = 2932
; TotalNumSgprs: 42
; NumVgprs: 18
; NumAgprs: 0
; TotalNumVgprs: 18
; ScratchSize: 0
; MemoryBound: 0
; FloatMode: 240
; IeeeMode: 1
; LDSByteSize: 0 bytes/workgroup (compile time only)
; SGPRBlocks: 5
; VGPRBlocks: 2
; NumSGPRsForWavesPerEU: 42
; NumVGPRsForWavesPerEU: 18
; AccumOffset: 20
; Occupancy: 8
; WaveLimiterHint : 0
; COMPUTE_PGM_RSRC2:SCRATCH_EN: 0
; COMPUTE_PGM_RSRC2:USER_SGPR: 2
; COMPUTE_PGM_RSRC2:TRAP_HANDLER: 0
; COMPUTE_PGM_RSRC2:TGID_X_EN: 1
; COMPUTE_PGM_RSRC2:TGID_Y_EN: 1
; COMPUTE_PGM_RSRC2:TGID_Z_EN: 1
; COMPUTE_PGM_RSRC2:TIDIG_COMP_CNT: 0
; COMPUTE_PGM_RSRC3_GFX90A:ACCUM_OFFSET: 4
; COMPUTE_PGM_RSRC3_GFX90A:TG_SPLIT: 0
	.section	.text._ZL26flash_attn_combine_resultsILi256EEvPKfPK15HIP_vector_typeIfLj2EEPfi,"axG",@progbits,_ZL26flash_attn_combine_resultsILi256EEvPKfPK15HIP_vector_typeIfLj2EEPfi,comdat
	.globl	_ZL26flash_attn_combine_resultsILi256EEvPKfPK15HIP_vector_typeIfLj2EEPfi ; -- Begin function _ZL26flash_attn_combine_resultsILi256EEvPKfPK15HIP_vector_typeIfLj2EEPfi
	.p2align	8
	.type	_ZL26flash_attn_combine_resultsILi256EEvPKfPK15HIP_vector_typeIfLj2EEPfi,@function
_ZL26flash_attn_combine_resultsILi256EEvPKfPK15HIP_vector_typeIfLj2EEPfi: ; @_ZL26flash_attn_combine_resultsILi256EEvPKfPK15HIP_vector_typeIfLj2EEPfi
; %bb.0:
	s_load_dwordx2 s[6:7], s[0:1], 0x20
	s_load_dword s19, s[0:1], 0x18
	s_load_dwordx4 s[8:11], s[0:1], 0x0
	s_load_dwordx2 s[14:15], s[0:1], 0x10
	s_waitcnt lgkmcnt(0)
	s_mul_i32 s0, s6, s4
	s_add_i32 s0, s0, s2
	s_mul_i32 s18, s0, s7
	s_add_i32 s18, s18, s3
	s_lshl_b32 s20, s19, 1
	s_mul_i32 s2, s18, s19
	v_cmp_gt_i32_e32 vcc, s20, v0
	s_and_saveexec_b64 s[0:1], vcc
	s_cbranch_execz .LBB33_13
; %bb.1:
	v_xad_u32 v1, v0, -1, s20
	s_movk_i32 s4, 0xff
	s_ashr_i32 s3, s2, 31
	v_cmp_lt_u32_e32 vcc, s4, v1
	s_mov_b64 s[6:7], -1
	v_mov_b32_e32 v2, v0
	s_and_saveexec_b64 s[4:5], vcc
	s_cbranch_execz .LBB33_10
; %bb.2:
	v_lshrrev_b32_e32 v6, 8, v1
	s_lshl_b64 s[6:7], s[2:3], 3
	v_add_u32_e32 v2, -1, v6
	s_add_u32 s6, s10, s6
	v_or_b32_e32 v1, 0x100, v0
	v_lshrrev_b32_e32 v3, 1, v2
	s_addc_u32 s7, s11, s7
	s_mov_b32 s21, 0
	v_add_u32_e32 v7, 1, v3
	v_cmp_lt_u32_e32 vcc, 13, v2
	v_mov_b32_e32 v4, 0
	v_mov_b64_e32 v[2:3], v[0:1]
	s_and_saveexec_b64 s[12:13], vcc
	s_cbranch_execz .LBB33_6
; %bb.3:
	v_and_b32_e32 v8, -8, v7
	v_lshl_add_u32 v9, v0, 2, 0
	s_mov_b64 s[16:17], 0
	v_mov_b32_e32 v5, 0
	v_mov_b64_e32 v[2:3], v[0:1]
.LBB33_4:                               ; =>This Inner Loop Header: Depth=1
	v_mov_b32_e32 v4, v2
	v_lshl_add_u64 v[24:25], v[4:5], 2, s[6:7]
	v_mov_b32_e32 v4, v3
	v_add_u32_e32 v10, 0x200, v3
	v_mov_b32_e32 v11, v5
	v_lshl_add_u64 v[26:27], v[4:5], 2, s[6:7]
	v_add_u32_e32 v4, 0x200, v2
	v_lshl_add_u64 v[10:11], v[10:11], 2, s[6:7]
	global_load_dword v1, v[24:25], off
	v_lshl_add_u64 v[24:25], v[4:5], 2, s[6:7]
	v_add_u32_e32 v4, 0x400, v2
	global_load_dword v28, v[26:27], off
	global_load_dword v29, v[24:25], off
	global_load_dword v30, v[10:11], off
	v_lshl_add_u64 v[10:11], v[4:5], 2, s[6:7]
	v_add_u32_e32 v4, 0x600, v2
	v_add_u32_e32 v12, 0x400, v3
	v_mov_b32_e32 v13, v5
	v_add_u32_e32 v14, 0x600, v3
	v_mov_b32_e32 v15, v5
	v_lshl_add_u64 v[24:25], v[4:5], 2, s[6:7]
	v_add_u32_e32 v4, 0x800, v2
	v_lshl_add_u64 v[12:13], v[12:13], 2, s[6:7]
	v_lshl_add_u64 v[14:15], v[14:15], 2, s[6:7]
	global_load_dword v26, v[10:11], off
	global_load_dword v27, v[12:13], off
	;; [unrolled: 1-line block ×4, first 2 shown]
	v_lshl_add_u64 v[10:11], v[4:5], 2, s[6:7]
	v_add_u32_e32 v4, 0xa00, v2
	v_add_u32_e32 v16, 0x800, v3
	v_mov_b32_e32 v17, v5
	v_add_u32_e32 v18, 0xa00, v3
	v_mov_b32_e32 v19, v5
	v_lshl_add_u64 v[12:13], v[4:5], 2, s[6:7]
	v_add_u32_e32 v4, 0xc00, v2
	v_add_u32_e32 v20, 0xc00, v3
	v_mov_b32_e32 v21, v5
	v_add_u32_e32 v22, 0xe00, v3
	v_mov_b32_e32 v23, v5
	v_lshl_add_u64 v[16:17], v[16:17], 2, s[6:7]
	v_lshl_add_u64 v[18:19], v[18:19], 2, s[6:7]
	global_load_dword v14, v[10:11], off
	global_load_dword v15, v[16:17], off
	;; [unrolled: 1-line block ×4, first 2 shown]
	v_lshl_add_u64 v[10:11], v[4:5], 2, s[6:7]
	v_add_u32_e32 v4, 0xe00, v2
	v_lshl_add_u64 v[20:21], v[20:21], 2, s[6:7]
	v_lshl_add_u64 v[22:23], v[22:23], 2, s[6:7]
	;; [unrolled: 1-line block ×3, first 2 shown]
	global_load_dword v16, v[10:11], off
	global_load_dword v17, v[20:21], off
	global_load_dword v18, v[12:13], off
	global_load_dword v19, v[22:23], off
	v_add_u32_e32 v8, -8, v8
	s_add_i32 s21, s21, 16
	v_cmp_eq_u32_e32 vcc, 0, v8
	v_add_u32_e32 v3, 0x1000, v3
	v_mov_b32_e32 v4, s21
	s_or_b64 s[16:17], vcc, s[16:17]
	v_add_u32_e32 v2, 0x1000, v2
	s_waitcnt vmcnt(14)
	ds_write2st64_b32 v9, v1, v28 offset1:4
	s_waitcnt vmcnt(12)
	ds_write2st64_b32 v9, v29, v30 offset0:8 offset1:12
	s_waitcnt vmcnt(10)
	ds_write2st64_b32 v9, v26, v27 offset0:16 offset1:20
	;; [unrolled: 2-line block ×7, first 2 shown]
	v_add_u32_e32 v9, 0x4000, v9
	s_andn2_b64 exec, exec, s[16:17]
	s_cbranch_execnz .LBB33_4
; %bb.5:
	s_or_b64 exec, exec, s[16:17]
.LBB33_6:
	s_or_b64 exec, exec, s[12:13]
	v_and_b32_e32 v1, 7, v7
	v_cmp_ne_u32_e32 vcc, 0, v1
	s_and_saveexec_b64 s[12:13], vcc
	s_cbranch_execz .LBB33_9
; %bb.7:
	v_lshlrev_b32_e32 v5, 2, v0
	v_lshl_or_b32 v4, v4, 10, v5
	v_add_u32_e32 v7, 0, v4
	s_mov_b64 s[16:17], 0
	v_mov_b32_e32 v5, 0
.LBB33_8:                               ; =>This Inner Loop Header: Depth=1
	v_mov_b32_e32 v4, v2
	v_lshl_add_u64 v[8:9], v[4:5], 2, s[6:7]
	v_mov_b32_e32 v4, v3
	v_lshl_add_u64 v[10:11], v[4:5], 2, s[6:7]
	global_load_dword v4, v[8:9], off
	global_load_dword v12, v[10:11], off
	v_add_u32_e32 v1, -1, v1
	v_cmp_eq_u32_e32 vcc, 0, v1
	v_add_u32_e32 v2, 0x200, v2
	v_add_u32_e32 v3, 0x200, v3
	s_or_b64 s[16:17], vcc, s[16:17]
	s_waitcnt vmcnt(0)
	ds_write2st64_b32 v7, v4, v12 offset1:4
	v_add_u32_e32 v7, 0x800, v7
	s_andn2_b64 exec, exec, s[16:17]
	s_cbranch_execnz .LBB33_8
.LBB33_9:
	s_or_b64 exec, exec, s[12:13]
	v_add_u32_e32 v1, 1, v6
	v_and_b32_e32 v3, 0x1fffffe, v1
	v_cmp_ne_u32_e32 vcc, v1, v3
	v_lshl_or_b32 v2, v3, 8, v0
	s_orn2_b64 s[6:7], vcc, exec
.LBB33_10:
	s_or_b64 exec, exec, s[4:5]
	s_and_b64 exec, exec, s[6:7]
	s_cbranch_execz .LBB33_13
; %bb.11:
	s_lshl_b64 s[4:5], s[2:3], 3
	s_add_u32 s4, s10, s4
	v_mov_b32_e32 v3, 0
	s_addc_u32 s5, s11, s5
	v_lshl_add_u64 v[4:5], v[2:3], 2, s[4:5]
	v_lshl_add_u32 v1, v2, 2, 0
	s_mov_b64 s[4:5], 0
	s_mov_b64 s[6:7], 0x400
.LBB33_12:                              ; =>This Inner Loop Header: Depth=1
	global_load_dword v3, v[4:5], off
	v_add_u32_e32 v2, 0x100, v2
	v_cmp_le_i32_e32 vcc, s20, v2
	v_lshl_add_u64 v[4:5], v[4:5], 0, s[6:7]
	s_or_b64 s[4:5], vcc, s[4:5]
	s_waitcnt vmcnt(0)
	ds_write_b32 v1, v3
	v_add_u32_e32 v1, 0x400, v1
	s_andn2_b64 exec, exec, s[4:5]
	s_cbranch_execnz .LBB33_12
.LBB33_13:
	s_or_b64 exec, exec, s[0:1]
	v_mov_b32_e32 v1, 0
	s_waitcnt lgkmcnt(0)
	s_barrier
	ds_read_b32 v1, v1
	s_cmp_lt_i32 s19, 2
	s_cbranch_scc1 .LBB33_21
; %bb.14:
	s_cmp_eq_u32 s19, 2
	s_cbranch_scc1 .LBB33_18
; %bb.15:
	s_add_i32 s3, s19, -1
	s_and_b32 s4, s3, -2
	s_add_i32 s6, 0, 8
	s_mov_b32 s5, 2
	s_waitcnt lgkmcnt(0)
	v_mov_b32_e32 v4, v1
.LBB33_16:                              ; =>This Inner Loop Header: Depth=1
	v_mov_b32_e32 v2, v1
	v_mov_b32_e32 v1, s6
	;; [unrolled: 1-line block ×3, first 2 shown]
	ds_read2_b32 v[4:5], v1 offset1:2
	s_cmp_lg_u32 s4, s5
	s_cselect_b64 s[10:11], -1, 0
	v_max_f32_e32 v1, v3, v3
	v_max_f32_e32 v6, v2, v2
	s_waitcnt lgkmcnt(0)
	v_cmp_u_f32_e32 vcc, v5, v5
	v_max_f32_e32 v7, v5, v5
	v_max_f32_e32 v8, v4, v4
	v_cndmask_b32_e64 v5, 0, 1, vcc
	v_cmp_u_f32_e32 vcc, v4, v4
	v_readfirstlane_b32 s0, v5
	s_lshl_b32 s0, s0, 1
	v_cndmask_b32_e64 v9, 0, 1, vcc
	v_max_f32_e32 v4, v1, v7
	v_readfirstlane_b32 s1, v9
	s_or_b32 s0, s1, s0
	s_and_b32 s7, s0, 3
	s_cmp_lg_u32 s7, 0
	s_cselect_b64 s[0:1], -1, 0
	s_cmp_eq_u32 s7, 0
	s_cselect_b64 s[12:13], -1, 0
	s_and_b64 s[10:11], s[12:13], s[10:11]
	v_max_f32_e32 v1, v6, v8
	s_add_i32 s5, s5, 2
	s_add_i32 s6, s6, 16
	s_and_b64 vcc, exec, s[10:11]
	s_cbranch_vccnz .LBB33_16
; %bb.17:
	s_add_i32 s5, s5, -4
	s_and_b64 s[6:7], s[0:1], exec
	s_cselect_b32 s5, s5, s3
	s_or_b32 s5, s5, 1
	v_cndmask_b32_e64 v1, v1, v2, s[0:1]
	v_cndmask_b32_e64 v2, v4, v3, s[0:1]
	s_cmp_lg_u32 s3, s4
	v_max_f32_e32 v2, v2, v2
	v_max_f32_e32 v1, v1, v1
	s_cselect_b64 s[6:7], -1, 0
	v_max_f32_e32 v1, v1, v2
	s_or_b64 s[0:1], s[6:7], s[0:1]
	s_and_b64 vcc, exec, s[0:1]
	s_cbranch_vccnz .LBB33_19
	s_branch .LBB33_21
.LBB33_18:
	s_mov_b32 s5, 1
	s_cbranch_execz .LBB33_21
.LBB33_19:
	s_lshl_b32 s1, s5, 3
	s_sub_i32 s0, s19, s5
	s_add_i32 s1, s1, 0
.LBB33_20:                              ; =>This Inner Loop Header: Depth=1
	v_mov_b32_e32 v2, s1
	ds_read_b32 v2, v2
	s_waitcnt lgkmcnt(1)
	v_max_f32_e32 v1, v1, v1
	s_add_i32 s0, s0, -1
	s_add_i32 s1, s1, 8
	s_cmp_eq_u32 s0, 0
	s_waitcnt lgkmcnt(0)
	v_max_f32_e32 v2, v2, v2
	v_max_f32_e32 v1, v1, v2
	s_cbranch_scc0 .LBB33_20
.LBB33_21:
	s_cmp_lt_i32 s19, 1
	s_cbranch_scc1 .LBB33_26
; %bb.22:
	s_lshl_b32 s0, s2, 8
	s_ashr_i32 s1, s0, 31
	s_lshl_b64 s[0:1], s[0:1], 2
	s_add_u32 s16, s8, s0
	s_addc_u32 s17, s9, s1
	s_cmp_lt_u32 s19, 8
	s_cbranch_scc1 .LBB33_27
; %bb.23:
	v_mov_b32_e32 v7, 0
	s_and_b32 s20, s19, 0x7ffffff8
	v_or_b32_e32 v4, 0x700, v0
	s_mov_b32 s21, 0
	s_mov_b32 s22, 0x3fb8aa3b
	;; [unrolled: 1-line block ×4, first 2 shown]
	v_mov_b32_e32 v8, 0x7f800000
	s_mov_b32 s25, 0
	v_mov_b32_e32 v2, v7
	v_mov_b32_e32 v3, v7
.LBB33_24:                              ; =>This Inner Loop Header: Depth=1
	v_add_u32_e32 v6, 0xfffff900, v4
	v_lshl_add_u64 v[26:27], v[6:7], 2, s[16:17]
	v_add_u32_e32 v6, 0xfffffa00, v4
	v_mov_b32_e32 v9, s21
	v_lshl_add_u64 v[30:31], v[6:7], 2, s[16:17]
	v_add_u32_e32 v6, 0xfffffb00, v4
	ds_read2_b64 v[10:13], v9 offset1:1
	ds_read2_b64 v[14:17], v9 offset0:2 offset1:3
	ds_read2_b64 v[18:21], v9 offset0:4 offset1:5
	ds_read2_b64 v[22:25], v9 offset0:6 offset1:7
	global_load_dword v33, v[26:27], off
	global_load_dword v35, v[30:31], off
	v_lshl_add_u64 v[26:27], v[6:7], 2, s[16:17]
	v_add_u32_e32 v6, 0xfffffc00, v4
	v_lshl_add_u64 v[30:31], v[6:7], 2, s[16:17]
	v_add_u32_e32 v6, 0xfffffd00, v4
	global_load_dword v37, v[26:27], off
	global_load_dword v39, v[30:31], off
	v_lshl_add_u64 v[26:27], v[6:7], 2, s[16:17]
	v_add_u32_e32 v6, 0xfffffe00, v4
	s_waitcnt lgkmcnt(3)
	v_mov_b32_e32 v32, v11
	v_sub_f32_e32 v9, v12, v1
	v_mov_b32_e32 v34, v13
	global_load_dword v11, v[26:27], off
	v_lshl_add_u64 v[12:13], v[6:7], 2, s[16:17]
	s_waitcnt lgkmcnt(2)
	v_mov_b32_e32 v36, v15
	v_add_u32_e32 v6, 0xffffff00, v4
	global_load_dword v15, v[12:13], off
	v_mov_b32_e32 v5, v7
	v_lshl_add_u64 v[12:13], v[6:7], 2, s[16:17]
	v_lshl_add_u64 v[28:29], v[4:5], 2, s[16:17]
	v_sub_f32_e32 v5, v10, v1
	v_mov_b32_e32 v38, v17
	s_waitcnt lgkmcnt(1)
	v_mov_b32_e32 v10, v19
	global_load_dword v17, v[12:13], off
	global_load_dword v19, v[28:29], off
	v_sub_f32_e32 v30, v14, v1
	v_sub_f32_e32 v31, v16, v1
	;; [unrolled: 1-line block ×3, first 2 shown]
	v_mov_b32_e32 v14, v21
	s_waitcnt lgkmcnt(0)
	v_sub_f32_e32 v21, v22, v1
	v_mov_b32_e32 v16, v23
	v_sub_f32_e32 v22, v24, v1
	v_mul_f32_e32 v23, 0x3fb8aa3b, v5
	v_mov_b32_e32 v18, v25
	v_mul_f32_e32 v24, 0x3fb8aa3b, v9
	v_mul_f32_e32 v25, 0x3fb8aa3b, v30
	;; [unrolled: 1-line block ×5, first 2 shown]
	v_fma_f32 v43, v5, s22, -v23
	v_rndne_f32_e32 v44, v23
	v_sub_f32_e32 v20, v20, v1
	v_fma_f32 v45, v9, s22, -v24
	v_rndne_f32_e32 v46, v24
	v_fma_f32 v47, v30, s22, -v25
	v_rndne_f32_e32 v48, v25
	;; [unrolled: 2-line block ×5, first 2 shown]
	v_fmac_f32_e32 v43, 0x32a5705f, v5
	v_sub_f32_e32 v12, v23, v44
	v_mul_f32_e32 v26, 0x3fb8aa3b, v31
	v_mul_f32_e32 v41, 0x3fb8aa3b, v20
	v_fmac_f32_e32 v45, 0x32a5705f, v9
	v_sub_f32_e32 v23, v24, v46
	v_fmac_f32_e32 v47, 0x32a5705f, v30
	v_sub_f32_e32 v25, v25, v48
	;; [unrolled: 2-line block ×5, first 2 shown]
	v_add_f32_e32 v12, v12, v43
	v_fma_f32 v49, v31, s22, -v26
	v_rndne_f32_e32 v50, v26
	v_fma_f32 v53, v20, s22, -v41
	v_rndne_f32_e32 v54, v41
	v_cvt_i32_f32_e32 v13, v44
	v_add_f32_e32 v23, v23, v45
	v_add_f32_e32 v25, v25, v47
	;; [unrolled: 1-line block ×5, first 2 shown]
	v_exp_f32_e32 v12, v12
	v_cvt_i32_f32_e32 v24, v46
	v_cvt_i32_f32_e32 v28, v48
	v_fmac_f32_e32 v49, 0x32a5705f, v31
	v_sub_f32_e32 v26, v26, v50
	v_cvt_i32_f32_e32 v29, v50
	v_cvt_i32_f32_e32 v44, v52
	v_fmac_f32_e32 v53, 0x32a5705f, v20
	v_sub_f32_e32 v41, v41, v54
	v_cvt_i32_f32_e32 v48, v56
	v_cvt_i32_f32_e32 v50, v58
	v_exp_f32_e32 v23, v23
	v_exp_f32_e32 v25, v25
	;; [unrolled: 1-line block ×5, first 2 shown]
	v_add_f32_e32 v26, v26, v49
	v_add_f32_e32 v41, v41, v53
	v_cvt_i32_f32_e32 v46, v54
	v_exp_f32_e32 v26, v26
	v_exp_f32_e32 v41, v41
	v_ldexp_f32 v12, v12, v13
	v_cmp_ngt_f32_e64 s[12:13], s23, v5
	v_ldexp_f32 v13, v23, v24
	v_cmp_ngt_f32_e32 vcc, s23, v9
	v_ldexp_f32 v23, v25, v28
	v_ldexp_f32 v25, v27, v44
	;; [unrolled: 1-line block ×3, first 2 shown]
	v_cmp_ngt_f32_e64 s[8:9], s23, v21
	v_ldexp_f32 v6, v6, v50
	v_cmp_ngt_f32_e64 s[10:11], s23, v22
	v_cndmask_b32_e64 v12, 0, v12, s[12:13]
	v_cmp_nlt_f32_e64 s[12:13], s24, v5
	v_cmp_ngt_f32_e64 s[0:1], s23, v30
	v_cndmask_b32_e32 v13, 0, v13, vcc
	v_cmp_nlt_f32_e32 vcc, s24, v9
	v_cndmask_b32_e64 v27, 0, v27, s[8:9]
	v_cmp_nlt_f32_e64 s[8:9], s24, v21
	v_cndmask_b32_e64 v21, 0, v6, s[10:11]
	v_cndmask_b32_e64 v6, v8, v12, s[12:13]
	v_ldexp_f32 v24, v26, v29
	v_cmp_ngt_f32_e64 s[2:3], s23, v31
	v_cmp_ngt_f32_e64 s[4:5], s23, v40
	v_ldexp_f32 v26, v41, v46
	v_cmp_ngt_f32_e64 s[6:7], s23, v20
	v_cndmask_b32_e64 v9, 0, v23, s[0:1]
	v_cmp_nlt_f32_e64 s[0:1], s24, v30
	v_cndmask_b32_e32 v12, v8, v13, vcc
	s_waitcnt vmcnt(7)
	v_pk_fma_f32 v[2:3], v[6:7], v[32:33], v[2:3] op_sel_hi:[0,1,1]
	v_cndmask_b32_e64 v23, 0, v24, s[2:3]
	v_cmp_nlt_f32_e64 s[2:3], s24, v31
	v_cndmask_b32_e64 v24, 0, v25, s[4:5]
	v_cndmask_b32_e64 v25, 0, v26, s[6:7]
	v_cmp_nlt_f32_e64 s[6:7], s24, v20
	v_cndmask_b32_e64 v20, v8, v9, s[0:1]
	s_waitcnt vmcnt(6)
	v_pk_fma_f32 v[2:3], v[12:13], v[34:35], v[2:3] op_sel_hi:[0,1,1]
	v_cmp_nlt_f32_e64 s[4:5], s24, v40
	v_cmp_nlt_f32_e64 s[10:11], s24, v22
	v_cndmask_b32_e64 v22, v8, v23, s[2:3]
	s_waitcnt vmcnt(5)
	v_pk_fma_f32 v[2:3], v[20:21], v[36:37], v[2:3] op_sel_hi:[0,1,1]
	v_cndmask_b32_e64 v24, v8, v24, s[4:5]
	s_waitcnt vmcnt(4)
	v_pk_fma_f32 v[2:3], v[22:23], v[38:39], v[2:3] op_sel_hi:[0,1,1]
	;; [unrolled: 3-line block ×4, first 2 shown]
	s_add_i32 s25, s25, 8
	s_add_i32 s21, s21, 64
	v_cndmask_b32_e64 v30, v8, v21, s[10:11]
	s_waitcnt vmcnt(1)
	v_pk_fma_f32 v[2:3], v[28:29], v[16:17], v[2:3] op_sel_hi:[0,1,1]
	s_cmp_eq_u32 s20, s25
	v_add_u32_e32 v4, 0x800, v4
	s_waitcnt vmcnt(0)
	v_pk_fma_f32 v[2:3], v[30:31], v[18:19], v[2:3] op_sel_hi:[0,1,1]
	s_cbranch_scc0 .LBB33_24
; %bb.25:
	s_and_b32 s0, s19, 7
	s_cmp_eq_u32 s0, 0
	s_cbranch_scc0 .LBB33_28
	s_branch .LBB33_30
.LBB33_26:
	s_waitcnt lgkmcnt(0)
	v_mov_b32_e32 v1, 0x7fc00000
	s_branch .LBB33_31
.LBB33_27:
	v_mov_b32_e32 v2, 0
	s_mov_b32 s20, 0
	v_mov_b32_e32 v3, v2
	s_and_b32 s0, s19, 7
	s_cmp_eq_u32 s0, 0
	s_cbranch_scc1 .LBB33_30
.LBB33_28:
	s_lshl_b32 s1, s20, 3
	v_lshl_or_b32 v4, s20, 8, v0
	s_add_i32 s1, s1, 0
	s_mov_b32 s2, 0x3fb8aa3b
	s_mov_b32 s3, 0xc2ce8ed0
	;; [unrolled: 1-line block ×3, first 2 shown]
	v_mov_b32_e32 v6, 0x7f800000
	v_mov_b32_e32 v5, 0
.LBB33_29:                              ; =>This Inner Loop Header: Depth=1
	v_lshl_add_u64 v[8:9], v[4:5], 2, s[16:17]
	global_load_dword v9, v[8:9], off
	v_mov_b32_e32 v7, s1
	ds_read_b64 v[10:11], v7
	s_add_i32 s1, s1, 8
	s_add_i32 s0, s0, -1
	v_add_u32_e32 v4, 0x100, v4
	s_cmp_lg_u32 s0, 0
	s_waitcnt lgkmcnt(0)
	v_sub_f32_e32 v7, v10, v1
	v_mul_f32_e32 v8, 0x3fb8aa3b, v7
	v_fma_f32 v10, v7, s2, -v8
	v_rndne_f32_e32 v12, v8
	v_fmac_f32_e32 v10, 0x32a5705f, v7
	v_sub_f32_e32 v8, v8, v12
	v_add_f32_e32 v8, v8, v10
	v_cvt_i32_f32_e32 v12, v12
	v_exp_f32_e32 v10, v8
	v_cmp_ngt_f32_e32 vcc, s3, v7
	v_mov_b32_e32 v8, v11
	v_ldexp_f32 v10, v10, v12
	v_cndmask_b32_e32 v10, 0, v10, vcc
	v_cmp_nlt_f32_e32 vcc, s4, v7
	s_nop 1
	v_cndmask_b32_e32 v10, v6, v10, vcc
	s_waitcnt vmcnt(0)
	v_pk_fma_f32 v[2:3], v[10:11], v[8:9], v[2:3] op_sel_hi:[0,1,1]
	s_cbranch_scc1 .LBB33_29
.LBB33_30:
	s_waitcnt lgkmcnt(0)
	v_div_scale_f32 v1, s[0:1], v2, v2, v3
	v_rcp_f32_e32 v4, v1
	v_div_scale_f32 v5, vcc, v3, v2, v3
	v_fma_f32 v6, -v1, v4, 1.0
	v_fmac_f32_e32 v4, v6, v4
	v_mul_f32_e32 v6, v5, v4
	v_fma_f32 v7, -v1, v6, v5
	v_fmac_f32_e32 v6, v7, v4
	v_fma_f32 v1, -v1, v6, v5
	v_div_fmas_f32 v1, v1, v4, v6
	v_div_fixup_f32 v1, v1, v2, v3
.LBB33_31:
	s_lshl_b32 s0, s18, 8
	s_ashr_i32 s1, s0, 31
	s_lshl_b64 s[0:1], s[0:1], 2
	s_add_u32 s0, s14, s0
	s_addc_u32 s1, s15, s1
	v_lshlrev_b32_e32 v0, 2, v0
	global_store_dword v0, v1, s[0:1]
	s_endpgm
	.section	.rodata,"a",@progbits
	.p2align	6, 0x0
	.amdhsa_kernel _ZL26flash_attn_combine_resultsILi256EEvPKfPK15HIP_vector_typeIfLj2EEPfi
		.amdhsa_group_segment_fixed_size 0
		.amdhsa_private_segment_fixed_size 0
		.amdhsa_kernarg_size 288
		.amdhsa_user_sgpr_count 2
		.amdhsa_user_sgpr_dispatch_ptr 0
		.amdhsa_user_sgpr_queue_ptr 0
		.amdhsa_user_sgpr_kernarg_segment_ptr 1
		.amdhsa_user_sgpr_dispatch_id 0
		.amdhsa_user_sgpr_kernarg_preload_length 0
		.amdhsa_user_sgpr_kernarg_preload_offset 0
		.amdhsa_user_sgpr_private_segment_size 0
		.amdhsa_uses_dynamic_stack 0
		.amdhsa_enable_private_segment 0
		.amdhsa_system_sgpr_workgroup_id_x 1
		.amdhsa_system_sgpr_workgroup_id_y 1
		.amdhsa_system_sgpr_workgroup_id_z 1
		.amdhsa_system_sgpr_workgroup_info 0
		.amdhsa_system_vgpr_workitem_id 0
		.amdhsa_next_free_vgpr 59
		.amdhsa_next_free_sgpr 26
		.amdhsa_accum_offset 60
		.amdhsa_reserve_vcc 1
		.amdhsa_float_round_mode_32 0
		.amdhsa_float_round_mode_16_64 0
		.amdhsa_float_denorm_mode_32 3
		.amdhsa_float_denorm_mode_16_64 3
		.amdhsa_dx10_clamp 1
		.amdhsa_ieee_mode 1
		.amdhsa_fp16_overflow 0
		.amdhsa_tg_split 0
		.amdhsa_exception_fp_ieee_invalid_op 0
		.amdhsa_exception_fp_denorm_src 0
		.amdhsa_exception_fp_ieee_div_zero 0
		.amdhsa_exception_fp_ieee_overflow 0
		.amdhsa_exception_fp_ieee_underflow 0
		.amdhsa_exception_fp_ieee_inexact 0
		.amdhsa_exception_int_div_zero 0
	.end_amdhsa_kernel
	.section	.text._ZL26flash_attn_combine_resultsILi256EEvPKfPK15HIP_vector_typeIfLj2EEPfi,"axG",@progbits,_ZL26flash_attn_combine_resultsILi256EEvPKfPK15HIP_vector_typeIfLj2EEPfi,comdat
.Lfunc_end33:
	.size	_ZL26flash_attn_combine_resultsILi256EEvPKfPK15HIP_vector_typeIfLj2EEPfi, .Lfunc_end33-_ZL26flash_attn_combine_resultsILi256EEvPKfPK15HIP_vector_typeIfLj2EEPfi
                                        ; -- End function
	.set _ZL26flash_attn_combine_resultsILi256EEvPKfPK15HIP_vector_typeIfLj2EEPfi.num_vgpr, 59
	.set _ZL26flash_attn_combine_resultsILi256EEvPKfPK15HIP_vector_typeIfLj2EEPfi.num_agpr, 0
	.set _ZL26flash_attn_combine_resultsILi256EEvPKfPK15HIP_vector_typeIfLj2EEPfi.numbered_sgpr, 26
	.set _ZL26flash_attn_combine_resultsILi256EEvPKfPK15HIP_vector_typeIfLj2EEPfi.num_named_barrier, 0
	.set _ZL26flash_attn_combine_resultsILi256EEvPKfPK15HIP_vector_typeIfLj2EEPfi.private_seg_size, 0
	.set _ZL26flash_attn_combine_resultsILi256EEvPKfPK15HIP_vector_typeIfLj2EEPfi.uses_vcc, 1
	.set _ZL26flash_attn_combine_resultsILi256EEvPKfPK15HIP_vector_typeIfLj2EEPfi.uses_flat_scratch, 0
	.set _ZL26flash_attn_combine_resultsILi256EEvPKfPK15HIP_vector_typeIfLj2EEPfi.has_dyn_sized_stack, 0
	.set _ZL26flash_attn_combine_resultsILi256EEvPKfPK15HIP_vector_typeIfLj2EEPfi.has_recursion, 0
	.set _ZL26flash_attn_combine_resultsILi256EEvPKfPK15HIP_vector_typeIfLj2EEPfi.has_indirect_call, 0
	.section	.AMDGPU.csdata,"",@progbits
; Kernel info:
; codeLenInByte = 2924
; TotalNumSgprs: 32
; NumVgprs: 59
; NumAgprs: 0
; TotalNumVgprs: 59
; ScratchSize: 0
; MemoryBound: 0
; FloatMode: 240
; IeeeMode: 1
; LDSByteSize: 0 bytes/workgroup (compile time only)
; SGPRBlocks: 3
; VGPRBlocks: 7
; NumSGPRsForWavesPerEU: 32
; NumVGPRsForWavesPerEU: 59
; AccumOffset: 60
; Occupancy: 8
; WaveLimiterHint : 0
; COMPUTE_PGM_RSRC2:SCRATCH_EN: 0
; COMPUTE_PGM_RSRC2:USER_SGPR: 2
; COMPUTE_PGM_RSRC2:TRAP_HANDLER: 0
; COMPUTE_PGM_RSRC2:TGID_X_EN: 1
; COMPUTE_PGM_RSRC2:TGID_Y_EN: 1
; COMPUTE_PGM_RSRC2:TGID_Z_EN: 1
; COMPUTE_PGM_RSRC2:TIDIG_COMP_CNT: 0
; COMPUTE_PGM_RSRC3_GFX90A:ACCUM_OFFSET: 14
; COMPUTE_PGM_RSRC3_GFX90A:TG_SPLIT: 0
	.text
	.p2alignl 6, 3212836864
	.fill 256, 4, 3212836864
	.section	.AMDGPU.gpr_maximums,"",@progbits
	.set amdgpu.max_num_vgpr, 50
	.set amdgpu.max_num_agpr, 0
	.set amdgpu.max_num_sgpr, 34
	.text
	.type	.str.3,@object                  ; @.str.3
	.section	.rodata.str1.1,"aMS",@progbits,1
.str.3:
	.asciz	"/root/src/amdgpu-assembly/repos/ggml-org__llama.cpp/ggml/src/ggml-cuda/template-instances/../fattn-mma-f16.cuh"
	.size	.str.3, 111

	.type	__FUNCTION__._ZL18flash_attn_ext_f16ILi64ELi64ELi64ELi1ELb1ELb0EEvPKcS1_S1_S1_S1_PKiPfP15HIP_vector_typeIfLj2EEffffjfiS5_IjLj3EEiiiiiiiiiiiliiliiiiil,@object ; @__FUNCTION__._ZL18flash_attn_ext_f16ILi64ELi64ELi64ELi1ELb1ELb0EEvPKcS1_S1_S1_S1_PKiPfP15HIP_vector_typeIfLj2EEffffjfiS5_IjLj3EEiiiiiiiiiiiliiliiiiil
__FUNCTION__._ZL18flash_attn_ext_f16ILi64ELi64ELi64ELi1ELb1ELb0EEvPKcS1_S1_S1_S1_PKiPfP15HIP_vector_typeIfLj2EEffffjfiS5_IjLj3EEiiiiiiiiiiiliiliiiiil:
	.asciz	"flash_attn_ext_f16"
	.size	__FUNCTION__._ZL18flash_attn_ext_f16ILi64ELi64ELi64ELi1ELb1ELb0EEvPKcS1_S1_S1_S1_PKiPfP15HIP_vector_typeIfLj2EEffffjfiS5_IjLj3EEiiiiiiiiiiiliiliiiiil, 19

	.type	.str.5,@object                  ; @.str.5
.str.5:
	.asciz	"%s:%d: ERROR: HIP kernel %s has no device code compatible with HIP arch %d.\n"
	.size	.str.5, 77

	.type	__hip_cuid_68e2ecd67ce4f9a5,@object ; @__hip_cuid_68e2ecd67ce4f9a5
	.section	.bss,"aw",@nobits
	.globl	__hip_cuid_68e2ecd67ce4f9a5
__hip_cuid_68e2ecd67ce4f9a5:
	.byte	0                               ; 0x0
	.size	__hip_cuid_68e2ecd67ce4f9a5, 1

	.ident	"AMD clang version 22.0.0git (https://github.com/RadeonOpenCompute/llvm-project roc-7.2.4 26084 f58b06dce1f9c15707c5f808fd002e18c2accf7e)"
	.section	".note.GNU-stack","",@progbits
	.addrsig
	.addrsig_sym __hip_cuid_68e2ecd67ce4f9a5
	.amdgpu_metadata
---
amdhsa.kernels:
  - .agpr_count:     0
    .args:
      - .address_space:  global
        .offset:         0
        .size:           8
        .value_kind:     global_buffer
      - .address_space:  global
        .offset:         8
        .size:           8
        .value_kind:     global_buffer
      - .address_space:  global
        .offset:         16
        .size:           8
        .value_kind:     global_buffer
      - .address_space:  global
        .offset:         24
        .size:           8
        .value_kind:     global_buffer
      - .address_space:  global
        .offset:         32
        .size:           8
        .value_kind:     global_buffer
      - .address_space:  global
        .offset:         40
        .size:           8
        .value_kind:     global_buffer
      - .address_space:  global
        .offset:         48
        .size:           8
        .value_kind:     global_buffer
      - .address_space:  global
        .offset:         56
        .size:           8
        .value_kind:     global_buffer
      - .offset:         64
        .size:           4
        .value_kind:     by_value
      - .offset:         68
        .size:           4
        .value_kind:     by_value
      - .offset:         72
        .size:           4
        .value_kind:     by_value
      - .offset:         76
        .size:           4
        .value_kind:     by_value
      - .offset:         80
        .size:           4
        .value_kind:     by_value
      - .offset:         84
        .size:           4
        .value_kind:     by_value
      - .offset:         88
        .size:           4
        .value_kind:     by_value
      - .offset:         92
        .size:           12
        .value_kind:     by_value
      - .offset:         104
        .size:           4
        .value_kind:     by_value
      - .offset:         108
        .size:           4
        .value_kind:     by_value
      - .offset:         112
        .size:           4
        .value_kind:     by_value
      - .offset:         116
        .size:           4
        .value_kind:     by_value
      - .offset:         120
        .size:           4
        .value_kind:     by_value
      - .offset:         124
        .size:           4
        .value_kind:     by_value
      - .offset:         128
        .size:           4
        .value_kind:     by_value
      - .offset:         132
        .size:           4
        .value_kind:     by_value
      - .offset:         136
        .size:           4
        .value_kind:     by_value
      - .offset:         140
        .size:           4
        .value_kind:     by_value
      - .offset:         144
        .size:           4
        .value_kind:     by_value
      - .offset:         152
        .size:           8
        .value_kind:     by_value
      - .offset:         160
        .size:           4
        .value_kind:     by_value
      - .offset:         164
        .size:           4
        .value_kind:     by_value
      - .offset:         168
        .size:           8
        .value_kind:     by_value
      - .offset:         176
        .size:           4
        .value_kind:     by_value
      - .offset:         180
        .size:           4
        .value_kind:     by_value
      - .offset:         184
        .size:           4
        .value_kind:     by_value
      - .offset:         188
        .size:           4
        .value_kind:     by_value
      - .offset:         192
        .size:           4
        .value_kind:     by_value
      - .offset:         200
        .size:           8
        .value_kind:     by_value
      - .offset:         208
        .size:           4
        .value_kind:     hidden_block_count_x
      - .offset:         212
        .size:           4
        .value_kind:     hidden_block_count_y
      - .offset:         216
        .size:           4
        .value_kind:     hidden_block_count_z
      - .offset:         220
        .size:           2
        .value_kind:     hidden_group_size_x
      - .offset:         222
        .size:           2
        .value_kind:     hidden_group_size_y
      - .offset:         224
        .size:           2
        .value_kind:     hidden_group_size_z
      - .offset:         226
        .size:           2
        .value_kind:     hidden_remainder_x
      - .offset:         228
        .size:           2
        .value_kind:     hidden_remainder_y
      - .offset:         230
        .size:           2
        .value_kind:     hidden_remainder_z
      - .offset:         248
        .size:           8
        .value_kind:     hidden_global_offset_x
      - .offset:         256
        .size:           8
        .value_kind:     hidden_global_offset_y
      - .offset:         264
        .size:           8
        .value_kind:     hidden_global_offset_z
      - .offset:         272
        .size:           2
        .value_kind:     hidden_grid_dims
      - .offset:         328
        .size:           4
        .value_kind:     hidden_dynamic_lds_size
    .group_segment_fixed_size: 0
    .kernarg_segment_align: 8
    .kernarg_segment_size: 464
    .language:       OpenCL C
    .language_version:
      - 2
      - 0
    .max_flat_workgroup_size: 256
    .name:           _ZL18flash_attn_ext_f16ILi64ELi64ELi64ELi1ELb0ELb0EEvPKcS1_S1_S1_S1_PKiPfP15HIP_vector_typeIfLj2EEffffjfiS5_IjLj3EEiiiiiiiiiiiliiliiiiil
    .private_segment_fixed_size: 432
    .sgpr_count:     106
    .sgpr_spill_count: 126
    .symbol:         _ZL18flash_attn_ext_f16ILi64ELi64ELi64ELi1ELb0ELb0EEvPKcS1_S1_S1_S1_PKiPfP15HIP_vector_typeIfLj2EEffffjfiS5_IjLj3EEiiiiiiiiiiiliiliiiiil.kd
    .uniform_work_group_size: 1
    .uses_dynamic_stack: false
    .vgpr_count:     128
    .vgpr_spill_count: 117
    .wavefront_size: 64
  - .agpr_count:     0
    .args:
      - .address_space:  global
        .offset:         0
        .size:           8
        .value_kind:     global_buffer
      - .address_space:  global
        .offset:         8
        .size:           8
        .value_kind:     global_buffer
      - .address_space:  global
        .offset:         16
        .size:           8
        .value_kind:     global_buffer
      - .address_space:  global
        .offset:         24
        .size:           8
        .value_kind:     global_buffer
      - .address_space:  global
        .offset:         32
        .size:           8
        .value_kind:     global_buffer
      - .address_space:  global
        .offset:         40
        .size:           8
        .value_kind:     global_buffer
      - .address_space:  global
        .offset:         48
        .size:           8
        .value_kind:     global_buffer
      - .address_space:  global
        .offset:         56
        .size:           8
        .value_kind:     global_buffer
      - .offset:         64
        .size:           4
        .value_kind:     by_value
      - .offset:         68
        .size:           4
        .value_kind:     by_value
      - .offset:         72
        .size:           4
        .value_kind:     by_value
      - .offset:         76
        .size:           4
        .value_kind:     by_value
      - .offset:         80
        .size:           4
        .value_kind:     by_value
      - .offset:         84
        .size:           4
        .value_kind:     by_value
      - .offset:         88
        .size:           4
        .value_kind:     by_value
      - .offset:         92
        .size:           12
        .value_kind:     by_value
      - .offset:         104
        .size:           4
        .value_kind:     by_value
      - .offset:         108
        .size:           4
        .value_kind:     by_value
      - .offset:         112
        .size:           4
        .value_kind:     by_value
      - .offset:         116
        .size:           4
        .value_kind:     by_value
      - .offset:         120
        .size:           4
        .value_kind:     by_value
      - .offset:         124
        .size:           4
        .value_kind:     by_value
      - .offset:         128
        .size:           4
        .value_kind:     by_value
      - .offset:         132
        .size:           4
        .value_kind:     by_value
      - .offset:         136
        .size:           4
        .value_kind:     by_value
      - .offset:         140
        .size:           4
        .value_kind:     by_value
      - .offset:         144
        .size:           4
        .value_kind:     by_value
      - .offset:         152
        .size:           8
        .value_kind:     by_value
      - .offset:         160
        .size:           4
        .value_kind:     by_value
      - .offset:         164
        .size:           4
        .value_kind:     by_value
      - .offset:         168
        .size:           8
        .value_kind:     by_value
      - .offset:         176
        .size:           4
        .value_kind:     by_value
      - .offset:         180
        .size:           4
        .value_kind:     by_value
      - .offset:         184
        .size:           4
        .value_kind:     by_value
      - .offset:         188
        .size:           4
        .value_kind:     by_value
      - .offset:         192
        .size:           4
        .value_kind:     by_value
      - .offset:         200
        .size:           8
        .value_kind:     by_value
      - .offset:         208
        .size:           4
        .value_kind:     hidden_block_count_x
      - .offset:         212
        .size:           4
        .value_kind:     hidden_block_count_y
      - .offset:         216
        .size:           4
        .value_kind:     hidden_block_count_z
      - .offset:         220
        .size:           2
        .value_kind:     hidden_group_size_x
      - .offset:         222
        .size:           2
        .value_kind:     hidden_group_size_y
      - .offset:         224
        .size:           2
        .value_kind:     hidden_group_size_z
      - .offset:         226
        .size:           2
        .value_kind:     hidden_remainder_x
      - .offset:         228
        .size:           2
        .value_kind:     hidden_remainder_y
      - .offset:         230
        .size:           2
        .value_kind:     hidden_remainder_z
      - .offset:         248
        .size:           8
        .value_kind:     hidden_global_offset_x
      - .offset:         256
        .size:           8
        .value_kind:     hidden_global_offset_y
      - .offset:         264
        .size:           8
        .value_kind:     hidden_global_offset_z
      - .offset:         272
        .size:           2
        .value_kind:     hidden_grid_dims
      - .offset:         288
        .size:           8
        .value_kind:     hidden_hostcall_buffer
    .group_segment_fixed_size: 0
    .kernarg_segment_align: 8
    .kernarg_segment_size: 464
    .language:       OpenCL C
    .language_version:
      - 2
      - 0
    .max_flat_workgroup_size: 256
    .name:           _ZL18flash_attn_ext_f16ILi64ELi64ELi64ELi1ELb1ELb0EEvPKcS1_S1_S1_S1_PKiPfP15HIP_vector_typeIfLj2EEffffjfiS5_IjLj3EEiiiiiiiiiiiliiliiiiil
    .private_segment_fixed_size: 16
    .sgpr_count:     40
    .sgpr_spill_count: 0
    .symbol:         _ZL18flash_attn_ext_f16ILi64ELi64ELi64ELi1ELb1ELb0EEvPKcS1_S1_S1_S1_PKiPfP15HIP_vector_typeIfLj2EEffffjfiS5_IjLj3EEiiiiiiiiiiiliiliiiiil.kd
    .uniform_work_group_size: 1
    .uses_dynamic_stack: false
    .vgpr_count:     50
    .vgpr_spill_count: 0
    .wavefront_size: 64
  - .agpr_count:     0
    .args:
      - .actual_access:  read_only
        .address_space:  global
        .offset:         0
        .size:           8
        .value_kind:     global_buffer
      - .actual_access:  write_only
        .address_space:  global
        .offset:         8
        .size:           8
        .value_kind:     global_buffer
      - .offset:         16
        .size:           4
        .value_kind:     by_value
      - .offset:         20
        .size:           4
        .value_kind:     by_value
      - .offset:         24
        .size:           4
        .value_kind:     by_value
      - .offset:         32
        .size:           4
        .value_kind:     hidden_block_count_x
      - .offset:         36
        .size:           4
        .value_kind:     hidden_block_count_y
      - .offset:         40
        .size:           4
        .value_kind:     hidden_block_count_z
      - .offset:         44
        .size:           2
        .value_kind:     hidden_group_size_x
      - .offset:         46
        .size:           2
        .value_kind:     hidden_group_size_y
      - .offset:         48
        .size:           2
        .value_kind:     hidden_group_size_z
      - .offset:         50
        .size:           2
        .value_kind:     hidden_remainder_x
      - .offset:         52
        .size:           2
        .value_kind:     hidden_remainder_y
      - .offset:         54
        .size:           2
        .value_kind:     hidden_remainder_z
      - .offset:         72
        .size:           8
        .value_kind:     hidden_global_offset_x
      - .offset:         80
        .size:           8
        .value_kind:     hidden_global_offset_y
      - .offset:         88
        .size:           8
        .value_kind:     hidden_global_offset_z
      - .offset:         96
        .size:           2
        .value_kind:     hidden_grid_dims
    .group_segment_fixed_size: 128
    .kernarg_segment_align: 8
    .kernarg_segment_size: 288
    .language:       OpenCL C
    .language_version:
      - 2
      - 0
    .max_flat_workgroup_size: 128
    .name:           _ZL25flash_attn_mask_to_KV_maxILi64EEvPK7__half2Piiii
    .private_segment_fixed_size: 0
    .sgpr_count:     106
    .sgpr_spill_count: 170
    .symbol:         _ZL25flash_attn_mask_to_KV_maxILi64EEvPK7__half2Piiii.kd
    .uniform_work_group_size: 1
    .uses_dynamic_stack: false
    .vgpr_count:     15
    .vgpr_spill_count: 0
    .wavefront_size: 64
  - .agpr_count:     0
    .args:
      - .address_space:  global
        .offset:         0
        .size:           8
        .value_kind:     global_buffer
      - .address_space:  global
        .offset:         8
        .size:           8
        .value_kind:     global_buffer
      - .offset:         16
        .size:           4
        .value_kind:     by_value
      - .offset:         20
        .size:           4
        .value_kind:     by_value
      - .offset:         24
        .size:           4
        .value_kind:     by_value
      - .offset:         28
        .size:           4
        .value_kind:     by_value
      - .offset:         32
        .size:           4
        .value_kind:     by_value
      - .offset:         36
        .size:           4
        .value_kind:     by_value
      - .offset:         40
        .size:           12
        .value_kind:     by_value
      - .offset:         52
        .size:           12
        .value_kind:     by_value
      - .offset:         64
        .size:           12
        .value_kind:     by_value
    .group_segment_fixed_size: 0
    .kernarg_segment_align: 8
    .kernarg_segment_size: 76
    .language:       OpenCL C
    .language_version:
      - 2
      - 0
    .max_flat_workgroup_size: 64
    .name:           _ZL33flash_attn_stream_k_fixup_uniformILi64ELi64ELi1EEvPfPK15HIP_vector_typeIfLj2EEiiiiiiS1_IjLj3EES5_S5_
    .private_segment_fixed_size: 0
    .sgpr_count:     30
    .sgpr_spill_count: 0
    .symbol:         _ZL33flash_attn_stream_k_fixup_uniformILi64ELi64ELi1EEvPfPK15HIP_vector_typeIfLj2EEiiiiiiS1_IjLj3EES5_S5_.kd
    .uniform_work_group_size: 1
    .uses_dynamic_stack: false
    .vgpr_count:     17
    .vgpr_spill_count: 0
    .wavefront_size: 64
  - .agpr_count:     0
    .args:
      - .address_space:  global
        .offset:         0
        .size:           8
        .value_kind:     global_buffer
      - .address_space:  global
        .offset:         8
        .size:           8
        .value_kind:     global_buffer
      - .offset:         16
        .size:           4
        .value_kind:     by_value
      - .offset:         20
        .size:           4
        .value_kind:     by_value
      - .offset:         24
        .size:           4
        .value_kind:     by_value
      - .offset:         28
        .size:           4
        .value_kind:     by_value
      - .offset:         32
        .size:           12
        .value_kind:     by_value
      - .offset:         44
        .size:           12
        .value_kind:     by_value
      - .offset:         56
        .size:           12
        .value_kind:     by_value
      - .offset:         68
        .size:           12
        .value_kind:     by_value
      - .offset:         80
        .size:           4
        .value_kind:     hidden_block_count_x
      - .offset:         84
        .size:           4
        .value_kind:     hidden_block_count_y
      - .offset:         88
        .size:           4
        .value_kind:     hidden_block_count_z
      - .offset:         92
        .size:           2
        .value_kind:     hidden_group_size_x
      - .offset:         94
        .size:           2
        .value_kind:     hidden_group_size_y
      - .offset:         96
        .size:           2
        .value_kind:     hidden_group_size_z
      - .offset:         98
        .size:           2
        .value_kind:     hidden_remainder_x
      - .offset:         100
        .size:           2
        .value_kind:     hidden_remainder_y
      - .offset:         102
        .size:           2
        .value_kind:     hidden_remainder_z
      - .offset:         120
        .size:           8
        .value_kind:     hidden_global_offset_x
      - .offset:         128
        .size:           8
        .value_kind:     hidden_global_offset_y
      - .offset:         136
        .size:           8
        .value_kind:     hidden_global_offset_z
      - .offset:         144
        .size:           2
        .value_kind:     hidden_grid_dims
    .group_segment_fixed_size: 0
    .kernarg_segment_align: 8
    .kernarg_segment_size: 336
    .language:       OpenCL C
    .language_version:
      - 2
      - 0
    .max_flat_workgroup_size: 64
    .name:           _ZL33flash_attn_stream_k_fixup_generalILi64ELi64ELi1EEvPfPK15HIP_vector_typeIfLj2EEiiiiS1_IjLj3EES5_S5_S5_
    .private_segment_fixed_size: 0
    .sgpr_count:     42
    .sgpr_spill_count: 0
    .symbol:         _ZL33flash_attn_stream_k_fixup_generalILi64ELi64ELi1EEvPfPK15HIP_vector_typeIfLj2EEiiiiS1_IjLj3EES5_S5_S5_.kd
    .uniform_work_group_size: 1
    .uses_dynamic_stack: false
    .vgpr_count:     18
    .vgpr_spill_count: 0
    .wavefront_size: 64
  - .agpr_count:     0
    .args:
      - .address_space:  global
        .offset:         0
        .size:           8
        .value_kind:     global_buffer
      - .address_space:  global
        .offset:         8
        .size:           8
        .value_kind:     global_buffer
      - .address_space:  global
        .offset:         16
        .size:           8
        .value_kind:     global_buffer
      - .offset:         24
        .size:           4
        .value_kind:     by_value
      - .offset:         32
        .size:           4
        .value_kind:     hidden_block_count_x
      - .offset:         36
        .size:           4
        .value_kind:     hidden_block_count_y
      - .offset:         40
        .size:           4
        .value_kind:     hidden_block_count_z
      - .offset:         44
        .size:           2
        .value_kind:     hidden_group_size_x
      - .offset:         46
        .size:           2
        .value_kind:     hidden_group_size_y
      - .offset:         48
        .size:           2
        .value_kind:     hidden_group_size_z
      - .offset:         50
        .size:           2
        .value_kind:     hidden_remainder_x
      - .offset:         52
        .size:           2
        .value_kind:     hidden_remainder_y
      - .offset:         54
        .size:           2
        .value_kind:     hidden_remainder_z
      - .offset:         72
        .size:           8
        .value_kind:     hidden_global_offset_x
      - .offset:         80
        .size:           8
        .value_kind:     hidden_global_offset_y
      - .offset:         88
        .size:           8
        .value_kind:     hidden_global_offset_z
      - .offset:         96
        .size:           2
        .value_kind:     hidden_grid_dims
      - .offset:         152
        .size:           4
        .value_kind:     hidden_dynamic_lds_size
    .group_segment_fixed_size: 0
    .kernarg_segment_align: 8
    .kernarg_segment_size: 288
    .language:       OpenCL C
    .language_version:
      - 2
      - 0
    .max_flat_workgroup_size: 64
    .name:           _ZL26flash_attn_combine_resultsILi64EEvPKfPK15HIP_vector_typeIfLj2EEPfi
    .private_segment_fixed_size: 0
    .sgpr_count:     32
    .sgpr_spill_count: 0
    .symbol:         _ZL26flash_attn_combine_resultsILi64EEvPKfPK15HIP_vector_typeIfLj2EEPfi.kd
    .uniform_work_group_size: 1
    .uses_dynamic_stack: false
    .vgpr_count:     59
    .vgpr_spill_count: 0
    .wavefront_size: 64
  - .agpr_count:     0
    .args:
      - .address_space:  global
        .offset:         0
        .size:           8
        .value_kind:     global_buffer
      - .address_space:  global
        .offset:         8
        .size:           8
        .value_kind:     global_buffer
      - .address_space:  global
        .offset:         16
        .size:           8
        .value_kind:     global_buffer
      - .address_space:  global
        .offset:         24
        .size:           8
        .value_kind:     global_buffer
      - .address_space:  global
        .offset:         32
        .size:           8
        .value_kind:     global_buffer
      - .address_space:  global
        .offset:         40
        .size:           8
        .value_kind:     global_buffer
      - .address_space:  global
        .offset:         48
        .size:           8
        .value_kind:     global_buffer
      - .address_space:  global
        .offset:         56
        .size:           8
        .value_kind:     global_buffer
      - .offset:         64
        .size:           4
        .value_kind:     by_value
      - .offset:         68
        .size:           4
        .value_kind:     by_value
      - .offset:         72
        .size:           4
        .value_kind:     by_value
      - .offset:         76
        .size:           4
        .value_kind:     by_value
      - .offset:         80
        .size:           4
        .value_kind:     by_value
      - .offset:         84
        .size:           4
        .value_kind:     by_value
      - .offset:         88
        .size:           4
        .value_kind:     by_value
      - .offset:         92
        .size:           12
        .value_kind:     by_value
      - .offset:         104
        .size:           4
        .value_kind:     by_value
      - .offset:         108
        .size:           4
        .value_kind:     by_value
      - .offset:         112
        .size:           4
        .value_kind:     by_value
      - .offset:         116
        .size:           4
        .value_kind:     by_value
      - .offset:         120
        .size:           4
        .value_kind:     by_value
      - .offset:         124
        .size:           4
        .value_kind:     by_value
      - .offset:         128
        .size:           4
        .value_kind:     by_value
      - .offset:         132
        .size:           4
        .value_kind:     by_value
      - .offset:         136
        .size:           4
        .value_kind:     by_value
      - .offset:         140
        .size:           4
        .value_kind:     by_value
      - .offset:         144
        .size:           4
        .value_kind:     by_value
      - .offset:         152
        .size:           8
        .value_kind:     by_value
      - .offset:         160
        .size:           4
        .value_kind:     by_value
      - .offset:         164
        .size:           4
        .value_kind:     by_value
      - .offset:         168
        .size:           8
        .value_kind:     by_value
      - .offset:         176
        .size:           4
        .value_kind:     by_value
      - .offset:         180
        .size:           4
        .value_kind:     by_value
      - .offset:         184
        .size:           4
        .value_kind:     by_value
      - .offset:         188
        .size:           4
        .value_kind:     by_value
      - .offset:         192
        .size:           4
        .value_kind:     by_value
      - .offset:         200
        .size:           8
        .value_kind:     by_value
      - .offset:         208
        .size:           4
        .value_kind:     hidden_block_count_x
      - .offset:         212
        .size:           4
        .value_kind:     hidden_block_count_y
      - .offset:         216
        .size:           4
        .value_kind:     hidden_block_count_z
      - .offset:         220
        .size:           2
        .value_kind:     hidden_group_size_x
      - .offset:         222
        .size:           2
        .value_kind:     hidden_group_size_y
      - .offset:         224
        .size:           2
        .value_kind:     hidden_group_size_z
      - .offset:         226
        .size:           2
        .value_kind:     hidden_remainder_x
      - .offset:         228
        .size:           2
        .value_kind:     hidden_remainder_y
      - .offset:         230
        .size:           2
        .value_kind:     hidden_remainder_z
      - .offset:         248
        .size:           8
        .value_kind:     hidden_global_offset_x
      - .offset:         256
        .size:           8
        .value_kind:     hidden_global_offset_y
      - .offset:         264
        .size:           8
        .value_kind:     hidden_global_offset_z
      - .offset:         272
        .size:           2
        .value_kind:     hidden_grid_dims
      - .offset:         328
        .size:           4
        .value_kind:     hidden_dynamic_lds_size
    .group_segment_fixed_size: 0
    .kernarg_segment_align: 8
    .kernarg_segment_size: 464
    .language:       OpenCL C
    .language_version:
      - 2
      - 0
    .max_flat_workgroup_size: 256
    .name:           _ZL18flash_attn_ext_f16ILi80ELi80ELi64ELi1ELb0ELb0EEvPKcS1_S1_S1_S1_PKiPfP15HIP_vector_typeIfLj2EEffffjfiS5_IjLj3EEiiiiiiiiiiiliiliiiiil
    .private_segment_fixed_size: 48
    .sgpr_count:     106
    .sgpr_spill_count: 146
    .symbol:         _ZL18flash_attn_ext_f16ILi80ELi80ELi64ELi1ELb0ELb0EEvPKcS1_S1_S1_S1_PKiPfP15HIP_vector_typeIfLj2EEffffjfiS5_IjLj3EEiiiiiiiiiiiliiliiiiil.kd
    .uniform_work_group_size: 1
    .uses_dynamic_stack: false
    .vgpr_count:     256
    .vgpr_spill_count: 6
    .wavefront_size: 64
  - .agpr_count:     0
    .args:
      - .address_space:  global
        .offset:         0
        .size:           8
        .value_kind:     global_buffer
      - .address_space:  global
        .offset:         8
        .size:           8
        .value_kind:     global_buffer
      - .address_space:  global
        .offset:         16
        .size:           8
        .value_kind:     global_buffer
      - .address_space:  global
        .offset:         24
        .size:           8
        .value_kind:     global_buffer
      - .address_space:  global
        .offset:         32
        .size:           8
        .value_kind:     global_buffer
      - .address_space:  global
        .offset:         40
        .size:           8
        .value_kind:     global_buffer
      - .address_space:  global
        .offset:         48
        .size:           8
        .value_kind:     global_buffer
      - .address_space:  global
        .offset:         56
        .size:           8
        .value_kind:     global_buffer
      - .offset:         64
        .size:           4
        .value_kind:     by_value
      - .offset:         68
        .size:           4
        .value_kind:     by_value
      - .offset:         72
        .size:           4
        .value_kind:     by_value
      - .offset:         76
        .size:           4
        .value_kind:     by_value
      - .offset:         80
        .size:           4
        .value_kind:     by_value
      - .offset:         84
        .size:           4
        .value_kind:     by_value
      - .offset:         88
        .size:           4
        .value_kind:     by_value
      - .offset:         92
        .size:           12
        .value_kind:     by_value
      - .offset:         104
        .size:           4
        .value_kind:     by_value
      - .offset:         108
        .size:           4
        .value_kind:     by_value
      - .offset:         112
        .size:           4
        .value_kind:     by_value
      - .offset:         116
        .size:           4
        .value_kind:     by_value
      - .offset:         120
        .size:           4
        .value_kind:     by_value
      - .offset:         124
        .size:           4
        .value_kind:     by_value
      - .offset:         128
        .size:           4
        .value_kind:     by_value
      - .offset:         132
        .size:           4
        .value_kind:     by_value
      - .offset:         136
        .size:           4
        .value_kind:     by_value
      - .offset:         140
        .size:           4
        .value_kind:     by_value
      - .offset:         144
        .size:           4
        .value_kind:     by_value
      - .offset:         152
        .size:           8
        .value_kind:     by_value
      - .offset:         160
        .size:           4
        .value_kind:     by_value
      - .offset:         164
        .size:           4
        .value_kind:     by_value
      - .offset:         168
        .size:           8
        .value_kind:     by_value
      - .offset:         176
        .size:           4
        .value_kind:     by_value
      - .offset:         180
        .size:           4
        .value_kind:     by_value
      - .offset:         184
        .size:           4
        .value_kind:     by_value
      - .offset:         188
        .size:           4
        .value_kind:     by_value
      - .offset:         192
        .size:           4
        .value_kind:     by_value
      - .offset:         200
        .size:           8
        .value_kind:     by_value
      - .offset:         208
        .size:           4
        .value_kind:     hidden_block_count_x
      - .offset:         212
        .size:           4
        .value_kind:     hidden_block_count_y
      - .offset:         216
        .size:           4
        .value_kind:     hidden_block_count_z
      - .offset:         220
        .size:           2
        .value_kind:     hidden_group_size_x
      - .offset:         222
        .size:           2
        .value_kind:     hidden_group_size_y
      - .offset:         224
        .size:           2
        .value_kind:     hidden_group_size_z
      - .offset:         226
        .size:           2
        .value_kind:     hidden_remainder_x
      - .offset:         228
        .size:           2
        .value_kind:     hidden_remainder_y
      - .offset:         230
        .size:           2
        .value_kind:     hidden_remainder_z
      - .offset:         248
        .size:           8
        .value_kind:     hidden_global_offset_x
      - .offset:         256
        .size:           8
        .value_kind:     hidden_global_offset_y
      - .offset:         264
        .size:           8
        .value_kind:     hidden_global_offset_z
      - .offset:         272
        .size:           2
        .value_kind:     hidden_grid_dims
      - .offset:         288
        .size:           8
        .value_kind:     hidden_hostcall_buffer
    .group_segment_fixed_size: 0
    .kernarg_segment_align: 8
    .kernarg_segment_size: 464
    .language:       OpenCL C
    .language_version:
      - 2
      - 0
    .max_flat_workgroup_size: 256
    .name:           _ZL18flash_attn_ext_f16ILi80ELi80ELi64ELi1ELb1ELb0EEvPKcS1_S1_S1_S1_PKiPfP15HIP_vector_typeIfLj2EEffffjfiS5_IjLj3EEiiiiiiiiiiiliiliiiiil
    .private_segment_fixed_size: 16
    .sgpr_count:     40
    .sgpr_spill_count: 0
    .symbol:         _ZL18flash_attn_ext_f16ILi80ELi80ELi64ELi1ELb1ELb0EEvPKcS1_S1_S1_S1_PKiPfP15HIP_vector_typeIfLj2EEffffjfiS5_IjLj3EEiiiiiiiiiiiliiliiiiil.kd
    .uniform_work_group_size: 1
    .uses_dynamic_stack: false
    .vgpr_count:     50
    .vgpr_spill_count: 0
    .wavefront_size: 64
  - .agpr_count:     0
    .args:
      - .address_space:  global
        .offset:         0
        .size:           8
        .value_kind:     global_buffer
      - .address_space:  global
        .offset:         8
        .size:           8
        .value_kind:     global_buffer
      - .offset:         16
        .size:           4
        .value_kind:     by_value
      - .offset:         20
        .size:           4
        .value_kind:     by_value
      - .offset:         24
        .size:           4
        .value_kind:     by_value
      - .offset:         28
        .size:           4
        .value_kind:     by_value
      - .offset:         32
        .size:           4
        .value_kind:     by_value
      - .offset:         36
        .size:           4
        .value_kind:     by_value
      - .offset:         40
        .size:           12
        .value_kind:     by_value
      - .offset:         52
        .size:           12
        .value_kind:     by_value
      - .offset:         64
        .size:           12
        .value_kind:     by_value
    .group_segment_fixed_size: 0
    .kernarg_segment_align: 8
    .kernarg_segment_size: 76
    .language:       OpenCL C
    .language_version:
      - 2
      - 0
    .max_flat_workgroup_size: 80
    .name:           _ZL33flash_attn_stream_k_fixup_uniformILi80ELi64ELi1EEvPfPK15HIP_vector_typeIfLj2EEiiiiiiS1_IjLj3EES5_S5_
    .private_segment_fixed_size: 0
    .sgpr_count:     26
    .sgpr_spill_count: 0
    .symbol:         _ZL33flash_attn_stream_k_fixup_uniformILi80ELi64ELi1EEvPfPK15HIP_vector_typeIfLj2EEiiiiiiS1_IjLj3EES5_S5_.kd
    .uniform_work_group_size: 1
    .uses_dynamic_stack: false
    .vgpr_count:     17
    .vgpr_spill_count: 0
    .wavefront_size: 64
  - .agpr_count:     0
    .args:
      - .address_space:  global
        .offset:         0
        .size:           8
        .value_kind:     global_buffer
      - .address_space:  global
        .offset:         8
        .size:           8
        .value_kind:     global_buffer
      - .offset:         16
        .size:           4
        .value_kind:     by_value
      - .offset:         20
        .size:           4
        .value_kind:     by_value
      - .offset:         24
        .size:           4
        .value_kind:     by_value
      - .offset:         28
        .size:           4
        .value_kind:     by_value
      - .offset:         32
        .size:           12
        .value_kind:     by_value
      - .offset:         44
        .size:           12
        .value_kind:     by_value
      - .offset:         56
        .size:           12
        .value_kind:     by_value
      - .offset:         68
        .size:           12
        .value_kind:     by_value
      - .offset:         80
        .size:           4
        .value_kind:     hidden_block_count_x
      - .offset:         84
        .size:           4
        .value_kind:     hidden_block_count_y
      - .offset:         88
        .size:           4
        .value_kind:     hidden_block_count_z
      - .offset:         92
        .size:           2
        .value_kind:     hidden_group_size_x
      - .offset:         94
        .size:           2
        .value_kind:     hidden_group_size_y
      - .offset:         96
        .size:           2
        .value_kind:     hidden_group_size_z
      - .offset:         98
        .size:           2
        .value_kind:     hidden_remainder_x
      - .offset:         100
        .size:           2
        .value_kind:     hidden_remainder_y
      - .offset:         102
        .size:           2
        .value_kind:     hidden_remainder_z
      - .offset:         120
        .size:           8
        .value_kind:     hidden_global_offset_x
      - .offset:         128
        .size:           8
        .value_kind:     hidden_global_offset_y
      - .offset:         136
        .size:           8
        .value_kind:     hidden_global_offset_z
      - .offset:         144
        .size:           2
        .value_kind:     hidden_grid_dims
    .group_segment_fixed_size: 0
    .kernarg_segment_align: 8
    .kernarg_segment_size: 336
    .language:       OpenCL C
    .language_version:
      - 2
      - 0
    .max_flat_workgroup_size: 80
    .name:           _ZL33flash_attn_stream_k_fixup_generalILi80ELi64ELi1EEvPfPK15HIP_vector_typeIfLj2EEiiiiS1_IjLj3EES5_S5_S5_
    .private_segment_fixed_size: 0
    .sgpr_count:     42
    .sgpr_spill_count: 0
    .symbol:         _ZL33flash_attn_stream_k_fixup_generalILi80ELi64ELi1EEvPfPK15HIP_vector_typeIfLj2EEiiiiS1_IjLj3EES5_S5_S5_.kd
    .uniform_work_group_size: 1
    .uses_dynamic_stack: false
    .vgpr_count:     18
    .vgpr_spill_count: 0
    .wavefront_size: 64
  - .agpr_count:     0
    .args:
      - .address_space:  global
        .offset:         0
        .size:           8
        .value_kind:     global_buffer
      - .address_space:  global
        .offset:         8
        .size:           8
        .value_kind:     global_buffer
      - .address_space:  global
        .offset:         16
        .size:           8
        .value_kind:     global_buffer
      - .offset:         24
        .size:           4
        .value_kind:     by_value
      - .offset:         32
        .size:           4
        .value_kind:     hidden_block_count_x
      - .offset:         36
        .size:           4
        .value_kind:     hidden_block_count_y
      - .offset:         40
        .size:           4
        .value_kind:     hidden_block_count_z
      - .offset:         44
        .size:           2
        .value_kind:     hidden_group_size_x
      - .offset:         46
        .size:           2
        .value_kind:     hidden_group_size_y
      - .offset:         48
        .size:           2
        .value_kind:     hidden_group_size_z
      - .offset:         50
        .size:           2
        .value_kind:     hidden_remainder_x
      - .offset:         52
        .size:           2
        .value_kind:     hidden_remainder_y
      - .offset:         54
        .size:           2
        .value_kind:     hidden_remainder_z
      - .offset:         72
        .size:           8
        .value_kind:     hidden_global_offset_x
      - .offset:         80
        .size:           8
        .value_kind:     hidden_global_offset_y
      - .offset:         88
        .size:           8
        .value_kind:     hidden_global_offset_z
      - .offset:         96
        .size:           2
        .value_kind:     hidden_grid_dims
      - .offset:         152
        .size:           4
        .value_kind:     hidden_dynamic_lds_size
    .group_segment_fixed_size: 0
    .kernarg_segment_align: 8
    .kernarg_segment_size: 288
    .language:       OpenCL C
    .language_version:
      - 2
      - 0
    .max_flat_workgroup_size: 80
    .name:           _ZL26flash_attn_combine_resultsILi80EEvPKfPK15HIP_vector_typeIfLj2EEPfi
    .private_segment_fixed_size: 0
    .sgpr_count:     36
    .sgpr_spill_count: 0
    .symbol:         _ZL26flash_attn_combine_resultsILi80EEvPKfPK15HIP_vector_typeIfLj2EEPfi.kd
    .uniform_work_group_size: 1
    .uses_dynamic_stack: false
    .vgpr_count:     57
    .vgpr_spill_count: 0
    .wavefront_size: 64
  - .agpr_count:     0
    .args:
      - .address_space:  global
        .offset:         0
        .size:           8
        .value_kind:     global_buffer
      - .address_space:  global
        .offset:         8
        .size:           8
        .value_kind:     global_buffer
      - .address_space:  global
        .offset:         16
        .size:           8
        .value_kind:     global_buffer
      - .address_space:  global
        .offset:         24
        .size:           8
        .value_kind:     global_buffer
      - .address_space:  global
        .offset:         32
        .size:           8
        .value_kind:     global_buffer
      - .address_space:  global
        .offset:         40
        .size:           8
        .value_kind:     global_buffer
      - .address_space:  global
        .offset:         48
        .size:           8
        .value_kind:     global_buffer
      - .address_space:  global
        .offset:         56
        .size:           8
        .value_kind:     global_buffer
      - .offset:         64
        .size:           4
        .value_kind:     by_value
      - .offset:         68
        .size:           4
        .value_kind:     by_value
      - .offset:         72
        .size:           4
        .value_kind:     by_value
      - .offset:         76
        .size:           4
        .value_kind:     by_value
      - .offset:         80
        .size:           4
        .value_kind:     by_value
      - .offset:         84
        .size:           4
        .value_kind:     by_value
      - .offset:         88
        .size:           4
        .value_kind:     by_value
      - .offset:         92
        .size:           12
        .value_kind:     by_value
      - .offset:         104
        .size:           4
        .value_kind:     by_value
      - .offset:         108
        .size:           4
        .value_kind:     by_value
      - .offset:         112
        .size:           4
        .value_kind:     by_value
      - .offset:         116
        .size:           4
        .value_kind:     by_value
      - .offset:         120
        .size:           4
        .value_kind:     by_value
      - .offset:         124
        .size:           4
        .value_kind:     by_value
      - .offset:         128
        .size:           4
        .value_kind:     by_value
      - .offset:         132
        .size:           4
        .value_kind:     by_value
      - .offset:         136
        .size:           4
        .value_kind:     by_value
      - .offset:         140
        .size:           4
        .value_kind:     by_value
      - .offset:         144
        .size:           4
        .value_kind:     by_value
      - .offset:         152
        .size:           8
        .value_kind:     by_value
      - .offset:         160
        .size:           4
        .value_kind:     by_value
      - .offset:         164
        .size:           4
        .value_kind:     by_value
      - .offset:         168
        .size:           8
        .value_kind:     by_value
      - .offset:         176
        .size:           4
        .value_kind:     by_value
      - .offset:         180
        .size:           4
        .value_kind:     by_value
      - .offset:         184
        .size:           4
        .value_kind:     by_value
      - .offset:         188
        .size:           4
        .value_kind:     by_value
      - .offset:         192
        .size:           4
        .value_kind:     by_value
      - .offset:         200
        .size:           8
        .value_kind:     by_value
      - .offset:         208
        .size:           4
        .value_kind:     hidden_block_count_x
      - .offset:         212
        .size:           4
        .value_kind:     hidden_block_count_y
      - .offset:         216
        .size:           4
        .value_kind:     hidden_block_count_z
      - .offset:         220
        .size:           2
        .value_kind:     hidden_group_size_x
      - .offset:         222
        .size:           2
        .value_kind:     hidden_group_size_y
      - .offset:         224
        .size:           2
        .value_kind:     hidden_group_size_z
      - .offset:         226
        .size:           2
        .value_kind:     hidden_remainder_x
      - .offset:         228
        .size:           2
        .value_kind:     hidden_remainder_y
      - .offset:         230
        .size:           2
        .value_kind:     hidden_remainder_z
      - .offset:         248
        .size:           8
        .value_kind:     hidden_global_offset_x
      - .offset:         256
        .size:           8
        .value_kind:     hidden_global_offset_y
      - .offset:         264
        .size:           8
        .value_kind:     hidden_global_offset_z
      - .offset:         272
        .size:           2
        .value_kind:     hidden_grid_dims
      - .offset:         328
        .size:           4
        .value_kind:     hidden_dynamic_lds_size
    .group_segment_fixed_size: 0
    .kernarg_segment_align: 8
    .kernarg_segment_size: 464
    .language:       OpenCL C
    .language_version:
      - 2
      - 0
    .max_flat_workgroup_size: 256
    .name:           _ZL18flash_attn_ext_f16ILi96ELi96ELi64ELi1ELb0ELb0EEvPKcS1_S1_S1_S1_PKiPfP15HIP_vector_typeIfLj2EEffffjfiS5_IjLj3EEiiiiiiiiiiiliiliiiiil
    .private_segment_fixed_size: 176
    .sgpr_count:     106
    .sgpr_spill_count: 122
    .symbol:         _ZL18flash_attn_ext_f16ILi96ELi96ELi64ELi1ELb0ELb0EEvPKcS1_S1_S1_S1_PKiPfP15HIP_vector_typeIfLj2EEffffjfiS5_IjLj3EEiiiiiiiiiiiliiliiiiil.kd
    .uniform_work_group_size: 1
    .uses_dynamic_stack: false
    .vgpr_count:     256
    .vgpr_spill_count: 38
    .wavefront_size: 64
  - .agpr_count:     0
    .args:
      - .address_space:  global
        .offset:         0
        .size:           8
        .value_kind:     global_buffer
      - .address_space:  global
        .offset:         8
        .size:           8
        .value_kind:     global_buffer
      - .address_space:  global
        .offset:         16
        .size:           8
        .value_kind:     global_buffer
      - .address_space:  global
        .offset:         24
        .size:           8
        .value_kind:     global_buffer
      - .address_space:  global
        .offset:         32
        .size:           8
        .value_kind:     global_buffer
      - .address_space:  global
        .offset:         40
        .size:           8
        .value_kind:     global_buffer
      - .address_space:  global
        .offset:         48
        .size:           8
        .value_kind:     global_buffer
      - .address_space:  global
        .offset:         56
        .size:           8
        .value_kind:     global_buffer
      - .offset:         64
        .size:           4
        .value_kind:     by_value
      - .offset:         68
        .size:           4
        .value_kind:     by_value
      - .offset:         72
        .size:           4
        .value_kind:     by_value
      - .offset:         76
        .size:           4
        .value_kind:     by_value
      - .offset:         80
        .size:           4
        .value_kind:     by_value
      - .offset:         84
        .size:           4
        .value_kind:     by_value
      - .offset:         88
        .size:           4
        .value_kind:     by_value
      - .offset:         92
        .size:           12
        .value_kind:     by_value
      - .offset:         104
        .size:           4
        .value_kind:     by_value
      - .offset:         108
        .size:           4
        .value_kind:     by_value
      - .offset:         112
        .size:           4
        .value_kind:     by_value
      - .offset:         116
        .size:           4
        .value_kind:     by_value
      - .offset:         120
        .size:           4
        .value_kind:     by_value
      - .offset:         124
        .size:           4
        .value_kind:     by_value
      - .offset:         128
        .size:           4
        .value_kind:     by_value
      - .offset:         132
        .size:           4
        .value_kind:     by_value
      - .offset:         136
        .size:           4
        .value_kind:     by_value
      - .offset:         140
        .size:           4
        .value_kind:     by_value
      - .offset:         144
        .size:           4
        .value_kind:     by_value
      - .offset:         152
        .size:           8
        .value_kind:     by_value
      - .offset:         160
        .size:           4
        .value_kind:     by_value
      - .offset:         164
        .size:           4
        .value_kind:     by_value
      - .offset:         168
        .size:           8
        .value_kind:     by_value
      - .offset:         176
        .size:           4
        .value_kind:     by_value
      - .offset:         180
        .size:           4
        .value_kind:     by_value
      - .offset:         184
        .size:           4
        .value_kind:     by_value
      - .offset:         188
        .size:           4
        .value_kind:     by_value
      - .offset:         192
        .size:           4
        .value_kind:     by_value
      - .offset:         200
        .size:           8
        .value_kind:     by_value
      - .offset:         208
        .size:           4
        .value_kind:     hidden_block_count_x
      - .offset:         212
        .size:           4
        .value_kind:     hidden_block_count_y
      - .offset:         216
        .size:           4
        .value_kind:     hidden_block_count_z
      - .offset:         220
        .size:           2
        .value_kind:     hidden_group_size_x
      - .offset:         222
        .size:           2
        .value_kind:     hidden_group_size_y
      - .offset:         224
        .size:           2
        .value_kind:     hidden_group_size_z
      - .offset:         226
        .size:           2
        .value_kind:     hidden_remainder_x
      - .offset:         228
        .size:           2
        .value_kind:     hidden_remainder_y
      - .offset:         230
        .size:           2
        .value_kind:     hidden_remainder_z
      - .offset:         248
        .size:           8
        .value_kind:     hidden_global_offset_x
      - .offset:         256
        .size:           8
        .value_kind:     hidden_global_offset_y
      - .offset:         264
        .size:           8
        .value_kind:     hidden_global_offset_z
      - .offset:         272
        .size:           2
        .value_kind:     hidden_grid_dims
      - .offset:         288
        .size:           8
        .value_kind:     hidden_hostcall_buffer
    .group_segment_fixed_size: 0
    .kernarg_segment_align: 8
    .kernarg_segment_size: 464
    .language:       OpenCL C
    .language_version:
      - 2
      - 0
    .max_flat_workgroup_size: 256
    .name:           _ZL18flash_attn_ext_f16ILi96ELi96ELi64ELi1ELb1ELb0EEvPKcS1_S1_S1_S1_PKiPfP15HIP_vector_typeIfLj2EEffffjfiS5_IjLj3EEiiiiiiiiiiiliiliiiiil
    .private_segment_fixed_size: 16
    .sgpr_count:     40
    .sgpr_spill_count: 0
    .symbol:         _ZL18flash_attn_ext_f16ILi96ELi96ELi64ELi1ELb1ELb0EEvPKcS1_S1_S1_S1_PKiPfP15HIP_vector_typeIfLj2EEffffjfiS5_IjLj3EEiiiiiiiiiiiliiliiiiil.kd
    .uniform_work_group_size: 1
    .uses_dynamic_stack: false
    .vgpr_count:     50
    .vgpr_spill_count: 0
    .wavefront_size: 64
  - .agpr_count:     0
    .args:
      - .address_space:  global
        .offset:         0
        .size:           8
        .value_kind:     global_buffer
      - .address_space:  global
        .offset:         8
        .size:           8
        .value_kind:     global_buffer
      - .offset:         16
        .size:           4
        .value_kind:     by_value
      - .offset:         20
        .size:           4
        .value_kind:     by_value
      - .offset:         24
        .size:           4
        .value_kind:     by_value
      - .offset:         28
        .size:           4
        .value_kind:     by_value
      - .offset:         32
        .size:           4
        .value_kind:     by_value
      - .offset:         36
        .size:           4
        .value_kind:     by_value
      - .offset:         40
        .size:           12
        .value_kind:     by_value
      - .offset:         52
        .size:           12
        .value_kind:     by_value
      - .offset:         64
        .size:           12
        .value_kind:     by_value
    .group_segment_fixed_size: 0
    .kernarg_segment_align: 8
    .kernarg_segment_size: 76
    .language:       OpenCL C
    .language_version:
      - 2
      - 0
    .max_flat_workgroup_size: 96
    .name:           _ZL33flash_attn_stream_k_fixup_uniformILi96ELi64ELi1EEvPfPK15HIP_vector_typeIfLj2EEiiiiiiS1_IjLj3EES5_S5_
    .private_segment_fixed_size: 0
    .sgpr_count:     26
    .sgpr_spill_count: 0
    .symbol:         _ZL33flash_attn_stream_k_fixup_uniformILi96ELi64ELi1EEvPfPK15HIP_vector_typeIfLj2EEiiiiiiS1_IjLj3EES5_S5_.kd
    .uniform_work_group_size: 1
    .uses_dynamic_stack: false
    .vgpr_count:     17
    .vgpr_spill_count: 0
    .wavefront_size: 64
  - .agpr_count:     0
    .args:
      - .address_space:  global
        .offset:         0
        .size:           8
        .value_kind:     global_buffer
      - .address_space:  global
        .offset:         8
        .size:           8
        .value_kind:     global_buffer
      - .offset:         16
        .size:           4
        .value_kind:     by_value
      - .offset:         20
        .size:           4
        .value_kind:     by_value
      - .offset:         24
        .size:           4
        .value_kind:     by_value
      - .offset:         28
        .size:           4
        .value_kind:     by_value
      - .offset:         32
        .size:           12
        .value_kind:     by_value
      - .offset:         44
        .size:           12
        .value_kind:     by_value
      - .offset:         56
        .size:           12
        .value_kind:     by_value
      - .offset:         68
        .size:           12
        .value_kind:     by_value
      - .offset:         80
        .size:           4
        .value_kind:     hidden_block_count_x
      - .offset:         84
        .size:           4
        .value_kind:     hidden_block_count_y
      - .offset:         88
        .size:           4
        .value_kind:     hidden_block_count_z
      - .offset:         92
        .size:           2
        .value_kind:     hidden_group_size_x
      - .offset:         94
        .size:           2
        .value_kind:     hidden_group_size_y
      - .offset:         96
        .size:           2
        .value_kind:     hidden_group_size_z
      - .offset:         98
        .size:           2
        .value_kind:     hidden_remainder_x
      - .offset:         100
        .size:           2
        .value_kind:     hidden_remainder_y
      - .offset:         102
        .size:           2
        .value_kind:     hidden_remainder_z
      - .offset:         120
        .size:           8
        .value_kind:     hidden_global_offset_x
      - .offset:         128
        .size:           8
        .value_kind:     hidden_global_offset_y
      - .offset:         136
        .size:           8
        .value_kind:     hidden_global_offset_z
      - .offset:         144
        .size:           2
        .value_kind:     hidden_grid_dims
    .group_segment_fixed_size: 0
    .kernarg_segment_align: 8
    .kernarg_segment_size: 336
    .language:       OpenCL C
    .language_version:
      - 2
      - 0
    .max_flat_workgroup_size: 96
    .name:           _ZL33flash_attn_stream_k_fixup_generalILi96ELi64ELi1EEvPfPK15HIP_vector_typeIfLj2EEiiiiS1_IjLj3EES5_S5_S5_
    .private_segment_fixed_size: 0
    .sgpr_count:     42
    .sgpr_spill_count: 0
    .symbol:         _ZL33flash_attn_stream_k_fixup_generalILi96ELi64ELi1EEvPfPK15HIP_vector_typeIfLj2EEiiiiS1_IjLj3EES5_S5_S5_.kd
    .uniform_work_group_size: 1
    .uses_dynamic_stack: false
    .vgpr_count:     18
    .vgpr_spill_count: 0
    .wavefront_size: 64
  - .agpr_count:     0
    .args:
      - .address_space:  global
        .offset:         0
        .size:           8
        .value_kind:     global_buffer
      - .address_space:  global
        .offset:         8
        .size:           8
        .value_kind:     global_buffer
      - .address_space:  global
        .offset:         16
        .size:           8
        .value_kind:     global_buffer
      - .offset:         24
        .size:           4
        .value_kind:     by_value
      - .offset:         32
        .size:           4
        .value_kind:     hidden_block_count_x
      - .offset:         36
        .size:           4
        .value_kind:     hidden_block_count_y
      - .offset:         40
        .size:           4
        .value_kind:     hidden_block_count_z
      - .offset:         44
        .size:           2
        .value_kind:     hidden_group_size_x
      - .offset:         46
        .size:           2
        .value_kind:     hidden_group_size_y
      - .offset:         48
        .size:           2
        .value_kind:     hidden_group_size_z
      - .offset:         50
        .size:           2
        .value_kind:     hidden_remainder_x
      - .offset:         52
        .size:           2
        .value_kind:     hidden_remainder_y
      - .offset:         54
        .size:           2
        .value_kind:     hidden_remainder_z
      - .offset:         72
        .size:           8
        .value_kind:     hidden_global_offset_x
      - .offset:         80
        .size:           8
        .value_kind:     hidden_global_offset_y
      - .offset:         88
        .size:           8
        .value_kind:     hidden_global_offset_z
      - .offset:         96
        .size:           2
        .value_kind:     hidden_grid_dims
      - .offset:         152
        .size:           4
        .value_kind:     hidden_dynamic_lds_size
    .group_segment_fixed_size: 0
    .kernarg_segment_align: 8
    .kernarg_segment_size: 288
    .language:       OpenCL C
    .language_version:
      - 2
      - 0
    .max_flat_workgroup_size: 96
    .name:           _ZL26flash_attn_combine_resultsILi96EEvPKfPK15HIP_vector_typeIfLj2EEPfi
    .private_segment_fixed_size: 0
    .sgpr_count:     38
    .sgpr_spill_count: 0
    .symbol:         _ZL26flash_attn_combine_resultsILi96EEvPKfPK15HIP_vector_typeIfLj2EEPfi.kd
    .uniform_work_group_size: 1
    .uses_dynamic_stack: false
    .vgpr_count:     57
    .vgpr_spill_count: 0
    .wavefront_size: 64
  - .agpr_count:     0
    .args:
      - .address_space:  global
        .offset:         0
        .size:           8
        .value_kind:     global_buffer
      - .address_space:  global
        .offset:         8
        .size:           8
        .value_kind:     global_buffer
      - .address_space:  global
        .offset:         16
        .size:           8
        .value_kind:     global_buffer
      - .address_space:  global
        .offset:         24
        .size:           8
        .value_kind:     global_buffer
      - .address_space:  global
        .offset:         32
        .size:           8
        .value_kind:     global_buffer
      - .address_space:  global
        .offset:         40
        .size:           8
        .value_kind:     global_buffer
      - .address_space:  global
        .offset:         48
        .size:           8
        .value_kind:     global_buffer
      - .address_space:  global
        .offset:         56
        .size:           8
        .value_kind:     global_buffer
      - .offset:         64
        .size:           4
        .value_kind:     by_value
      - .offset:         68
        .size:           4
        .value_kind:     by_value
      - .offset:         72
        .size:           4
        .value_kind:     by_value
      - .offset:         76
        .size:           4
        .value_kind:     by_value
      - .offset:         80
        .size:           4
        .value_kind:     by_value
      - .offset:         84
        .size:           4
        .value_kind:     by_value
      - .offset:         88
        .size:           4
        .value_kind:     by_value
      - .offset:         92
        .size:           12
        .value_kind:     by_value
      - .offset:         104
        .size:           4
        .value_kind:     by_value
      - .offset:         108
        .size:           4
        .value_kind:     by_value
      - .offset:         112
        .size:           4
        .value_kind:     by_value
      - .offset:         116
        .size:           4
        .value_kind:     by_value
      - .offset:         120
        .size:           4
        .value_kind:     by_value
      - .offset:         124
        .size:           4
        .value_kind:     by_value
      - .offset:         128
        .size:           4
        .value_kind:     by_value
      - .offset:         132
        .size:           4
        .value_kind:     by_value
      - .offset:         136
        .size:           4
        .value_kind:     by_value
      - .offset:         140
        .size:           4
        .value_kind:     by_value
      - .offset:         144
        .size:           4
        .value_kind:     by_value
      - .offset:         152
        .size:           8
        .value_kind:     by_value
      - .offset:         160
        .size:           4
        .value_kind:     by_value
      - .offset:         164
        .size:           4
        .value_kind:     by_value
      - .offset:         168
        .size:           8
        .value_kind:     by_value
      - .offset:         176
        .size:           4
        .value_kind:     by_value
      - .offset:         180
        .size:           4
        .value_kind:     by_value
      - .offset:         184
        .size:           4
        .value_kind:     by_value
      - .offset:         188
        .size:           4
        .value_kind:     by_value
      - .offset:         192
        .size:           4
        .value_kind:     by_value
      - .offset:         200
        .size:           8
        .value_kind:     by_value
      - .offset:         208
        .size:           4
        .value_kind:     hidden_block_count_x
      - .offset:         212
        .size:           4
        .value_kind:     hidden_block_count_y
      - .offset:         216
        .size:           4
        .value_kind:     hidden_block_count_z
      - .offset:         220
        .size:           2
        .value_kind:     hidden_group_size_x
      - .offset:         222
        .size:           2
        .value_kind:     hidden_group_size_y
      - .offset:         224
        .size:           2
        .value_kind:     hidden_group_size_z
      - .offset:         226
        .size:           2
        .value_kind:     hidden_remainder_x
      - .offset:         228
        .size:           2
        .value_kind:     hidden_remainder_y
      - .offset:         230
        .size:           2
        .value_kind:     hidden_remainder_z
      - .offset:         248
        .size:           8
        .value_kind:     hidden_global_offset_x
      - .offset:         256
        .size:           8
        .value_kind:     hidden_global_offset_y
      - .offset:         264
        .size:           8
        .value_kind:     hidden_global_offset_z
      - .offset:         272
        .size:           2
        .value_kind:     hidden_grid_dims
      - .offset:         328
        .size:           4
        .value_kind:     hidden_dynamic_lds_size
    .group_segment_fixed_size: 0
    .kernarg_segment_align: 8
    .kernarg_segment_size: 464
    .language:       OpenCL C
    .language_version:
      - 2
      - 0
    .max_flat_workgroup_size: 256
    .name:           _ZL18flash_attn_ext_f16ILi112ELi112ELi64ELi1ELb0ELb0EEvPKcS1_S1_S1_S1_PKiPfP15HIP_vector_typeIfLj2EEffffjfiS5_IjLj3EEiiiiiiiiiiiliiliiiiil
    .private_segment_fixed_size: 240
    .sgpr_count:     106
    .sgpr_spill_count: 140
    .symbol:         _ZL18flash_attn_ext_f16ILi112ELi112ELi64ELi1ELb0ELb0EEvPKcS1_S1_S1_S1_PKiPfP15HIP_vector_typeIfLj2EEffffjfiS5_IjLj3EEiiiiiiiiiiiliiliiiiil.kd
    .uniform_work_group_size: 1
    .uses_dynamic_stack: false
    .vgpr_count:     256
    .vgpr_spill_count: 53
    .wavefront_size: 64
  - .agpr_count:     0
    .args:
      - .address_space:  global
        .offset:         0
        .size:           8
        .value_kind:     global_buffer
      - .address_space:  global
        .offset:         8
        .size:           8
        .value_kind:     global_buffer
      - .address_space:  global
        .offset:         16
        .size:           8
        .value_kind:     global_buffer
      - .address_space:  global
        .offset:         24
        .size:           8
        .value_kind:     global_buffer
      - .address_space:  global
        .offset:         32
        .size:           8
        .value_kind:     global_buffer
      - .address_space:  global
        .offset:         40
        .size:           8
        .value_kind:     global_buffer
      - .address_space:  global
        .offset:         48
        .size:           8
        .value_kind:     global_buffer
      - .address_space:  global
        .offset:         56
        .size:           8
        .value_kind:     global_buffer
      - .offset:         64
        .size:           4
        .value_kind:     by_value
      - .offset:         68
        .size:           4
        .value_kind:     by_value
      - .offset:         72
        .size:           4
        .value_kind:     by_value
      - .offset:         76
        .size:           4
        .value_kind:     by_value
      - .offset:         80
        .size:           4
        .value_kind:     by_value
      - .offset:         84
        .size:           4
        .value_kind:     by_value
      - .offset:         88
        .size:           4
        .value_kind:     by_value
      - .offset:         92
        .size:           12
        .value_kind:     by_value
      - .offset:         104
        .size:           4
        .value_kind:     by_value
      - .offset:         108
        .size:           4
        .value_kind:     by_value
      - .offset:         112
        .size:           4
        .value_kind:     by_value
      - .offset:         116
        .size:           4
        .value_kind:     by_value
      - .offset:         120
        .size:           4
        .value_kind:     by_value
      - .offset:         124
        .size:           4
        .value_kind:     by_value
      - .offset:         128
        .size:           4
        .value_kind:     by_value
      - .offset:         132
        .size:           4
        .value_kind:     by_value
      - .offset:         136
        .size:           4
        .value_kind:     by_value
      - .offset:         140
        .size:           4
        .value_kind:     by_value
      - .offset:         144
        .size:           4
        .value_kind:     by_value
      - .offset:         152
        .size:           8
        .value_kind:     by_value
      - .offset:         160
        .size:           4
        .value_kind:     by_value
      - .offset:         164
        .size:           4
        .value_kind:     by_value
      - .offset:         168
        .size:           8
        .value_kind:     by_value
      - .offset:         176
        .size:           4
        .value_kind:     by_value
      - .offset:         180
        .size:           4
        .value_kind:     by_value
      - .offset:         184
        .size:           4
        .value_kind:     by_value
      - .offset:         188
        .size:           4
        .value_kind:     by_value
      - .offset:         192
        .size:           4
        .value_kind:     by_value
      - .offset:         200
        .size:           8
        .value_kind:     by_value
      - .offset:         208
        .size:           4
        .value_kind:     hidden_block_count_x
      - .offset:         212
        .size:           4
        .value_kind:     hidden_block_count_y
      - .offset:         216
        .size:           4
        .value_kind:     hidden_block_count_z
      - .offset:         220
        .size:           2
        .value_kind:     hidden_group_size_x
      - .offset:         222
        .size:           2
        .value_kind:     hidden_group_size_y
      - .offset:         224
        .size:           2
        .value_kind:     hidden_group_size_z
      - .offset:         226
        .size:           2
        .value_kind:     hidden_remainder_x
      - .offset:         228
        .size:           2
        .value_kind:     hidden_remainder_y
      - .offset:         230
        .size:           2
        .value_kind:     hidden_remainder_z
      - .offset:         248
        .size:           8
        .value_kind:     hidden_global_offset_x
      - .offset:         256
        .size:           8
        .value_kind:     hidden_global_offset_y
      - .offset:         264
        .size:           8
        .value_kind:     hidden_global_offset_z
      - .offset:         272
        .size:           2
        .value_kind:     hidden_grid_dims
      - .offset:         288
        .size:           8
        .value_kind:     hidden_hostcall_buffer
    .group_segment_fixed_size: 0
    .kernarg_segment_align: 8
    .kernarg_segment_size: 464
    .language:       OpenCL C
    .language_version:
      - 2
      - 0
    .max_flat_workgroup_size: 256
    .name:           _ZL18flash_attn_ext_f16ILi112ELi112ELi64ELi1ELb1ELb0EEvPKcS1_S1_S1_S1_PKiPfP15HIP_vector_typeIfLj2EEffffjfiS5_IjLj3EEiiiiiiiiiiiliiliiiiil
    .private_segment_fixed_size: 16
    .sgpr_count:     40
    .sgpr_spill_count: 0
    .symbol:         _ZL18flash_attn_ext_f16ILi112ELi112ELi64ELi1ELb1ELb0EEvPKcS1_S1_S1_S1_PKiPfP15HIP_vector_typeIfLj2EEffffjfiS5_IjLj3EEiiiiiiiiiiiliiliiiiil.kd
    .uniform_work_group_size: 1
    .uses_dynamic_stack: false
    .vgpr_count:     50
    .vgpr_spill_count: 0
    .wavefront_size: 64
  - .agpr_count:     0
    .args:
      - .address_space:  global
        .offset:         0
        .size:           8
        .value_kind:     global_buffer
      - .address_space:  global
        .offset:         8
        .size:           8
        .value_kind:     global_buffer
      - .offset:         16
        .size:           4
        .value_kind:     by_value
      - .offset:         20
        .size:           4
        .value_kind:     by_value
      - .offset:         24
        .size:           4
        .value_kind:     by_value
      - .offset:         28
        .size:           4
        .value_kind:     by_value
      - .offset:         32
        .size:           4
        .value_kind:     by_value
      - .offset:         36
        .size:           4
        .value_kind:     by_value
      - .offset:         40
        .size:           12
        .value_kind:     by_value
      - .offset:         52
        .size:           12
        .value_kind:     by_value
      - .offset:         64
        .size:           12
        .value_kind:     by_value
    .group_segment_fixed_size: 0
    .kernarg_segment_align: 8
    .kernarg_segment_size: 76
    .language:       OpenCL C
    .language_version:
      - 2
      - 0
    .max_flat_workgroup_size: 112
    .name:           _ZL33flash_attn_stream_k_fixup_uniformILi112ELi64ELi1EEvPfPK15HIP_vector_typeIfLj2EEiiiiiiS1_IjLj3EES5_S5_
    .private_segment_fixed_size: 0
    .sgpr_count:     26
    .sgpr_spill_count: 0
    .symbol:         _ZL33flash_attn_stream_k_fixup_uniformILi112ELi64ELi1EEvPfPK15HIP_vector_typeIfLj2EEiiiiiiS1_IjLj3EES5_S5_.kd
    .uniform_work_group_size: 1
    .uses_dynamic_stack: false
    .vgpr_count:     17
    .vgpr_spill_count: 0
    .wavefront_size: 64
  - .agpr_count:     0
    .args:
      - .address_space:  global
        .offset:         0
        .size:           8
        .value_kind:     global_buffer
      - .address_space:  global
        .offset:         8
        .size:           8
        .value_kind:     global_buffer
      - .offset:         16
        .size:           4
        .value_kind:     by_value
      - .offset:         20
        .size:           4
        .value_kind:     by_value
      - .offset:         24
        .size:           4
        .value_kind:     by_value
      - .offset:         28
        .size:           4
        .value_kind:     by_value
      - .offset:         32
        .size:           12
        .value_kind:     by_value
      - .offset:         44
        .size:           12
        .value_kind:     by_value
      - .offset:         56
        .size:           12
        .value_kind:     by_value
      - .offset:         68
        .size:           12
        .value_kind:     by_value
      - .offset:         80
        .size:           4
        .value_kind:     hidden_block_count_x
      - .offset:         84
        .size:           4
        .value_kind:     hidden_block_count_y
      - .offset:         88
        .size:           4
        .value_kind:     hidden_block_count_z
      - .offset:         92
        .size:           2
        .value_kind:     hidden_group_size_x
      - .offset:         94
        .size:           2
        .value_kind:     hidden_group_size_y
      - .offset:         96
        .size:           2
        .value_kind:     hidden_group_size_z
      - .offset:         98
        .size:           2
        .value_kind:     hidden_remainder_x
      - .offset:         100
        .size:           2
        .value_kind:     hidden_remainder_y
      - .offset:         102
        .size:           2
        .value_kind:     hidden_remainder_z
      - .offset:         120
        .size:           8
        .value_kind:     hidden_global_offset_x
      - .offset:         128
        .size:           8
        .value_kind:     hidden_global_offset_y
      - .offset:         136
        .size:           8
        .value_kind:     hidden_global_offset_z
      - .offset:         144
        .size:           2
        .value_kind:     hidden_grid_dims
    .group_segment_fixed_size: 0
    .kernarg_segment_align: 8
    .kernarg_segment_size: 336
    .language:       OpenCL C
    .language_version:
      - 2
      - 0
    .max_flat_workgroup_size: 112
    .name:           _ZL33flash_attn_stream_k_fixup_generalILi112ELi64ELi1EEvPfPK15HIP_vector_typeIfLj2EEiiiiS1_IjLj3EES5_S5_S5_
    .private_segment_fixed_size: 0
    .sgpr_count:     42
    .sgpr_spill_count: 0
    .symbol:         _ZL33flash_attn_stream_k_fixup_generalILi112ELi64ELi1EEvPfPK15HIP_vector_typeIfLj2EEiiiiS1_IjLj3EES5_S5_S5_.kd
    .uniform_work_group_size: 1
    .uses_dynamic_stack: false
    .vgpr_count:     18
    .vgpr_spill_count: 0
    .wavefront_size: 64
  - .agpr_count:     0
    .args:
      - .address_space:  global
        .offset:         0
        .size:           8
        .value_kind:     global_buffer
      - .address_space:  global
        .offset:         8
        .size:           8
        .value_kind:     global_buffer
      - .address_space:  global
        .offset:         16
        .size:           8
        .value_kind:     global_buffer
      - .offset:         24
        .size:           4
        .value_kind:     by_value
      - .offset:         32
        .size:           4
        .value_kind:     hidden_block_count_x
      - .offset:         36
        .size:           4
        .value_kind:     hidden_block_count_y
      - .offset:         40
        .size:           4
        .value_kind:     hidden_block_count_z
      - .offset:         44
        .size:           2
        .value_kind:     hidden_group_size_x
      - .offset:         46
        .size:           2
        .value_kind:     hidden_group_size_y
      - .offset:         48
        .size:           2
        .value_kind:     hidden_group_size_z
      - .offset:         50
        .size:           2
        .value_kind:     hidden_remainder_x
      - .offset:         52
        .size:           2
        .value_kind:     hidden_remainder_y
      - .offset:         54
        .size:           2
        .value_kind:     hidden_remainder_z
      - .offset:         72
        .size:           8
        .value_kind:     hidden_global_offset_x
      - .offset:         80
        .size:           8
        .value_kind:     hidden_global_offset_y
      - .offset:         88
        .size:           8
        .value_kind:     hidden_global_offset_z
      - .offset:         96
        .size:           2
        .value_kind:     hidden_grid_dims
      - .offset:         152
        .size:           4
        .value_kind:     hidden_dynamic_lds_size
    .group_segment_fixed_size: 0
    .kernarg_segment_align: 8
    .kernarg_segment_size: 288
    .language:       OpenCL C
    .language_version:
      - 2
      - 0
    .max_flat_workgroup_size: 112
    .name:           _ZL26flash_attn_combine_resultsILi112EEvPKfPK15HIP_vector_typeIfLj2EEPfi
    .private_segment_fixed_size: 0
    .sgpr_count:     36
    .sgpr_spill_count: 0
    .symbol:         _ZL26flash_attn_combine_resultsILi112EEvPKfPK15HIP_vector_typeIfLj2EEPfi.kd
    .uniform_work_group_size: 1
    .uses_dynamic_stack: false
    .vgpr_count:     57
    .vgpr_spill_count: 0
    .wavefront_size: 64
  - .agpr_count:     0
    .args:
      - .address_space:  global
        .offset:         0
        .size:           8
        .value_kind:     global_buffer
      - .address_space:  global
        .offset:         8
        .size:           8
        .value_kind:     global_buffer
      - .address_space:  global
        .offset:         16
        .size:           8
        .value_kind:     global_buffer
      - .address_space:  global
        .offset:         24
        .size:           8
        .value_kind:     global_buffer
      - .address_space:  global
        .offset:         32
        .size:           8
        .value_kind:     global_buffer
      - .address_space:  global
        .offset:         40
        .size:           8
        .value_kind:     global_buffer
      - .address_space:  global
        .offset:         48
        .size:           8
        .value_kind:     global_buffer
      - .address_space:  global
        .offset:         56
        .size:           8
        .value_kind:     global_buffer
      - .offset:         64
        .size:           4
        .value_kind:     by_value
      - .offset:         68
        .size:           4
        .value_kind:     by_value
      - .offset:         72
        .size:           4
        .value_kind:     by_value
      - .offset:         76
        .size:           4
        .value_kind:     by_value
      - .offset:         80
        .size:           4
        .value_kind:     by_value
      - .offset:         84
        .size:           4
        .value_kind:     by_value
      - .offset:         88
        .size:           4
        .value_kind:     by_value
      - .offset:         92
        .size:           12
        .value_kind:     by_value
      - .offset:         104
        .size:           4
        .value_kind:     by_value
      - .offset:         108
        .size:           4
        .value_kind:     by_value
      - .offset:         112
        .size:           4
        .value_kind:     by_value
      - .offset:         116
        .size:           4
        .value_kind:     by_value
      - .offset:         120
        .size:           4
        .value_kind:     by_value
      - .offset:         124
        .size:           4
        .value_kind:     by_value
      - .offset:         128
        .size:           4
        .value_kind:     by_value
      - .offset:         132
        .size:           4
        .value_kind:     by_value
      - .offset:         136
        .size:           4
        .value_kind:     by_value
      - .offset:         140
        .size:           4
        .value_kind:     by_value
      - .offset:         144
        .size:           4
        .value_kind:     by_value
      - .offset:         152
        .size:           8
        .value_kind:     by_value
      - .offset:         160
        .size:           4
        .value_kind:     by_value
      - .offset:         164
        .size:           4
        .value_kind:     by_value
      - .offset:         168
        .size:           8
        .value_kind:     by_value
      - .offset:         176
        .size:           4
        .value_kind:     by_value
      - .offset:         180
        .size:           4
        .value_kind:     by_value
      - .offset:         184
        .size:           4
        .value_kind:     by_value
      - .offset:         188
        .size:           4
        .value_kind:     by_value
      - .offset:         192
        .size:           4
        .value_kind:     by_value
      - .offset:         200
        .size:           8
        .value_kind:     by_value
      - .offset:         208
        .size:           4
        .value_kind:     hidden_block_count_x
      - .offset:         212
        .size:           4
        .value_kind:     hidden_block_count_y
      - .offset:         216
        .size:           4
        .value_kind:     hidden_block_count_z
      - .offset:         220
        .size:           2
        .value_kind:     hidden_group_size_x
      - .offset:         222
        .size:           2
        .value_kind:     hidden_group_size_y
      - .offset:         224
        .size:           2
        .value_kind:     hidden_group_size_z
      - .offset:         226
        .size:           2
        .value_kind:     hidden_remainder_x
      - .offset:         228
        .size:           2
        .value_kind:     hidden_remainder_y
      - .offset:         230
        .size:           2
        .value_kind:     hidden_remainder_z
      - .offset:         248
        .size:           8
        .value_kind:     hidden_global_offset_x
      - .offset:         256
        .size:           8
        .value_kind:     hidden_global_offset_y
      - .offset:         264
        .size:           8
        .value_kind:     hidden_global_offset_z
      - .offset:         272
        .size:           2
        .value_kind:     hidden_grid_dims
      - .offset:         328
        .size:           4
        .value_kind:     hidden_dynamic_lds_size
    .group_segment_fixed_size: 0
    .kernarg_segment_align: 8
    .kernarg_segment_size: 464
    .language:       OpenCL C
    .language_version:
      - 2
      - 0
    .max_flat_workgroup_size: 256
    .name:           _ZL18flash_attn_ext_f16ILi128ELi128ELi64ELi1ELb0ELb0EEvPKcS1_S1_S1_S1_PKiPfP15HIP_vector_typeIfLj2EEffffjfiS5_IjLj3EEiiiiiiiiiiiliiliiiiil
    .private_segment_fixed_size: 192
    .sgpr_count:     106
    .sgpr_spill_count: 144
    .symbol:         _ZL18flash_attn_ext_f16ILi128ELi128ELi64ELi1ELb0ELb0EEvPKcS1_S1_S1_S1_PKiPfP15HIP_vector_typeIfLj2EEffffjfiS5_IjLj3EEiiiiiiiiiiiliiliiiiil.kd
    .uniform_work_group_size: 1
    .uses_dynamic_stack: false
    .vgpr_count:     256
    .vgpr_spill_count: 42
    .wavefront_size: 64
  - .agpr_count:     0
    .args:
      - .address_space:  global
        .offset:         0
        .size:           8
        .value_kind:     global_buffer
      - .address_space:  global
        .offset:         8
        .size:           8
        .value_kind:     global_buffer
      - .address_space:  global
        .offset:         16
        .size:           8
        .value_kind:     global_buffer
      - .address_space:  global
        .offset:         24
        .size:           8
        .value_kind:     global_buffer
      - .address_space:  global
        .offset:         32
        .size:           8
        .value_kind:     global_buffer
      - .address_space:  global
        .offset:         40
        .size:           8
        .value_kind:     global_buffer
      - .address_space:  global
        .offset:         48
        .size:           8
        .value_kind:     global_buffer
      - .address_space:  global
        .offset:         56
        .size:           8
        .value_kind:     global_buffer
      - .offset:         64
        .size:           4
        .value_kind:     by_value
      - .offset:         68
        .size:           4
        .value_kind:     by_value
      - .offset:         72
        .size:           4
        .value_kind:     by_value
      - .offset:         76
        .size:           4
        .value_kind:     by_value
      - .offset:         80
        .size:           4
        .value_kind:     by_value
      - .offset:         84
        .size:           4
        .value_kind:     by_value
      - .offset:         88
        .size:           4
        .value_kind:     by_value
      - .offset:         92
        .size:           12
        .value_kind:     by_value
      - .offset:         104
        .size:           4
        .value_kind:     by_value
      - .offset:         108
        .size:           4
        .value_kind:     by_value
      - .offset:         112
        .size:           4
        .value_kind:     by_value
      - .offset:         116
        .size:           4
        .value_kind:     by_value
      - .offset:         120
        .size:           4
        .value_kind:     by_value
      - .offset:         124
        .size:           4
        .value_kind:     by_value
      - .offset:         128
        .size:           4
        .value_kind:     by_value
      - .offset:         132
        .size:           4
        .value_kind:     by_value
      - .offset:         136
        .size:           4
        .value_kind:     by_value
      - .offset:         140
        .size:           4
        .value_kind:     by_value
      - .offset:         144
        .size:           4
        .value_kind:     by_value
      - .offset:         152
        .size:           8
        .value_kind:     by_value
      - .offset:         160
        .size:           4
        .value_kind:     by_value
      - .offset:         164
        .size:           4
        .value_kind:     by_value
      - .offset:         168
        .size:           8
        .value_kind:     by_value
      - .offset:         176
        .size:           4
        .value_kind:     by_value
      - .offset:         180
        .size:           4
        .value_kind:     by_value
      - .offset:         184
        .size:           4
        .value_kind:     by_value
      - .offset:         188
        .size:           4
        .value_kind:     by_value
      - .offset:         192
        .size:           4
        .value_kind:     by_value
      - .offset:         200
        .size:           8
        .value_kind:     by_value
      - .offset:         208
        .size:           4
        .value_kind:     hidden_block_count_x
      - .offset:         212
        .size:           4
        .value_kind:     hidden_block_count_y
      - .offset:         216
        .size:           4
        .value_kind:     hidden_block_count_z
      - .offset:         220
        .size:           2
        .value_kind:     hidden_group_size_x
      - .offset:         222
        .size:           2
        .value_kind:     hidden_group_size_y
      - .offset:         224
        .size:           2
        .value_kind:     hidden_group_size_z
      - .offset:         226
        .size:           2
        .value_kind:     hidden_remainder_x
      - .offset:         228
        .size:           2
        .value_kind:     hidden_remainder_y
      - .offset:         230
        .size:           2
        .value_kind:     hidden_remainder_z
      - .offset:         248
        .size:           8
        .value_kind:     hidden_global_offset_x
      - .offset:         256
        .size:           8
        .value_kind:     hidden_global_offset_y
      - .offset:         264
        .size:           8
        .value_kind:     hidden_global_offset_z
      - .offset:         272
        .size:           2
        .value_kind:     hidden_grid_dims
      - .offset:         328
        .size:           4
        .value_kind:     hidden_dynamic_lds_size
    .group_segment_fixed_size: 0
    .kernarg_segment_align: 8
    .kernarg_segment_size: 464
    .language:       OpenCL C
    .language_version:
      - 2
      - 0
    .max_flat_workgroup_size: 256
    .name:           _ZL18flash_attn_ext_f16ILi128ELi128ELi64ELi1ELb1ELb0EEvPKcS1_S1_S1_S1_PKiPfP15HIP_vector_typeIfLj2EEffffjfiS5_IjLj3EEiiiiiiiiiiiliiliiiiil
    .private_segment_fixed_size: 192
    .sgpr_count:     106
    .sgpr_spill_count: 152
    .symbol:         _ZL18flash_attn_ext_f16ILi128ELi128ELi64ELi1ELb1ELb0EEvPKcS1_S1_S1_S1_PKiPfP15HIP_vector_typeIfLj2EEffffjfiS5_IjLj3EEiiiiiiiiiiiliiliiiiil.kd
    .uniform_work_group_size: 1
    .uses_dynamic_stack: false
    .vgpr_count:     256
    .vgpr_spill_count: 42
    .wavefront_size: 64
  - .agpr_count:     0
    .args:
      - .address_space:  global
        .offset:         0
        .size:           8
        .value_kind:     global_buffer
      - .address_space:  global
        .offset:         8
        .size:           8
        .value_kind:     global_buffer
      - .offset:         16
        .size:           4
        .value_kind:     by_value
      - .offset:         20
        .size:           4
        .value_kind:     by_value
      - .offset:         24
        .size:           4
        .value_kind:     by_value
      - .offset:         28
        .size:           4
        .value_kind:     by_value
      - .offset:         32
        .size:           4
        .value_kind:     by_value
      - .offset:         36
        .size:           4
        .value_kind:     by_value
      - .offset:         40
        .size:           12
        .value_kind:     by_value
      - .offset:         52
        .size:           12
        .value_kind:     by_value
      - .offset:         64
        .size:           12
        .value_kind:     by_value
    .group_segment_fixed_size: 0
    .kernarg_segment_align: 8
    .kernarg_segment_size: 76
    .language:       OpenCL C
    .language_version:
      - 2
      - 0
    .max_flat_workgroup_size: 128
    .name:           _ZL33flash_attn_stream_k_fixup_uniformILi128ELi64ELi1EEvPfPK15HIP_vector_typeIfLj2EEiiiiiiS1_IjLj3EES5_S5_
    .private_segment_fixed_size: 0
    .sgpr_count:     30
    .sgpr_spill_count: 0
    .symbol:         _ZL33flash_attn_stream_k_fixup_uniformILi128ELi64ELi1EEvPfPK15HIP_vector_typeIfLj2EEiiiiiiS1_IjLj3EES5_S5_.kd
    .uniform_work_group_size: 1
    .uses_dynamic_stack: false
    .vgpr_count:     17
    .vgpr_spill_count: 0
    .wavefront_size: 64
  - .agpr_count:     0
    .args:
      - .address_space:  global
        .offset:         0
        .size:           8
        .value_kind:     global_buffer
      - .address_space:  global
        .offset:         8
        .size:           8
        .value_kind:     global_buffer
      - .offset:         16
        .size:           4
        .value_kind:     by_value
      - .offset:         20
        .size:           4
        .value_kind:     by_value
      - .offset:         24
        .size:           4
        .value_kind:     by_value
      - .offset:         28
        .size:           4
        .value_kind:     by_value
      - .offset:         32
        .size:           12
        .value_kind:     by_value
      - .offset:         44
        .size:           12
        .value_kind:     by_value
      - .offset:         56
        .size:           12
        .value_kind:     by_value
      - .offset:         68
        .size:           12
        .value_kind:     by_value
      - .offset:         80
        .size:           4
        .value_kind:     hidden_block_count_x
      - .offset:         84
        .size:           4
        .value_kind:     hidden_block_count_y
      - .offset:         88
        .size:           4
        .value_kind:     hidden_block_count_z
      - .offset:         92
        .size:           2
        .value_kind:     hidden_group_size_x
      - .offset:         94
        .size:           2
        .value_kind:     hidden_group_size_y
      - .offset:         96
        .size:           2
        .value_kind:     hidden_group_size_z
      - .offset:         98
        .size:           2
        .value_kind:     hidden_remainder_x
      - .offset:         100
        .size:           2
        .value_kind:     hidden_remainder_y
      - .offset:         102
        .size:           2
        .value_kind:     hidden_remainder_z
      - .offset:         120
        .size:           8
        .value_kind:     hidden_global_offset_x
      - .offset:         128
        .size:           8
        .value_kind:     hidden_global_offset_y
      - .offset:         136
        .size:           8
        .value_kind:     hidden_global_offset_z
      - .offset:         144
        .size:           2
        .value_kind:     hidden_grid_dims
    .group_segment_fixed_size: 0
    .kernarg_segment_align: 8
    .kernarg_segment_size: 336
    .language:       OpenCL C
    .language_version:
      - 2
      - 0
    .max_flat_workgroup_size: 128
    .name:           _ZL33flash_attn_stream_k_fixup_generalILi128ELi64ELi1EEvPfPK15HIP_vector_typeIfLj2EEiiiiS1_IjLj3EES5_S5_S5_
    .private_segment_fixed_size: 0
    .sgpr_count:     42
    .sgpr_spill_count: 0
    .symbol:         _ZL33flash_attn_stream_k_fixup_generalILi128ELi64ELi1EEvPfPK15HIP_vector_typeIfLj2EEiiiiS1_IjLj3EES5_S5_S5_.kd
    .uniform_work_group_size: 1
    .uses_dynamic_stack: false
    .vgpr_count:     18
    .vgpr_spill_count: 0
    .wavefront_size: 64
  - .agpr_count:     0
    .args:
      - .address_space:  global
        .offset:         0
        .size:           8
        .value_kind:     global_buffer
      - .address_space:  global
        .offset:         8
        .size:           8
        .value_kind:     global_buffer
      - .address_space:  global
        .offset:         16
        .size:           8
        .value_kind:     global_buffer
      - .offset:         24
        .size:           4
        .value_kind:     by_value
      - .offset:         32
        .size:           4
        .value_kind:     hidden_block_count_x
      - .offset:         36
        .size:           4
        .value_kind:     hidden_block_count_y
      - .offset:         40
        .size:           4
        .value_kind:     hidden_block_count_z
      - .offset:         44
        .size:           2
        .value_kind:     hidden_group_size_x
      - .offset:         46
        .size:           2
        .value_kind:     hidden_group_size_y
      - .offset:         48
        .size:           2
        .value_kind:     hidden_group_size_z
      - .offset:         50
        .size:           2
        .value_kind:     hidden_remainder_x
      - .offset:         52
        .size:           2
        .value_kind:     hidden_remainder_y
      - .offset:         54
        .size:           2
        .value_kind:     hidden_remainder_z
      - .offset:         72
        .size:           8
        .value_kind:     hidden_global_offset_x
      - .offset:         80
        .size:           8
        .value_kind:     hidden_global_offset_y
      - .offset:         88
        .size:           8
        .value_kind:     hidden_global_offset_z
      - .offset:         96
        .size:           2
        .value_kind:     hidden_grid_dims
      - .offset:         152
        .size:           4
        .value_kind:     hidden_dynamic_lds_size
    .group_segment_fixed_size: 0
    .kernarg_segment_align: 8
    .kernarg_segment_size: 288
    .language:       OpenCL C
    .language_version:
      - 2
      - 0
    .max_flat_workgroup_size: 128
    .name:           _ZL26flash_attn_combine_resultsILi128EEvPKfPK15HIP_vector_typeIfLj2EEPfi
    .private_segment_fixed_size: 0
    .sgpr_count:     32
    .sgpr_spill_count: 0
    .symbol:         _ZL26flash_attn_combine_resultsILi128EEvPKfPK15HIP_vector_typeIfLj2EEPfi.kd
    .uniform_work_group_size: 1
    .uses_dynamic_stack: false
    .vgpr_count:     59
    .vgpr_spill_count: 0
    .wavefront_size: 64
  - .agpr_count:     0
    .args:
      - .address_space:  global
        .offset:         0
        .size:           8
        .value_kind:     global_buffer
      - .address_space:  global
        .offset:         8
        .size:           8
        .value_kind:     global_buffer
      - .address_space:  global
        .offset:         16
        .size:           8
        .value_kind:     global_buffer
      - .address_space:  global
        .offset:         24
        .size:           8
        .value_kind:     global_buffer
      - .address_space:  global
        .offset:         32
        .size:           8
        .value_kind:     global_buffer
      - .address_space:  global
        .offset:         40
        .size:           8
        .value_kind:     global_buffer
      - .address_space:  global
        .offset:         48
        .size:           8
        .value_kind:     global_buffer
      - .address_space:  global
        .offset:         56
        .size:           8
        .value_kind:     global_buffer
      - .offset:         64
        .size:           4
        .value_kind:     by_value
      - .offset:         68
        .size:           4
        .value_kind:     by_value
      - .offset:         72
        .size:           4
        .value_kind:     by_value
      - .offset:         76
        .size:           4
        .value_kind:     by_value
      - .offset:         80
        .size:           4
        .value_kind:     by_value
      - .offset:         84
        .size:           4
        .value_kind:     by_value
      - .offset:         88
        .size:           4
        .value_kind:     by_value
      - .offset:         92
        .size:           12
        .value_kind:     by_value
      - .offset:         104
        .size:           4
        .value_kind:     by_value
      - .offset:         108
        .size:           4
        .value_kind:     by_value
      - .offset:         112
        .size:           4
        .value_kind:     by_value
      - .offset:         116
        .size:           4
        .value_kind:     by_value
      - .offset:         120
        .size:           4
        .value_kind:     by_value
      - .offset:         124
        .size:           4
        .value_kind:     by_value
      - .offset:         128
        .size:           4
        .value_kind:     by_value
      - .offset:         132
        .size:           4
        .value_kind:     by_value
      - .offset:         136
        .size:           4
        .value_kind:     by_value
      - .offset:         140
        .size:           4
        .value_kind:     by_value
      - .offset:         144
        .size:           4
        .value_kind:     by_value
      - .offset:         152
        .size:           8
        .value_kind:     by_value
      - .offset:         160
        .size:           4
        .value_kind:     by_value
      - .offset:         164
        .size:           4
        .value_kind:     by_value
      - .offset:         168
        .size:           8
        .value_kind:     by_value
      - .offset:         176
        .size:           4
        .value_kind:     by_value
      - .offset:         180
        .size:           4
        .value_kind:     by_value
      - .offset:         184
        .size:           4
        .value_kind:     by_value
      - .offset:         188
        .size:           4
        .value_kind:     by_value
      - .offset:         192
        .size:           4
        .value_kind:     by_value
      - .offset:         200
        .size:           8
        .value_kind:     by_value
      - .offset:         208
        .size:           4
        .value_kind:     hidden_block_count_x
      - .offset:         212
        .size:           4
        .value_kind:     hidden_block_count_y
      - .offset:         216
        .size:           4
        .value_kind:     hidden_block_count_z
      - .offset:         220
        .size:           2
        .value_kind:     hidden_group_size_x
      - .offset:         222
        .size:           2
        .value_kind:     hidden_group_size_y
      - .offset:         224
        .size:           2
        .value_kind:     hidden_group_size_z
      - .offset:         226
        .size:           2
        .value_kind:     hidden_remainder_x
      - .offset:         228
        .size:           2
        .value_kind:     hidden_remainder_y
      - .offset:         230
        .size:           2
        .value_kind:     hidden_remainder_z
      - .offset:         248
        .size:           8
        .value_kind:     hidden_global_offset_x
      - .offset:         256
        .size:           8
        .value_kind:     hidden_global_offset_y
      - .offset:         264
        .size:           8
        .value_kind:     hidden_global_offset_z
      - .offset:         272
        .size:           2
        .value_kind:     hidden_grid_dims
      - .offset:         328
        .size:           4
        .value_kind:     hidden_dynamic_lds_size
    .group_segment_fixed_size: 0
    .kernarg_segment_align: 8
    .kernarg_segment_size: 464
    .language:       OpenCL C
    .language_version:
      - 2
      - 0
    .max_flat_workgroup_size: 512
    .name:           _ZL18flash_attn_ext_f16ILi256ELi256ELi64ELi1ELb0ELb0EEvPKcS1_S1_S1_S1_PKiPfP15HIP_vector_typeIfLj2EEffffjfiS5_IjLj3EEiiiiiiiiiiiliiliiiiil
    .private_segment_fixed_size: 144
    .sgpr_count:     106
    .sgpr_spill_count: 59
    .symbol:         _ZL18flash_attn_ext_f16ILi256ELi256ELi64ELi1ELb0ELb0EEvPKcS1_S1_S1_S1_PKiPfP15HIP_vector_typeIfLj2EEffffjfiS5_IjLj3EEiiiiiiiiiiiliiliiiiil.kd
    .uniform_work_group_size: 1
    .uses_dynamic_stack: false
    .vgpr_count:     256
    .vgpr_spill_count: 30
    .wavefront_size: 64
  - .agpr_count:     0
    .args:
      - .address_space:  global
        .offset:         0
        .size:           8
        .value_kind:     global_buffer
      - .address_space:  global
        .offset:         8
        .size:           8
        .value_kind:     global_buffer
      - .address_space:  global
        .offset:         16
        .size:           8
        .value_kind:     global_buffer
      - .address_space:  global
        .offset:         24
        .size:           8
        .value_kind:     global_buffer
      - .address_space:  global
        .offset:         32
        .size:           8
        .value_kind:     global_buffer
      - .address_space:  global
        .offset:         40
        .size:           8
        .value_kind:     global_buffer
      - .address_space:  global
        .offset:         48
        .size:           8
        .value_kind:     global_buffer
      - .address_space:  global
        .offset:         56
        .size:           8
        .value_kind:     global_buffer
      - .offset:         64
        .size:           4
        .value_kind:     by_value
      - .offset:         68
        .size:           4
        .value_kind:     by_value
      - .offset:         72
        .size:           4
        .value_kind:     by_value
      - .offset:         76
        .size:           4
        .value_kind:     by_value
      - .offset:         80
        .size:           4
        .value_kind:     by_value
      - .offset:         84
        .size:           4
        .value_kind:     by_value
      - .offset:         88
        .size:           4
        .value_kind:     by_value
      - .offset:         92
        .size:           12
        .value_kind:     by_value
      - .offset:         104
        .size:           4
        .value_kind:     by_value
      - .offset:         108
        .size:           4
        .value_kind:     by_value
      - .offset:         112
        .size:           4
        .value_kind:     by_value
      - .offset:         116
        .size:           4
        .value_kind:     by_value
      - .offset:         120
        .size:           4
        .value_kind:     by_value
      - .offset:         124
        .size:           4
        .value_kind:     by_value
      - .offset:         128
        .size:           4
        .value_kind:     by_value
      - .offset:         132
        .size:           4
        .value_kind:     by_value
      - .offset:         136
        .size:           4
        .value_kind:     by_value
      - .offset:         140
        .size:           4
        .value_kind:     by_value
      - .offset:         144
        .size:           4
        .value_kind:     by_value
      - .offset:         152
        .size:           8
        .value_kind:     by_value
      - .offset:         160
        .size:           4
        .value_kind:     by_value
      - .offset:         164
        .size:           4
        .value_kind:     by_value
      - .offset:         168
        .size:           8
        .value_kind:     by_value
      - .offset:         176
        .size:           4
        .value_kind:     by_value
      - .offset:         180
        .size:           4
        .value_kind:     by_value
      - .offset:         184
        .size:           4
        .value_kind:     by_value
      - .offset:         188
        .size:           4
        .value_kind:     by_value
      - .offset:         192
        .size:           4
        .value_kind:     by_value
      - .offset:         200
        .size:           8
        .value_kind:     by_value
      - .offset:         208
        .size:           4
        .value_kind:     hidden_block_count_x
      - .offset:         212
        .size:           4
        .value_kind:     hidden_block_count_y
      - .offset:         216
        .size:           4
        .value_kind:     hidden_block_count_z
      - .offset:         220
        .size:           2
        .value_kind:     hidden_group_size_x
      - .offset:         222
        .size:           2
        .value_kind:     hidden_group_size_y
      - .offset:         224
        .size:           2
        .value_kind:     hidden_group_size_z
      - .offset:         226
        .size:           2
        .value_kind:     hidden_remainder_x
      - .offset:         228
        .size:           2
        .value_kind:     hidden_remainder_y
      - .offset:         230
        .size:           2
        .value_kind:     hidden_remainder_z
      - .offset:         248
        .size:           8
        .value_kind:     hidden_global_offset_x
      - .offset:         256
        .size:           8
        .value_kind:     hidden_global_offset_y
      - .offset:         264
        .size:           8
        .value_kind:     hidden_global_offset_z
      - .offset:         272
        .size:           2
        .value_kind:     hidden_grid_dims
      - .offset:         328
        .size:           4
        .value_kind:     hidden_dynamic_lds_size
    .group_segment_fixed_size: 0
    .kernarg_segment_align: 8
    .kernarg_segment_size: 464
    .language:       OpenCL C
    .language_version:
      - 2
      - 0
    .max_flat_workgroup_size: 512
    .name:           _ZL18flash_attn_ext_f16ILi256ELi256ELi64ELi1ELb1ELb0EEvPKcS1_S1_S1_S1_PKiPfP15HIP_vector_typeIfLj2EEffffjfiS5_IjLj3EEiiiiiiiiiiiliiliiiiil
    .private_segment_fixed_size: 144
    .sgpr_count:     106
    .sgpr_spill_count: 63
    .symbol:         _ZL18flash_attn_ext_f16ILi256ELi256ELi64ELi1ELb1ELb0EEvPKcS1_S1_S1_S1_PKiPfP15HIP_vector_typeIfLj2EEffffjfiS5_IjLj3EEiiiiiiiiiiiliiliiiiil.kd
    .uniform_work_group_size: 1
    .uses_dynamic_stack: false
    .vgpr_count:     256
    .vgpr_spill_count: 30
    .wavefront_size: 64
  - .agpr_count:     0
    .args:
      - .address_space:  global
        .offset:         0
        .size:           8
        .value_kind:     global_buffer
      - .address_space:  global
        .offset:         8
        .size:           8
        .value_kind:     global_buffer
      - .offset:         16
        .size:           4
        .value_kind:     by_value
      - .offset:         20
        .size:           4
        .value_kind:     by_value
      - .offset:         24
        .size:           4
        .value_kind:     by_value
      - .offset:         28
        .size:           4
        .value_kind:     by_value
      - .offset:         32
        .size:           4
        .value_kind:     by_value
      - .offset:         36
        .size:           4
        .value_kind:     by_value
      - .offset:         40
        .size:           12
        .value_kind:     by_value
      - .offset:         52
        .size:           12
        .value_kind:     by_value
      - .offset:         64
        .size:           12
        .value_kind:     by_value
    .group_segment_fixed_size: 0
    .kernarg_segment_align: 8
    .kernarg_segment_size: 76
    .language:       OpenCL C
    .language_version:
      - 2
      - 0
    .max_flat_workgroup_size: 256
    .name:           _ZL33flash_attn_stream_k_fixup_uniformILi256ELi64ELi1EEvPfPK15HIP_vector_typeIfLj2EEiiiiiiS1_IjLj3EES5_S5_
    .private_segment_fixed_size: 0
    .sgpr_count:     30
    .sgpr_spill_count: 0
    .symbol:         _ZL33flash_attn_stream_k_fixup_uniformILi256ELi64ELi1EEvPfPK15HIP_vector_typeIfLj2EEiiiiiiS1_IjLj3EES5_S5_.kd
    .uniform_work_group_size: 1
    .uses_dynamic_stack: false
    .vgpr_count:     17
    .vgpr_spill_count: 0
    .wavefront_size: 64
  - .agpr_count:     0
    .args:
      - .address_space:  global
        .offset:         0
        .size:           8
        .value_kind:     global_buffer
      - .address_space:  global
        .offset:         8
        .size:           8
        .value_kind:     global_buffer
      - .offset:         16
        .size:           4
        .value_kind:     by_value
      - .offset:         20
        .size:           4
        .value_kind:     by_value
      - .offset:         24
        .size:           4
        .value_kind:     by_value
      - .offset:         28
        .size:           4
        .value_kind:     by_value
      - .offset:         32
        .size:           12
        .value_kind:     by_value
      - .offset:         44
        .size:           12
        .value_kind:     by_value
      - .offset:         56
        .size:           12
        .value_kind:     by_value
      - .offset:         68
        .size:           12
        .value_kind:     by_value
      - .offset:         80
        .size:           4
        .value_kind:     hidden_block_count_x
      - .offset:         84
        .size:           4
        .value_kind:     hidden_block_count_y
      - .offset:         88
        .size:           4
        .value_kind:     hidden_block_count_z
      - .offset:         92
        .size:           2
        .value_kind:     hidden_group_size_x
      - .offset:         94
        .size:           2
        .value_kind:     hidden_group_size_y
      - .offset:         96
        .size:           2
        .value_kind:     hidden_group_size_z
      - .offset:         98
        .size:           2
        .value_kind:     hidden_remainder_x
      - .offset:         100
        .size:           2
        .value_kind:     hidden_remainder_y
      - .offset:         102
        .size:           2
        .value_kind:     hidden_remainder_z
      - .offset:         120
        .size:           8
        .value_kind:     hidden_global_offset_x
      - .offset:         128
        .size:           8
        .value_kind:     hidden_global_offset_y
      - .offset:         136
        .size:           8
        .value_kind:     hidden_global_offset_z
      - .offset:         144
        .size:           2
        .value_kind:     hidden_grid_dims
    .group_segment_fixed_size: 0
    .kernarg_segment_align: 8
    .kernarg_segment_size: 336
    .language:       OpenCL C
    .language_version:
      - 2
      - 0
    .max_flat_workgroup_size: 256
    .name:           _ZL33flash_attn_stream_k_fixup_generalILi256ELi64ELi1EEvPfPK15HIP_vector_typeIfLj2EEiiiiS1_IjLj3EES5_S5_S5_
    .private_segment_fixed_size: 0
    .sgpr_count:     42
    .sgpr_spill_count: 0
    .symbol:         _ZL33flash_attn_stream_k_fixup_generalILi256ELi64ELi1EEvPfPK15HIP_vector_typeIfLj2EEiiiiS1_IjLj3EES5_S5_S5_.kd
    .uniform_work_group_size: 1
    .uses_dynamic_stack: false
    .vgpr_count:     18
    .vgpr_spill_count: 0
    .wavefront_size: 64
  - .agpr_count:     0
    .args:
      - .address_space:  global
        .offset:         0
        .size:           8
        .value_kind:     global_buffer
      - .address_space:  global
        .offset:         8
        .size:           8
        .value_kind:     global_buffer
      - .address_space:  global
        .offset:         16
        .size:           8
        .value_kind:     global_buffer
      - .offset:         24
        .size:           4
        .value_kind:     by_value
      - .offset:         32
        .size:           4
        .value_kind:     hidden_block_count_x
      - .offset:         36
        .size:           4
        .value_kind:     hidden_block_count_y
      - .offset:         40
        .size:           4
        .value_kind:     hidden_block_count_z
      - .offset:         44
        .size:           2
        .value_kind:     hidden_group_size_x
      - .offset:         46
        .size:           2
        .value_kind:     hidden_group_size_y
      - .offset:         48
        .size:           2
        .value_kind:     hidden_group_size_z
      - .offset:         50
        .size:           2
        .value_kind:     hidden_remainder_x
      - .offset:         52
        .size:           2
        .value_kind:     hidden_remainder_y
      - .offset:         54
        .size:           2
        .value_kind:     hidden_remainder_z
      - .offset:         72
        .size:           8
        .value_kind:     hidden_global_offset_x
      - .offset:         80
        .size:           8
        .value_kind:     hidden_global_offset_y
      - .offset:         88
        .size:           8
        .value_kind:     hidden_global_offset_z
      - .offset:         96
        .size:           2
        .value_kind:     hidden_grid_dims
      - .offset:         152
        .size:           4
        .value_kind:     hidden_dynamic_lds_size
    .group_segment_fixed_size: 0
    .kernarg_segment_align: 8
    .kernarg_segment_size: 288
    .language:       OpenCL C
    .language_version:
      - 2
      - 0
    .max_flat_workgroup_size: 256
    .name:           _ZL26flash_attn_combine_resultsILi256EEvPKfPK15HIP_vector_typeIfLj2EEPfi
    .private_segment_fixed_size: 0
    .sgpr_count:     32
    .sgpr_spill_count: 0
    .symbol:         _ZL26flash_attn_combine_resultsILi256EEvPKfPK15HIP_vector_typeIfLj2EEPfi.kd
    .uniform_work_group_size: 1
    .uses_dynamic_stack: false
    .vgpr_count:     59
    .vgpr_spill_count: 0
    .wavefront_size: 64
amdhsa.target:   amdgcn-amd-amdhsa--gfx950
amdhsa.version:
  - 1
  - 2
...

	.end_amdgpu_metadata
